;; amdgpu-corpus repo=ROCm/rocThrust kind=compiled arch=gfx1201 opt=O3
	.amdgcn_target "amdgcn-amd-amdhsa--gfx1201"
	.amdhsa_code_object_version 6
	.section	.text._ZN6thrust23THRUST_200600_302600_NS11hip_rocprim14__parallel_for6kernelILj256ENS1_10for_each_fINS0_7pointerINS0_5tupleIffNS0_9null_typeES7_S7_S7_S7_S7_S7_S7_EENS1_3tagENS0_11use_defaultESA_EENS0_6detail16wrapped_functionINSC_23allocator_traits_detail24construct1_via_allocatorINSC_18no_throw_allocatorINSC_19temporary_allocatorIS8_S9_EEEEEEvEEEEmLj1EEEvT0_T1_SO_,"axG",@progbits,_ZN6thrust23THRUST_200600_302600_NS11hip_rocprim14__parallel_for6kernelILj256ENS1_10for_each_fINS0_7pointerINS0_5tupleIffNS0_9null_typeES7_S7_S7_S7_S7_S7_S7_EENS1_3tagENS0_11use_defaultESA_EENS0_6detail16wrapped_functionINSC_23allocator_traits_detail24construct1_via_allocatorINSC_18no_throw_allocatorINSC_19temporary_allocatorIS8_S9_EEEEEEvEEEEmLj1EEEvT0_T1_SO_,comdat
	.protected	_ZN6thrust23THRUST_200600_302600_NS11hip_rocprim14__parallel_for6kernelILj256ENS1_10for_each_fINS0_7pointerINS0_5tupleIffNS0_9null_typeES7_S7_S7_S7_S7_S7_S7_EENS1_3tagENS0_11use_defaultESA_EENS0_6detail16wrapped_functionINSC_23allocator_traits_detail24construct1_via_allocatorINSC_18no_throw_allocatorINSC_19temporary_allocatorIS8_S9_EEEEEEvEEEEmLj1EEEvT0_T1_SO_ ; -- Begin function _ZN6thrust23THRUST_200600_302600_NS11hip_rocprim14__parallel_for6kernelILj256ENS1_10for_each_fINS0_7pointerINS0_5tupleIffNS0_9null_typeES7_S7_S7_S7_S7_S7_S7_EENS1_3tagENS0_11use_defaultESA_EENS0_6detail16wrapped_functionINSC_23allocator_traits_detail24construct1_via_allocatorINSC_18no_throw_allocatorINSC_19temporary_allocatorIS8_S9_EEEEEEvEEEEmLj1EEEvT0_T1_SO_
	.globl	_ZN6thrust23THRUST_200600_302600_NS11hip_rocprim14__parallel_for6kernelILj256ENS1_10for_each_fINS0_7pointerINS0_5tupleIffNS0_9null_typeES7_S7_S7_S7_S7_S7_S7_EENS1_3tagENS0_11use_defaultESA_EENS0_6detail16wrapped_functionINSC_23allocator_traits_detail24construct1_via_allocatorINSC_18no_throw_allocatorINSC_19temporary_allocatorIS8_S9_EEEEEEvEEEEmLj1EEEvT0_T1_SO_
	.p2align	8
	.type	_ZN6thrust23THRUST_200600_302600_NS11hip_rocprim14__parallel_for6kernelILj256ENS1_10for_each_fINS0_7pointerINS0_5tupleIffNS0_9null_typeES7_S7_S7_S7_S7_S7_S7_EENS1_3tagENS0_11use_defaultESA_EENS0_6detail16wrapped_functionINSC_23allocator_traits_detail24construct1_via_allocatorINSC_18no_throw_allocatorINSC_19temporary_allocatorIS8_S9_EEEEEEvEEEEmLj1EEEvT0_T1_SO_,@function
_ZN6thrust23THRUST_200600_302600_NS11hip_rocprim14__parallel_for6kernelILj256ENS1_10for_each_fINS0_7pointerINS0_5tupleIffNS0_9null_typeES7_S7_S7_S7_S7_S7_S7_EENS1_3tagENS0_11use_defaultESA_EENS0_6detail16wrapped_functionINSC_23allocator_traits_detail24construct1_via_allocatorINSC_18no_throw_allocatorINSC_19temporary_allocatorIS8_S9_EEEEEEvEEEEmLj1EEEvT0_T1_SO_: ; @_ZN6thrust23THRUST_200600_302600_NS11hip_rocprim14__parallel_for6kernelILj256ENS1_10for_each_fINS0_7pointerINS0_5tupleIffNS0_9null_typeES7_S7_S7_S7_S7_S7_S7_EENS1_3tagENS0_11use_defaultESA_EENS0_6detail16wrapped_functionINSC_23allocator_traits_detail24construct1_via_allocatorINSC_18no_throw_allocatorINSC_19temporary_allocatorIS8_S9_EEEEEEvEEEEmLj1EEEvT0_T1_SO_
; %bb.0:
	s_clause 0x1
	s_load_b128 s[4:7], s[0:1], 0x10
	s_load_b64 s[0:1], s[0:1], 0x0
	s_lshl_b32 s2, ttmp9, 8
	s_mov_b32 s3, 0
	s_wait_kmcnt 0x0
	s_add_nc_u64 s[2:3], s[6:7], s[2:3]
	s_delay_alu instid0(SALU_CYCLE_1) | instskip(NEXT) | instid1(SALU_CYCLE_1)
	s_sub_nc_u64 s[4:5], s[4:5], s[2:3]
	v_cmp_lt_u64_e64 s5, 0xff, s[4:5]
	s_and_b32 vcc_lo, exec_lo, s5
	s_mov_b32 s5, -1
	s_cbranch_vccz .LBB0_3
; %bb.1:
	s_wait_alu 0xfffe
	s_and_not1_b32 vcc_lo, exec_lo, s5
	s_cbranch_vccz .LBB0_6
.LBB0_2:
	s_endpgm
.LBB0_3:
	v_cmp_gt_u32_e32 vcc_lo, s4, v0
	s_and_saveexec_b32 s4, vcc_lo
	s_cbranch_execz .LBB0_5
; %bb.4:
	v_dual_mov_b32 v1, 0 :: v_dual_lshlrev_b32 v2, 3, v0
	s_lshl_b64 s[6:7], s[2:3], 3
	s_delay_alu instid0(SALU_CYCLE_1)
	s_add_nc_u64 s[6:7], s[0:1], s[6:7]
	s_delay_alu instid0(VALU_DEP_1) | instid1(SALU_CYCLE_1)
	v_add_co_u32 v3, s5, s6, v2
	s_wait_alu 0xf1fe
	v_add_co_ci_u32_e64 v4, null, s7, 0, s5
	v_mov_b32_e32 v2, v1
	flat_store_b64 v[3:4], v[1:2]
.LBB0_5:
	s_wait_alu 0xfffe
	s_or_b32 exec_lo, exec_lo, s4
	s_cbranch_execnz .LBB0_2
.LBB0_6:
	v_dual_mov_b32 v0, 0 :: v_dual_lshlrev_b32 v1, 3, v0
	s_lshl_b64 s[2:3], s[2:3], 3
	s_delay_alu instid0(SALU_CYCLE_1)
	s_add_nc_u64 s[0:1], s[0:1], s[2:3]
	s_delay_alu instid0(VALU_DEP_1) | instid1(SALU_CYCLE_1)
	v_add_co_u32 v2, s0, s0, v1
	s_wait_alu 0xf1ff
	v_add_co_ci_u32_e64 v3, null, s1, 0, s0
	v_mov_b32_e32 v1, v0
	flat_store_b64 v[2:3], v[0:1]
	s_endpgm
	.section	.rodata,"a",@progbits
	.p2align	6, 0x0
	.amdhsa_kernel _ZN6thrust23THRUST_200600_302600_NS11hip_rocprim14__parallel_for6kernelILj256ENS1_10for_each_fINS0_7pointerINS0_5tupleIffNS0_9null_typeES7_S7_S7_S7_S7_S7_S7_EENS1_3tagENS0_11use_defaultESA_EENS0_6detail16wrapped_functionINSC_23allocator_traits_detail24construct1_via_allocatorINSC_18no_throw_allocatorINSC_19temporary_allocatorIS8_S9_EEEEEEvEEEEmLj1EEEvT0_T1_SO_
		.amdhsa_group_segment_fixed_size 0
		.amdhsa_private_segment_fixed_size 0
		.amdhsa_kernarg_size 32
		.amdhsa_user_sgpr_count 2
		.amdhsa_user_sgpr_dispatch_ptr 0
		.amdhsa_user_sgpr_queue_ptr 0
		.amdhsa_user_sgpr_kernarg_segment_ptr 1
		.amdhsa_user_sgpr_dispatch_id 0
		.amdhsa_user_sgpr_private_segment_size 0
		.amdhsa_wavefront_size32 1
		.amdhsa_uses_dynamic_stack 0
		.amdhsa_enable_private_segment 0
		.amdhsa_system_sgpr_workgroup_id_x 1
		.amdhsa_system_sgpr_workgroup_id_y 0
		.amdhsa_system_sgpr_workgroup_id_z 0
		.amdhsa_system_sgpr_workgroup_info 0
		.amdhsa_system_vgpr_workitem_id 0
		.amdhsa_next_free_vgpr 5
		.amdhsa_next_free_sgpr 8
		.amdhsa_reserve_vcc 1
		.amdhsa_float_round_mode_32 0
		.amdhsa_float_round_mode_16_64 0
		.amdhsa_float_denorm_mode_32 3
		.amdhsa_float_denorm_mode_16_64 3
		.amdhsa_fp16_overflow 0
		.amdhsa_workgroup_processor_mode 1
		.amdhsa_memory_ordered 1
		.amdhsa_forward_progress 1
		.amdhsa_inst_pref_size 2
		.amdhsa_round_robin_scheduling 0
		.amdhsa_exception_fp_ieee_invalid_op 0
		.amdhsa_exception_fp_denorm_src 0
		.amdhsa_exception_fp_ieee_div_zero 0
		.amdhsa_exception_fp_ieee_overflow 0
		.amdhsa_exception_fp_ieee_underflow 0
		.amdhsa_exception_fp_ieee_inexact 0
		.amdhsa_exception_int_div_zero 0
	.end_amdhsa_kernel
	.section	.text._ZN6thrust23THRUST_200600_302600_NS11hip_rocprim14__parallel_for6kernelILj256ENS1_10for_each_fINS0_7pointerINS0_5tupleIffNS0_9null_typeES7_S7_S7_S7_S7_S7_S7_EENS1_3tagENS0_11use_defaultESA_EENS0_6detail16wrapped_functionINSC_23allocator_traits_detail24construct1_via_allocatorINSC_18no_throw_allocatorINSC_19temporary_allocatorIS8_S9_EEEEEEvEEEEmLj1EEEvT0_T1_SO_,"axG",@progbits,_ZN6thrust23THRUST_200600_302600_NS11hip_rocprim14__parallel_for6kernelILj256ENS1_10for_each_fINS0_7pointerINS0_5tupleIffNS0_9null_typeES7_S7_S7_S7_S7_S7_S7_EENS1_3tagENS0_11use_defaultESA_EENS0_6detail16wrapped_functionINSC_23allocator_traits_detail24construct1_via_allocatorINSC_18no_throw_allocatorINSC_19temporary_allocatorIS8_S9_EEEEEEvEEEEmLj1EEEvT0_T1_SO_,comdat
.Lfunc_end0:
	.size	_ZN6thrust23THRUST_200600_302600_NS11hip_rocprim14__parallel_for6kernelILj256ENS1_10for_each_fINS0_7pointerINS0_5tupleIffNS0_9null_typeES7_S7_S7_S7_S7_S7_S7_EENS1_3tagENS0_11use_defaultESA_EENS0_6detail16wrapped_functionINSC_23allocator_traits_detail24construct1_via_allocatorINSC_18no_throw_allocatorINSC_19temporary_allocatorIS8_S9_EEEEEEvEEEEmLj1EEEvT0_T1_SO_, .Lfunc_end0-_ZN6thrust23THRUST_200600_302600_NS11hip_rocprim14__parallel_for6kernelILj256ENS1_10for_each_fINS0_7pointerINS0_5tupleIffNS0_9null_typeES7_S7_S7_S7_S7_S7_S7_EENS1_3tagENS0_11use_defaultESA_EENS0_6detail16wrapped_functionINSC_23allocator_traits_detail24construct1_via_allocatorINSC_18no_throw_allocatorINSC_19temporary_allocatorIS8_S9_EEEEEEvEEEEmLj1EEEvT0_T1_SO_
                                        ; -- End function
	.set _ZN6thrust23THRUST_200600_302600_NS11hip_rocprim14__parallel_for6kernelILj256ENS1_10for_each_fINS0_7pointerINS0_5tupleIffNS0_9null_typeES7_S7_S7_S7_S7_S7_S7_EENS1_3tagENS0_11use_defaultESA_EENS0_6detail16wrapped_functionINSC_23allocator_traits_detail24construct1_via_allocatorINSC_18no_throw_allocatorINSC_19temporary_allocatorIS8_S9_EEEEEEvEEEEmLj1EEEvT0_T1_SO_.num_vgpr, 5
	.set _ZN6thrust23THRUST_200600_302600_NS11hip_rocprim14__parallel_for6kernelILj256ENS1_10for_each_fINS0_7pointerINS0_5tupleIffNS0_9null_typeES7_S7_S7_S7_S7_S7_S7_EENS1_3tagENS0_11use_defaultESA_EENS0_6detail16wrapped_functionINSC_23allocator_traits_detail24construct1_via_allocatorINSC_18no_throw_allocatorINSC_19temporary_allocatorIS8_S9_EEEEEEvEEEEmLj1EEEvT0_T1_SO_.num_agpr, 0
	.set _ZN6thrust23THRUST_200600_302600_NS11hip_rocprim14__parallel_for6kernelILj256ENS1_10for_each_fINS0_7pointerINS0_5tupleIffNS0_9null_typeES7_S7_S7_S7_S7_S7_S7_EENS1_3tagENS0_11use_defaultESA_EENS0_6detail16wrapped_functionINSC_23allocator_traits_detail24construct1_via_allocatorINSC_18no_throw_allocatorINSC_19temporary_allocatorIS8_S9_EEEEEEvEEEEmLj1EEEvT0_T1_SO_.numbered_sgpr, 8
	.set _ZN6thrust23THRUST_200600_302600_NS11hip_rocprim14__parallel_for6kernelILj256ENS1_10for_each_fINS0_7pointerINS0_5tupleIffNS0_9null_typeES7_S7_S7_S7_S7_S7_S7_EENS1_3tagENS0_11use_defaultESA_EENS0_6detail16wrapped_functionINSC_23allocator_traits_detail24construct1_via_allocatorINSC_18no_throw_allocatorINSC_19temporary_allocatorIS8_S9_EEEEEEvEEEEmLj1EEEvT0_T1_SO_.num_named_barrier, 0
	.set _ZN6thrust23THRUST_200600_302600_NS11hip_rocprim14__parallel_for6kernelILj256ENS1_10for_each_fINS0_7pointerINS0_5tupleIffNS0_9null_typeES7_S7_S7_S7_S7_S7_S7_EENS1_3tagENS0_11use_defaultESA_EENS0_6detail16wrapped_functionINSC_23allocator_traits_detail24construct1_via_allocatorINSC_18no_throw_allocatorINSC_19temporary_allocatorIS8_S9_EEEEEEvEEEEmLj1EEEvT0_T1_SO_.private_seg_size, 0
	.set _ZN6thrust23THRUST_200600_302600_NS11hip_rocprim14__parallel_for6kernelILj256ENS1_10for_each_fINS0_7pointerINS0_5tupleIffNS0_9null_typeES7_S7_S7_S7_S7_S7_S7_EENS1_3tagENS0_11use_defaultESA_EENS0_6detail16wrapped_functionINSC_23allocator_traits_detail24construct1_via_allocatorINSC_18no_throw_allocatorINSC_19temporary_allocatorIS8_S9_EEEEEEvEEEEmLj1EEEvT0_T1_SO_.uses_vcc, 1
	.set _ZN6thrust23THRUST_200600_302600_NS11hip_rocprim14__parallel_for6kernelILj256ENS1_10for_each_fINS0_7pointerINS0_5tupleIffNS0_9null_typeES7_S7_S7_S7_S7_S7_S7_EENS1_3tagENS0_11use_defaultESA_EENS0_6detail16wrapped_functionINSC_23allocator_traits_detail24construct1_via_allocatorINSC_18no_throw_allocatorINSC_19temporary_allocatorIS8_S9_EEEEEEvEEEEmLj1EEEvT0_T1_SO_.uses_flat_scratch, 0
	.set _ZN6thrust23THRUST_200600_302600_NS11hip_rocprim14__parallel_for6kernelILj256ENS1_10for_each_fINS0_7pointerINS0_5tupleIffNS0_9null_typeES7_S7_S7_S7_S7_S7_S7_EENS1_3tagENS0_11use_defaultESA_EENS0_6detail16wrapped_functionINSC_23allocator_traits_detail24construct1_via_allocatorINSC_18no_throw_allocatorINSC_19temporary_allocatorIS8_S9_EEEEEEvEEEEmLj1EEEvT0_T1_SO_.has_dyn_sized_stack, 0
	.set _ZN6thrust23THRUST_200600_302600_NS11hip_rocprim14__parallel_for6kernelILj256ENS1_10for_each_fINS0_7pointerINS0_5tupleIffNS0_9null_typeES7_S7_S7_S7_S7_S7_S7_EENS1_3tagENS0_11use_defaultESA_EENS0_6detail16wrapped_functionINSC_23allocator_traits_detail24construct1_via_allocatorINSC_18no_throw_allocatorINSC_19temporary_allocatorIS8_S9_EEEEEEvEEEEmLj1EEEvT0_T1_SO_.has_recursion, 0
	.set _ZN6thrust23THRUST_200600_302600_NS11hip_rocprim14__parallel_for6kernelILj256ENS1_10for_each_fINS0_7pointerINS0_5tupleIffNS0_9null_typeES7_S7_S7_S7_S7_S7_S7_EENS1_3tagENS0_11use_defaultESA_EENS0_6detail16wrapped_functionINSC_23allocator_traits_detail24construct1_via_allocatorINSC_18no_throw_allocatorINSC_19temporary_allocatorIS8_S9_EEEEEEvEEEEmLj1EEEvT0_T1_SO_.has_indirect_call, 0
	.section	.AMDGPU.csdata,"",@progbits
; Kernel info:
; codeLenInByte = 232
; TotalNumSgprs: 10
; NumVgprs: 5
; ScratchSize: 0
; MemoryBound: 0
; FloatMode: 240
; IeeeMode: 1
; LDSByteSize: 0 bytes/workgroup (compile time only)
; SGPRBlocks: 0
; VGPRBlocks: 0
; NumSGPRsForWavesPerEU: 10
; NumVGPRsForWavesPerEU: 5
; Occupancy: 16
; WaveLimiterHint : 0
; COMPUTE_PGM_RSRC2:SCRATCH_EN: 0
; COMPUTE_PGM_RSRC2:USER_SGPR: 2
; COMPUTE_PGM_RSRC2:TRAP_HANDLER: 0
; COMPUTE_PGM_RSRC2:TGID_X_EN: 1
; COMPUTE_PGM_RSRC2:TGID_Y_EN: 0
; COMPUTE_PGM_RSRC2:TGID_Z_EN: 0
; COMPUTE_PGM_RSRC2:TIDIG_COMP_CNT: 0
	.section	.text._ZN6thrust23THRUST_200600_302600_NS11hip_rocprim14__parallel_for6kernelILj256ENS1_10for_each_fINS0_7pointerINS0_5tupleIffNS0_9null_typeES7_S7_S7_S7_S7_S7_S7_EENS1_3tagENS0_11use_defaultESA_EENS0_6detail16wrapped_functionINSC_23allocator_traits_detail5gozerEvEEEElLj1EEEvT0_T1_SJ_,"axG",@progbits,_ZN6thrust23THRUST_200600_302600_NS11hip_rocprim14__parallel_for6kernelILj256ENS1_10for_each_fINS0_7pointerINS0_5tupleIffNS0_9null_typeES7_S7_S7_S7_S7_S7_S7_EENS1_3tagENS0_11use_defaultESA_EENS0_6detail16wrapped_functionINSC_23allocator_traits_detail5gozerEvEEEElLj1EEEvT0_T1_SJ_,comdat
	.protected	_ZN6thrust23THRUST_200600_302600_NS11hip_rocprim14__parallel_for6kernelILj256ENS1_10for_each_fINS0_7pointerINS0_5tupleIffNS0_9null_typeES7_S7_S7_S7_S7_S7_S7_EENS1_3tagENS0_11use_defaultESA_EENS0_6detail16wrapped_functionINSC_23allocator_traits_detail5gozerEvEEEElLj1EEEvT0_T1_SJ_ ; -- Begin function _ZN6thrust23THRUST_200600_302600_NS11hip_rocprim14__parallel_for6kernelILj256ENS1_10for_each_fINS0_7pointerINS0_5tupleIffNS0_9null_typeES7_S7_S7_S7_S7_S7_S7_EENS1_3tagENS0_11use_defaultESA_EENS0_6detail16wrapped_functionINSC_23allocator_traits_detail5gozerEvEEEElLj1EEEvT0_T1_SJ_
	.globl	_ZN6thrust23THRUST_200600_302600_NS11hip_rocprim14__parallel_for6kernelILj256ENS1_10for_each_fINS0_7pointerINS0_5tupleIffNS0_9null_typeES7_S7_S7_S7_S7_S7_S7_EENS1_3tagENS0_11use_defaultESA_EENS0_6detail16wrapped_functionINSC_23allocator_traits_detail5gozerEvEEEElLj1EEEvT0_T1_SJ_
	.p2align	8
	.type	_ZN6thrust23THRUST_200600_302600_NS11hip_rocprim14__parallel_for6kernelILj256ENS1_10for_each_fINS0_7pointerINS0_5tupleIffNS0_9null_typeES7_S7_S7_S7_S7_S7_S7_EENS1_3tagENS0_11use_defaultESA_EENS0_6detail16wrapped_functionINSC_23allocator_traits_detail5gozerEvEEEElLj1EEEvT0_T1_SJ_,@function
_ZN6thrust23THRUST_200600_302600_NS11hip_rocprim14__parallel_for6kernelILj256ENS1_10for_each_fINS0_7pointerINS0_5tupleIffNS0_9null_typeES7_S7_S7_S7_S7_S7_S7_EENS1_3tagENS0_11use_defaultESA_EENS0_6detail16wrapped_functionINSC_23allocator_traits_detail5gozerEvEEEElLj1EEEvT0_T1_SJ_: ; @_ZN6thrust23THRUST_200600_302600_NS11hip_rocprim14__parallel_for6kernelILj256ENS1_10for_each_fINS0_7pointerINS0_5tupleIffNS0_9null_typeES7_S7_S7_S7_S7_S7_S7_EENS1_3tagENS0_11use_defaultESA_EENS0_6detail16wrapped_functionINSC_23allocator_traits_detail5gozerEvEEEElLj1EEEvT0_T1_SJ_
; %bb.0:
	s_endpgm
	.section	.rodata,"a",@progbits
	.p2align	6, 0x0
	.amdhsa_kernel _ZN6thrust23THRUST_200600_302600_NS11hip_rocprim14__parallel_for6kernelILj256ENS1_10for_each_fINS0_7pointerINS0_5tupleIffNS0_9null_typeES7_S7_S7_S7_S7_S7_S7_EENS1_3tagENS0_11use_defaultESA_EENS0_6detail16wrapped_functionINSC_23allocator_traits_detail5gozerEvEEEElLj1EEEvT0_T1_SJ_
		.amdhsa_group_segment_fixed_size 0
		.amdhsa_private_segment_fixed_size 0
		.amdhsa_kernarg_size 32
		.amdhsa_user_sgpr_count 2
		.amdhsa_user_sgpr_dispatch_ptr 0
		.amdhsa_user_sgpr_queue_ptr 0
		.amdhsa_user_sgpr_kernarg_segment_ptr 1
		.amdhsa_user_sgpr_dispatch_id 0
		.amdhsa_user_sgpr_private_segment_size 0
		.amdhsa_wavefront_size32 1
		.amdhsa_uses_dynamic_stack 0
		.amdhsa_enable_private_segment 0
		.amdhsa_system_sgpr_workgroup_id_x 1
		.amdhsa_system_sgpr_workgroup_id_y 0
		.amdhsa_system_sgpr_workgroup_id_z 0
		.amdhsa_system_sgpr_workgroup_info 0
		.amdhsa_system_vgpr_workitem_id 0
		.amdhsa_next_free_vgpr 1
		.amdhsa_next_free_sgpr 1
		.amdhsa_reserve_vcc 0
		.amdhsa_float_round_mode_32 0
		.amdhsa_float_round_mode_16_64 0
		.amdhsa_float_denorm_mode_32 3
		.amdhsa_float_denorm_mode_16_64 3
		.amdhsa_fp16_overflow 0
		.amdhsa_workgroup_processor_mode 1
		.amdhsa_memory_ordered 1
		.amdhsa_forward_progress 1
		.amdhsa_inst_pref_size 1
		.amdhsa_round_robin_scheduling 0
		.amdhsa_exception_fp_ieee_invalid_op 0
		.amdhsa_exception_fp_denorm_src 0
		.amdhsa_exception_fp_ieee_div_zero 0
		.amdhsa_exception_fp_ieee_overflow 0
		.amdhsa_exception_fp_ieee_underflow 0
		.amdhsa_exception_fp_ieee_inexact 0
		.amdhsa_exception_int_div_zero 0
	.end_amdhsa_kernel
	.section	.text._ZN6thrust23THRUST_200600_302600_NS11hip_rocprim14__parallel_for6kernelILj256ENS1_10for_each_fINS0_7pointerINS0_5tupleIffNS0_9null_typeES7_S7_S7_S7_S7_S7_S7_EENS1_3tagENS0_11use_defaultESA_EENS0_6detail16wrapped_functionINSC_23allocator_traits_detail5gozerEvEEEElLj1EEEvT0_T1_SJ_,"axG",@progbits,_ZN6thrust23THRUST_200600_302600_NS11hip_rocprim14__parallel_for6kernelILj256ENS1_10for_each_fINS0_7pointerINS0_5tupleIffNS0_9null_typeES7_S7_S7_S7_S7_S7_S7_EENS1_3tagENS0_11use_defaultESA_EENS0_6detail16wrapped_functionINSC_23allocator_traits_detail5gozerEvEEEElLj1EEEvT0_T1_SJ_,comdat
.Lfunc_end1:
	.size	_ZN6thrust23THRUST_200600_302600_NS11hip_rocprim14__parallel_for6kernelILj256ENS1_10for_each_fINS0_7pointerINS0_5tupleIffNS0_9null_typeES7_S7_S7_S7_S7_S7_S7_EENS1_3tagENS0_11use_defaultESA_EENS0_6detail16wrapped_functionINSC_23allocator_traits_detail5gozerEvEEEElLj1EEEvT0_T1_SJ_, .Lfunc_end1-_ZN6thrust23THRUST_200600_302600_NS11hip_rocprim14__parallel_for6kernelILj256ENS1_10for_each_fINS0_7pointerINS0_5tupleIffNS0_9null_typeES7_S7_S7_S7_S7_S7_S7_EENS1_3tagENS0_11use_defaultESA_EENS0_6detail16wrapped_functionINSC_23allocator_traits_detail5gozerEvEEEElLj1EEEvT0_T1_SJ_
                                        ; -- End function
	.set _ZN6thrust23THRUST_200600_302600_NS11hip_rocprim14__parallel_for6kernelILj256ENS1_10for_each_fINS0_7pointerINS0_5tupleIffNS0_9null_typeES7_S7_S7_S7_S7_S7_S7_EENS1_3tagENS0_11use_defaultESA_EENS0_6detail16wrapped_functionINSC_23allocator_traits_detail5gozerEvEEEElLj1EEEvT0_T1_SJ_.num_vgpr, 0
	.set _ZN6thrust23THRUST_200600_302600_NS11hip_rocprim14__parallel_for6kernelILj256ENS1_10for_each_fINS0_7pointerINS0_5tupleIffNS0_9null_typeES7_S7_S7_S7_S7_S7_S7_EENS1_3tagENS0_11use_defaultESA_EENS0_6detail16wrapped_functionINSC_23allocator_traits_detail5gozerEvEEEElLj1EEEvT0_T1_SJ_.num_agpr, 0
	.set _ZN6thrust23THRUST_200600_302600_NS11hip_rocprim14__parallel_for6kernelILj256ENS1_10for_each_fINS0_7pointerINS0_5tupleIffNS0_9null_typeES7_S7_S7_S7_S7_S7_S7_EENS1_3tagENS0_11use_defaultESA_EENS0_6detail16wrapped_functionINSC_23allocator_traits_detail5gozerEvEEEElLj1EEEvT0_T1_SJ_.numbered_sgpr, 0
	.set _ZN6thrust23THRUST_200600_302600_NS11hip_rocprim14__parallel_for6kernelILj256ENS1_10for_each_fINS0_7pointerINS0_5tupleIffNS0_9null_typeES7_S7_S7_S7_S7_S7_S7_EENS1_3tagENS0_11use_defaultESA_EENS0_6detail16wrapped_functionINSC_23allocator_traits_detail5gozerEvEEEElLj1EEEvT0_T1_SJ_.num_named_barrier, 0
	.set _ZN6thrust23THRUST_200600_302600_NS11hip_rocprim14__parallel_for6kernelILj256ENS1_10for_each_fINS0_7pointerINS0_5tupleIffNS0_9null_typeES7_S7_S7_S7_S7_S7_S7_EENS1_3tagENS0_11use_defaultESA_EENS0_6detail16wrapped_functionINSC_23allocator_traits_detail5gozerEvEEEElLj1EEEvT0_T1_SJ_.private_seg_size, 0
	.set _ZN6thrust23THRUST_200600_302600_NS11hip_rocprim14__parallel_for6kernelILj256ENS1_10for_each_fINS0_7pointerINS0_5tupleIffNS0_9null_typeES7_S7_S7_S7_S7_S7_S7_EENS1_3tagENS0_11use_defaultESA_EENS0_6detail16wrapped_functionINSC_23allocator_traits_detail5gozerEvEEEElLj1EEEvT0_T1_SJ_.uses_vcc, 0
	.set _ZN6thrust23THRUST_200600_302600_NS11hip_rocprim14__parallel_for6kernelILj256ENS1_10for_each_fINS0_7pointerINS0_5tupleIffNS0_9null_typeES7_S7_S7_S7_S7_S7_S7_EENS1_3tagENS0_11use_defaultESA_EENS0_6detail16wrapped_functionINSC_23allocator_traits_detail5gozerEvEEEElLj1EEEvT0_T1_SJ_.uses_flat_scratch, 0
	.set _ZN6thrust23THRUST_200600_302600_NS11hip_rocprim14__parallel_for6kernelILj256ENS1_10for_each_fINS0_7pointerINS0_5tupleIffNS0_9null_typeES7_S7_S7_S7_S7_S7_S7_EENS1_3tagENS0_11use_defaultESA_EENS0_6detail16wrapped_functionINSC_23allocator_traits_detail5gozerEvEEEElLj1EEEvT0_T1_SJ_.has_dyn_sized_stack, 0
	.set _ZN6thrust23THRUST_200600_302600_NS11hip_rocprim14__parallel_for6kernelILj256ENS1_10for_each_fINS0_7pointerINS0_5tupleIffNS0_9null_typeES7_S7_S7_S7_S7_S7_S7_EENS1_3tagENS0_11use_defaultESA_EENS0_6detail16wrapped_functionINSC_23allocator_traits_detail5gozerEvEEEElLj1EEEvT0_T1_SJ_.has_recursion, 0
	.set _ZN6thrust23THRUST_200600_302600_NS11hip_rocprim14__parallel_for6kernelILj256ENS1_10for_each_fINS0_7pointerINS0_5tupleIffNS0_9null_typeES7_S7_S7_S7_S7_S7_S7_EENS1_3tagENS0_11use_defaultESA_EENS0_6detail16wrapped_functionINSC_23allocator_traits_detail5gozerEvEEEElLj1EEEvT0_T1_SJ_.has_indirect_call, 0
	.section	.AMDGPU.csdata,"",@progbits
; Kernel info:
; codeLenInByte = 4
; TotalNumSgprs: 0
; NumVgprs: 0
; ScratchSize: 0
; MemoryBound: 0
; FloatMode: 240
; IeeeMode: 1
; LDSByteSize: 0 bytes/workgroup (compile time only)
; SGPRBlocks: 0
; VGPRBlocks: 0
; NumSGPRsForWavesPerEU: 1
; NumVGPRsForWavesPerEU: 1
; Occupancy: 16
; WaveLimiterHint : 0
; COMPUTE_PGM_RSRC2:SCRATCH_EN: 0
; COMPUTE_PGM_RSRC2:USER_SGPR: 2
; COMPUTE_PGM_RSRC2:TRAP_HANDLER: 0
; COMPUTE_PGM_RSRC2:TGID_X_EN: 1
; COMPUTE_PGM_RSRC2:TGID_Y_EN: 0
; COMPUTE_PGM_RSRC2:TGID_Z_EN: 0
; COMPUTE_PGM_RSRC2:TIDIG_COMP_CNT: 0
	.section	.text._ZN6thrust23THRUST_200600_302600_NS11hip_rocprim14__parallel_for6kernelILj256ENS1_11__transform17unary_transform_fINS0_7pointerINS0_5tupleIffNS0_9null_typeES8_S8_S8_S8_S8_S8_S8_EENS1_3tagENS0_11use_defaultESB_EENS0_10device_ptrIS9_EENS4_14no_stencil_tagENS0_8identityIS9_EENS4_21always_true_predicateEEElLj1EEEvT0_T1_SL_,"axG",@progbits,_ZN6thrust23THRUST_200600_302600_NS11hip_rocprim14__parallel_for6kernelILj256ENS1_11__transform17unary_transform_fINS0_7pointerINS0_5tupleIffNS0_9null_typeES8_S8_S8_S8_S8_S8_S8_EENS1_3tagENS0_11use_defaultESB_EENS0_10device_ptrIS9_EENS4_14no_stencil_tagENS0_8identityIS9_EENS4_21always_true_predicateEEElLj1EEEvT0_T1_SL_,comdat
	.protected	_ZN6thrust23THRUST_200600_302600_NS11hip_rocprim14__parallel_for6kernelILj256ENS1_11__transform17unary_transform_fINS0_7pointerINS0_5tupleIffNS0_9null_typeES8_S8_S8_S8_S8_S8_S8_EENS1_3tagENS0_11use_defaultESB_EENS0_10device_ptrIS9_EENS4_14no_stencil_tagENS0_8identityIS9_EENS4_21always_true_predicateEEElLj1EEEvT0_T1_SL_ ; -- Begin function _ZN6thrust23THRUST_200600_302600_NS11hip_rocprim14__parallel_for6kernelILj256ENS1_11__transform17unary_transform_fINS0_7pointerINS0_5tupleIffNS0_9null_typeES8_S8_S8_S8_S8_S8_S8_EENS1_3tagENS0_11use_defaultESB_EENS0_10device_ptrIS9_EENS4_14no_stencil_tagENS0_8identityIS9_EENS4_21always_true_predicateEEElLj1EEEvT0_T1_SL_
	.globl	_ZN6thrust23THRUST_200600_302600_NS11hip_rocprim14__parallel_for6kernelILj256ENS1_11__transform17unary_transform_fINS0_7pointerINS0_5tupleIffNS0_9null_typeES8_S8_S8_S8_S8_S8_S8_EENS1_3tagENS0_11use_defaultESB_EENS0_10device_ptrIS9_EENS4_14no_stencil_tagENS0_8identityIS9_EENS4_21always_true_predicateEEElLj1EEEvT0_T1_SL_
	.p2align	8
	.type	_ZN6thrust23THRUST_200600_302600_NS11hip_rocprim14__parallel_for6kernelILj256ENS1_11__transform17unary_transform_fINS0_7pointerINS0_5tupleIffNS0_9null_typeES8_S8_S8_S8_S8_S8_S8_EENS1_3tagENS0_11use_defaultESB_EENS0_10device_ptrIS9_EENS4_14no_stencil_tagENS0_8identityIS9_EENS4_21always_true_predicateEEElLj1EEEvT0_T1_SL_,@function
_ZN6thrust23THRUST_200600_302600_NS11hip_rocprim14__parallel_for6kernelILj256ENS1_11__transform17unary_transform_fINS0_7pointerINS0_5tupleIffNS0_9null_typeES8_S8_S8_S8_S8_S8_S8_EENS1_3tagENS0_11use_defaultESB_EENS0_10device_ptrIS9_EENS4_14no_stencil_tagENS0_8identityIS9_EENS4_21always_true_predicateEEElLj1EEEvT0_T1_SL_: ; @_ZN6thrust23THRUST_200600_302600_NS11hip_rocprim14__parallel_for6kernelILj256ENS1_11__transform17unary_transform_fINS0_7pointerINS0_5tupleIffNS0_9null_typeES8_S8_S8_S8_S8_S8_S8_EENS1_3tagENS0_11use_defaultESB_EENS0_10device_ptrIS9_EENS4_14no_stencil_tagENS0_8identityIS9_EENS4_21always_true_predicateEEElLj1EEEvT0_T1_SL_
; %bb.0:
	s_clause 0x1
	s_load_b128 s[8:11], s[0:1], 0x18
	s_load_b128 s[0:3], s[0:1], 0x0
	s_lshl_b32 s4, ttmp9, 8
	s_mov_b32 s5, 0
	s_wait_kmcnt 0x0
	s_add_nc_u64 s[4:5], s[10:11], s[4:5]
	s_delay_alu instid0(SALU_CYCLE_1) | instskip(NEXT) | instid1(SALU_CYCLE_1)
	s_sub_nc_u64 s[6:7], s[8:9], s[4:5]
	v_cmp_gt_i64_e64 s7, 0x100, s[6:7]
	s_and_b32 s7, s7, exec_lo
	s_cselect_b32 s7, s6, 0x100
	s_mov_b32 s6, -1
	s_wait_alu 0xfffe
	s_cmp_eq_u32 s7, 0x100
	s_cbranch_scc0 .LBB2_3
; %bb.1:
	s_and_not1_b32 vcc_lo, exec_lo, s6
	s_cbranch_vccz .LBB2_6
.LBB2_2:
	s_endpgm
.LBB2_3:
	s_mov_b32 s6, exec_lo
	v_cmpx_gt_u32_e64 s7, v0
	s_cbranch_execz .LBB2_5
; %bb.4:
	v_add_co_u32 v1, s7, s4, v0
	s_wait_alu 0xf1ff
	v_add_co_ci_u32_e64 v2, null, s5, 0, s7
	s_delay_alu instid0(VALU_DEP_1) | instskip(NEXT) | instid1(VALU_DEP_1)
	v_lshlrev_b64_e32 v[1:2], 3, v[1:2]
	v_add_co_u32 v3, vcc_lo, s0, v1
	s_delay_alu instid0(VALU_DEP_1)
	v_add_co_ci_u32_e64 v4, null, s1, v2, vcc_lo
	v_add_co_u32 v1, vcc_lo, s2, v1
	s_wait_alu 0xfffd
	v_add_co_ci_u32_e64 v2, null, s3, v2, vcc_lo
	flat_load_b64 v[3:4], v[3:4]
	s_wait_loadcnt_dscnt 0x0
	flat_store_b64 v[1:2], v[3:4]
.LBB2_5:
	s_wait_alu 0xfffe
	s_or_b32 exec_lo, exec_lo, s6
	s_cbranch_execnz .LBB2_2
.LBB2_6:
	v_add_co_u32 v0, s4, s4, v0
	s_wait_alu 0xf1ff
	v_add_co_ci_u32_e64 v1, null, s5, 0, s4
	s_delay_alu instid0(VALU_DEP_1) | instskip(NEXT) | instid1(VALU_DEP_1)
	v_lshlrev_b64_e32 v[0:1], 3, v[0:1]
	v_add_co_u32 v2, vcc_lo, s0, v0
	s_wait_alu 0xfffd
	s_delay_alu instid0(VALU_DEP_2)
	v_add_co_ci_u32_e64 v3, null, s1, v1, vcc_lo
	v_add_co_u32 v0, vcc_lo, s2, v0
	s_wait_alu 0xfffd
	v_add_co_ci_u32_e64 v1, null, s3, v1, vcc_lo
	flat_load_b64 v[2:3], v[2:3]
	s_wait_loadcnt_dscnt 0x0
	flat_store_b64 v[0:1], v[2:3]
	s_endpgm
	.section	.rodata,"a",@progbits
	.p2align	6, 0x0
	.amdhsa_kernel _ZN6thrust23THRUST_200600_302600_NS11hip_rocprim14__parallel_for6kernelILj256ENS1_11__transform17unary_transform_fINS0_7pointerINS0_5tupleIffNS0_9null_typeES8_S8_S8_S8_S8_S8_S8_EENS1_3tagENS0_11use_defaultESB_EENS0_10device_ptrIS9_EENS4_14no_stencil_tagENS0_8identityIS9_EENS4_21always_true_predicateEEElLj1EEEvT0_T1_SL_
		.amdhsa_group_segment_fixed_size 0
		.amdhsa_private_segment_fixed_size 0
		.amdhsa_kernarg_size 40
		.amdhsa_user_sgpr_count 2
		.amdhsa_user_sgpr_dispatch_ptr 0
		.amdhsa_user_sgpr_queue_ptr 0
		.amdhsa_user_sgpr_kernarg_segment_ptr 1
		.amdhsa_user_sgpr_dispatch_id 0
		.amdhsa_user_sgpr_private_segment_size 0
		.amdhsa_wavefront_size32 1
		.amdhsa_uses_dynamic_stack 0
		.amdhsa_enable_private_segment 0
		.amdhsa_system_sgpr_workgroup_id_x 1
		.amdhsa_system_sgpr_workgroup_id_y 0
		.amdhsa_system_sgpr_workgroup_id_z 0
		.amdhsa_system_sgpr_workgroup_info 0
		.amdhsa_system_vgpr_workitem_id 0
		.amdhsa_next_free_vgpr 5
		.amdhsa_next_free_sgpr 12
		.amdhsa_reserve_vcc 1
		.amdhsa_float_round_mode_32 0
		.amdhsa_float_round_mode_16_64 0
		.amdhsa_float_denorm_mode_32 3
		.amdhsa_float_denorm_mode_16_64 3
		.amdhsa_fp16_overflow 0
		.amdhsa_workgroup_processor_mode 1
		.amdhsa_memory_ordered 1
		.amdhsa_forward_progress 1
		.amdhsa_inst_pref_size 3
		.amdhsa_round_robin_scheduling 0
		.amdhsa_exception_fp_ieee_invalid_op 0
		.amdhsa_exception_fp_denorm_src 0
		.amdhsa_exception_fp_ieee_div_zero 0
		.amdhsa_exception_fp_ieee_overflow 0
		.amdhsa_exception_fp_ieee_underflow 0
		.amdhsa_exception_fp_ieee_inexact 0
		.amdhsa_exception_int_div_zero 0
	.end_amdhsa_kernel
	.section	.text._ZN6thrust23THRUST_200600_302600_NS11hip_rocprim14__parallel_for6kernelILj256ENS1_11__transform17unary_transform_fINS0_7pointerINS0_5tupleIffNS0_9null_typeES8_S8_S8_S8_S8_S8_S8_EENS1_3tagENS0_11use_defaultESB_EENS0_10device_ptrIS9_EENS4_14no_stencil_tagENS0_8identityIS9_EENS4_21always_true_predicateEEElLj1EEEvT0_T1_SL_,"axG",@progbits,_ZN6thrust23THRUST_200600_302600_NS11hip_rocprim14__parallel_for6kernelILj256ENS1_11__transform17unary_transform_fINS0_7pointerINS0_5tupleIffNS0_9null_typeES8_S8_S8_S8_S8_S8_S8_EENS1_3tagENS0_11use_defaultESB_EENS0_10device_ptrIS9_EENS4_14no_stencil_tagENS0_8identityIS9_EENS4_21always_true_predicateEEElLj1EEEvT0_T1_SL_,comdat
.Lfunc_end2:
	.size	_ZN6thrust23THRUST_200600_302600_NS11hip_rocprim14__parallel_for6kernelILj256ENS1_11__transform17unary_transform_fINS0_7pointerINS0_5tupleIffNS0_9null_typeES8_S8_S8_S8_S8_S8_S8_EENS1_3tagENS0_11use_defaultESB_EENS0_10device_ptrIS9_EENS4_14no_stencil_tagENS0_8identityIS9_EENS4_21always_true_predicateEEElLj1EEEvT0_T1_SL_, .Lfunc_end2-_ZN6thrust23THRUST_200600_302600_NS11hip_rocprim14__parallel_for6kernelILj256ENS1_11__transform17unary_transform_fINS0_7pointerINS0_5tupleIffNS0_9null_typeES8_S8_S8_S8_S8_S8_S8_EENS1_3tagENS0_11use_defaultESB_EENS0_10device_ptrIS9_EENS4_14no_stencil_tagENS0_8identityIS9_EENS4_21always_true_predicateEEElLj1EEEvT0_T1_SL_
                                        ; -- End function
	.set _ZN6thrust23THRUST_200600_302600_NS11hip_rocprim14__parallel_for6kernelILj256ENS1_11__transform17unary_transform_fINS0_7pointerINS0_5tupleIffNS0_9null_typeES8_S8_S8_S8_S8_S8_S8_EENS1_3tagENS0_11use_defaultESB_EENS0_10device_ptrIS9_EENS4_14no_stencil_tagENS0_8identityIS9_EENS4_21always_true_predicateEEElLj1EEEvT0_T1_SL_.num_vgpr, 5
	.set _ZN6thrust23THRUST_200600_302600_NS11hip_rocprim14__parallel_for6kernelILj256ENS1_11__transform17unary_transform_fINS0_7pointerINS0_5tupleIffNS0_9null_typeES8_S8_S8_S8_S8_S8_S8_EENS1_3tagENS0_11use_defaultESB_EENS0_10device_ptrIS9_EENS4_14no_stencil_tagENS0_8identityIS9_EENS4_21always_true_predicateEEElLj1EEEvT0_T1_SL_.num_agpr, 0
	.set _ZN6thrust23THRUST_200600_302600_NS11hip_rocprim14__parallel_for6kernelILj256ENS1_11__transform17unary_transform_fINS0_7pointerINS0_5tupleIffNS0_9null_typeES8_S8_S8_S8_S8_S8_S8_EENS1_3tagENS0_11use_defaultESB_EENS0_10device_ptrIS9_EENS4_14no_stencil_tagENS0_8identityIS9_EENS4_21always_true_predicateEEElLj1EEEvT0_T1_SL_.numbered_sgpr, 12
	.set _ZN6thrust23THRUST_200600_302600_NS11hip_rocprim14__parallel_for6kernelILj256ENS1_11__transform17unary_transform_fINS0_7pointerINS0_5tupleIffNS0_9null_typeES8_S8_S8_S8_S8_S8_S8_EENS1_3tagENS0_11use_defaultESB_EENS0_10device_ptrIS9_EENS4_14no_stencil_tagENS0_8identityIS9_EENS4_21always_true_predicateEEElLj1EEEvT0_T1_SL_.num_named_barrier, 0
	.set _ZN6thrust23THRUST_200600_302600_NS11hip_rocprim14__parallel_for6kernelILj256ENS1_11__transform17unary_transform_fINS0_7pointerINS0_5tupleIffNS0_9null_typeES8_S8_S8_S8_S8_S8_S8_EENS1_3tagENS0_11use_defaultESB_EENS0_10device_ptrIS9_EENS4_14no_stencil_tagENS0_8identityIS9_EENS4_21always_true_predicateEEElLj1EEEvT0_T1_SL_.private_seg_size, 0
	.set _ZN6thrust23THRUST_200600_302600_NS11hip_rocprim14__parallel_for6kernelILj256ENS1_11__transform17unary_transform_fINS0_7pointerINS0_5tupleIffNS0_9null_typeES8_S8_S8_S8_S8_S8_S8_EENS1_3tagENS0_11use_defaultESB_EENS0_10device_ptrIS9_EENS4_14no_stencil_tagENS0_8identityIS9_EENS4_21always_true_predicateEEElLj1EEEvT0_T1_SL_.uses_vcc, 1
	.set _ZN6thrust23THRUST_200600_302600_NS11hip_rocprim14__parallel_for6kernelILj256ENS1_11__transform17unary_transform_fINS0_7pointerINS0_5tupleIffNS0_9null_typeES8_S8_S8_S8_S8_S8_S8_EENS1_3tagENS0_11use_defaultESB_EENS0_10device_ptrIS9_EENS4_14no_stencil_tagENS0_8identityIS9_EENS4_21always_true_predicateEEElLj1EEEvT0_T1_SL_.uses_flat_scratch, 0
	.set _ZN6thrust23THRUST_200600_302600_NS11hip_rocprim14__parallel_for6kernelILj256ENS1_11__transform17unary_transform_fINS0_7pointerINS0_5tupleIffNS0_9null_typeES8_S8_S8_S8_S8_S8_S8_EENS1_3tagENS0_11use_defaultESB_EENS0_10device_ptrIS9_EENS4_14no_stencil_tagENS0_8identityIS9_EENS4_21always_true_predicateEEElLj1EEEvT0_T1_SL_.has_dyn_sized_stack, 0
	.set _ZN6thrust23THRUST_200600_302600_NS11hip_rocprim14__parallel_for6kernelILj256ENS1_11__transform17unary_transform_fINS0_7pointerINS0_5tupleIffNS0_9null_typeES8_S8_S8_S8_S8_S8_S8_EENS1_3tagENS0_11use_defaultESB_EENS0_10device_ptrIS9_EENS4_14no_stencil_tagENS0_8identityIS9_EENS4_21always_true_predicateEEElLj1EEEvT0_T1_SL_.has_recursion, 0
	.set _ZN6thrust23THRUST_200600_302600_NS11hip_rocprim14__parallel_for6kernelILj256ENS1_11__transform17unary_transform_fINS0_7pointerINS0_5tupleIffNS0_9null_typeES8_S8_S8_S8_S8_S8_S8_EENS1_3tagENS0_11use_defaultESB_EENS0_10device_ptrIS9_EENS4_14no_stencil_tagENS0_8identityIS9_EENS4_21always_true_predicateEEElLj1EEEvT0_T1_SL_.has_indirect_call, 0
	.section	.AMDGPU.csdata,"",@progbits
; Kernel info:
; codeLenInByte = 328
; TotalNumSgprs: 14
; NumVgprs: 5
; ScratchSize: 0
; MemoryBound: 0
; FloatMode: 240
; IeeeMode: 1
; LDSByteSize: 0 bytes/workgroup (compile time only)
; SGPRBlocks: 0
; VGPRBlocks: 0
; NumSGPRsForWavesPerEU: 14
; NumVGPRsForWavesPerEU: 5
; Occupancy: 16
; WaveLimiterHint : 0
; COMPUTE_PGM_RSRC2:SCRATCH_EN: 0
; COMPUTE_PGM_RSRC2:USER_SGPR: 2
; COMPUTE_PGM_RSRC2:TRAP_HANDLER: 0
; COMPUTE_PGM_RSRC2:TGID_X_EN: 1
; COMPUTE_PGM_RSRC2:TGID_Y_EN: 0
; COMPUTE_PGM_RSRC2:TGID_Z_EN: 0
; COMPUTE_PGM_RSRC2:TIDIG_COMP_CNT: 0
	.section	.text._ZN6thrust23THRUST_200600_302600_NS11hip_rocprim14__parallel_for6kernelILj256ENS1_20__uninitialized_copy7functorINS0_7pointerINS0_5tupleIffNS0_9null_typeES8_S8_S8_S8_S8_S8_S8_EENS1_3tagENS0_11use_defaultESB_EESC_EEmLj1EEEvT0_T1_SF_,"axG",@progbits,_ZN6thrust23THRUST_200600_302600_NS11hip_rocprim14__parallel_for6kernelILj256ENS1_20__uninitialized_copy7functorINS0_7pointerINS0_5tupleIffNS0_9null_typeES8_S8_S8_S8_S8_S8_S8_EENS1_3tagENS0_11use_defaultESB_EESC_EEmLj1EEEvT0_T1_SF_,comdat
	.protected	_ZN6thrust23THRUST_200600_302600_NS11hip_rocprim14__parallel_for6kernelILj256ENS1_20__uninitialized_copy7functorINS0_7pointerINS0_5tupleIffNS0_9null_typeES8_S8_S8_S8_S8_S8_S8_EENS1_3tagENS0_11use_defaultESB_EESC_EEmLj1EEEvT0_T1_SF_ ; -- Begin function _ZN6thrust23THRUST_200600_302600_NS11hip_rocprim14__parallel_for6kernelILj256ENS1_20__uninitialized_copy7functorINS0_7pointerINS0_5tupleIffNS0_9null_typeES8_S8_S8_S8_S8_S8_S8_EENS1_3tagENS0_11use_defaultESB_EESC_EEmLj1EEEvT0_T1_SF_
	.globl	_ZN6thrust23THRUST_200600_302600_NS11hip_rocprim14__parallel_for6kernelILj256ENS1_20__uninitialized_copy7functorINS0_7pointerINS0_5tupleIffNS0_9null_typeES8_S8_S8_S8_S8_S8_S8_EENS1_3tagENS0_11use_defaultESB_EESC_EEmLj1EEEvT0_T1_SF_
	.p2align	8
	.type	_ZN6thrust23THRUST_200600_302600_NS11hip_rocprim14__parallel_for6kernelILj256ENS1_20__uninitialized_copy7functorINS0_7pointerINS0_5tupleIffNS0_9null_typeES8_S8_S8_S8_S8_S8_S8_EENS1_3tagENS0_11use_defaultESB_EESC_EEmLj1EEEvT0_T1_SF_,@function
_ZN6thrust23THRUST_200600_302600_NS11hip_rocprim14__parallel_for6kernelILj256ENS1_20__uninitialized_copy7functorINS0_7pointerINS0_5tupleIffNS0_9null_typeES8_S8_S8_S8_S8_S8_S8_EENS1_3tagENS0_11use_defaultESB_EESC_EEmLj1EEEvT0_T1_SF_: ; @_ZN6thrust23THRUST_200600_302600_NS11hip_rocprim14__parallel_for6kernelILj256ENS1_20__uninitialized_copy7functorINS0_7pointerINS0_5tupleIffNS0_9null_typeES8_S8_S8_S8_S8_S8_S8_EENS1_3tagENS0_11use_defaultESB_EESC_EEmLj1EEEvT0_T1_SF_
; %bb.0:
	s_load_b256 s[0:7], s[0:1], 0x0
	s_lshl_b32 s8, ttmp9, 8
	s_mov_b32 s9, 0
	s_wait_kmcnt 0x0
	s_add_nc_u64 s[6:7], s[6:7], s[8:9]
	s_delay_alu instid0(SALU_CYCLE_1) | instskip(NEXT) | instid1(SALU_CYCLE_1)
	s_sub_nc_u64 s[4:5], s[4:5], s[6:7]
	v_cmp_lt_u64_e64 s5, 0xff, s[4:5]
	s_and_b32 vcc_lo, exec_lo, s5
	s_mov_b32 s5, -1
	s_cbranch_vccz .LBB3_3
; %bb.1:
	s_wait_alu 0xfffe
	s_and_not1_b32 vcc_lo, exec_lo, s5
	s_cbranch_vccz .LBB3_6
.LBB3_2:
	s_endpgm
.LBB3_3:
	v_cmp_gt_u32_e32 vcc_lo, s4, v0
	s_and_saveexec_b32 s4, vcc_lo
	s_cbranch_execz .LBB3_5
; %bb.4:
	v_add_co_u32 v1, s5, s6, v0
	s_wait_alu 0xf1fe
	v_add_co_ci_u32_e64 v2, null, s7, 0, s5
	s_delay_alu instid0(VALU_DEP_1) | instskip(NEXT) | instid1(VALU_DEP_1)
	v_lshlrev_b64_e32 v[1:2], 3, v[1:2]
	v_add_co_u32 v3, vcc_lo, s0, v1
	s_delay_alu instid0(VALU_DEP_1)
	v_add_co_ci_u32_e64 v4, null, s1, v2, vcc_lo
	v_add_co_u32 v1, vcc_lo, s2, v1
	s_wait_alu 0xfffd
	v_add_co_ci_u32_e64 v2, null, s3, v2, vcc_lo
	flat_load_b64 v[3:4], v[3:4]
	s_wait_loadcnt_dscnt 0x0
	flat_store_b64 v[1:2], v[3:4]
.LBB3_5:
	s_wait_alu 0xfffe
	s_or_b32 exec_lo, exec_lo, s4
	s_cbranch_execnz .LBB3_2
.LBB3_6:
	v_add_co_u32 v0, s4, s6, v0
	s_wait_alu 0xf1ff
	v_add_co_ci_u32_e64 v1, null, s7, 0, s4
	s_delay_alu instid0(VALU_DEP_1) | instskip(NEXT) | instid1(VALU_DEP_1)
	v_lshlrev_b64_e32 v[0:1], 3, v[0:1]
	v_add_co_u32 v2, vcc_lo, s0, v0
	s_wait_alu 0xfffd
	s_delay_alu instid0(VALU_DEP_2)
	v_add_co_ci_u32_e64 v3, null, s1, v1, vcc_lo
	v_add_co_u32 v0, vcc_lo, s2, v0
	s_wait_alu 0xfffd
	v_add_co_ci_u32_e64 v1, null, s3, v1, vcc_lo
	flat_load_b64 v[2:3], v[2:3]
	s_wait_loadcnt_dscnt 0x0
	flat_store_b64 v[0:1], v[2:3]
	s_endpgm
	.section	.rodata,"a",@progbits
	.p2align	6, 0x0
	.amdhsa_kernel _ZN6thrust23THRUST_200600_302600_NS11hip_rocprim14__parallel_for6kernelILj256ENS1_20__uninitialized_copy7functorINS0_7pointerINS0_5tupleIffNS0_9null_typeES8_S8_S8_S8_S8_S8_S8_EENS1_3tagENS0_11use_defaultESB_EESC_EEmLj1EEEvT0_T1_SF_
		.amdhsa_group_segment_fixed_size 0
		.amdhsa_private_segment_fixed_size 0
		.amdhsa_kernarg_size 32
		.amdhsa_user_sgpr_count 2
		.amdhsa_user_sgpr_dispatch_ptr 0
		.amdhsa_user_sgpr_queue_ptr 0
		.amdhsa_user_sgpr_kernarg_segment_ptr 1
		.amdhsa_user_sgpr_dispatch_id 0
		.amdhsa_user_sgpr_private_segment_size 0
		.amdhsa_wavefront_size32 1
		.amdhsa_uses_dynamic_stack 0
		.amdhsa_enable_private_segment 0
		.amdhsa_system_sgpr_workgroup_id_x 1
		.amdhsa_system_sgpr_workgroup_id_y 0
		.amdhsa_system_sgpr_workgroup_id_z 0
		.amdhsa_system_sgpr_workgroup_info 0
		.amdhsa_system_vgpr_workitem_id 0
		.amdhsa_next_free_vgpr 5
		.amdhsa_next_free_sgpr 10
		.amdhsa_reserve_vcc 1
		.amdhsa_float_round_mode_32 0
		.amdhsa_float_round_mode_16_64 0
		.amdhsa_float_denorm_mode_32 3
		.amdhsa_float_denorm_mode_16_64 3
		.amdhsa_fp16_overflow 0
		.amdhsa_workgroup_processor_mode 1
		.amdhsa_memory_ordered 1
		.amdhsa_forward_progress 1
		.amdhsa_inst_pref_size 3
		.amdhsa_round_robin_scheduling 0
		.amdhsa_exception_fp_ieee_invalid_op 0
		.amdhsa_exception_fp_denorm_src 0
		.amdhsa_exception_fp_ieee_div_zero 0
		.amdhsa_exception_fp_ieee_overflow 0
		.amdhsa_exception_fp_ieee_underflow 0
		.amdhsa_exception_fp_ieee_inexact 0
		.amdhsa_exception_int_div_zero 0
	.end_amdhsa_kernel
	.section	.text._ZN6thrust23THRUST_200600_302600_NS11hip_rocprim14__parallel_for6kernelILj256ENS1_20__uninitialized_copy7functorINS0_7pointerINS0_5tupleIffNS0_9null_typeES8_S8_S8_S8_S8_S8_S8_EENS1_3tagENS0_11use_defaultESB_EESC_EEmLj1EEEvT0_T1_SF_,"axG",@progbits,_ZN6thrust23THRUST_200600_302600_NS11hip_rocprim14__parallel_for6kernelILj256ENS1_20__uninitialized_copy7functorINS0_7pointerINS0_5tupleIffNS0_9null_typeES8_S8_S8_S8_S8_S8_S8_EENS1_3tagENS0_11use_defaultESB_EESC_EEmLj1EEEvT0_T1_SF_,comdat
.Lfunc_end3:
	.size	_ZN6thrust23THRUST_200600_302600_NS11hip_rocprim14__parallel_for6kernelILj256ENS1_20__uninitialized_copy7functorINS0_7pointerINS0_5tupleIffNS0_9null_typeES8_S8_S8_S8_S8_S8_S8_EENS1_3tagENS0_11use_defaultESB_EESC_EEmLj1EEEvT0_T1_SF_, .Lfunc_end3-_ZN6thrust23THRUST_200600_302600_NS11hip_rocprim14__parallel_for6kernelILj256ENS1_20__uninitialized_copy7functorINS0_7pointerINS0_5tupleIffNS0_9null_typeES8_S8_S8_S8_S8_S8_S8_EENS1_3tagENS0_11use_defaultESB_EESC_EEmLj1EEEvT0_T1_SF_
                                        ; -- End function
	.set _ZN6thrust23THRUST_200600_302600_NS11hip_rocprim14__parallel_for6kernelILj256ENS1_20__uninitialized_copy7functorINS0_7pointerINS0_5tupleIffNS0_9null_typeES8_S8_S8_S8_S8_S8_S8_EENS1_3tagENS0_11use_defaultESB_EESC_EEmLj1EEEvT0_T1_SF_.num_vgpr, 5
	.set _ZN6thrust23THRUST_200600_302600_NS11hip_rocprim14__parallel_for6kernelILj256ENS1_20__uninitialized_copy7functorINS0_7pointerINS0_5tupleIffNS0_9null_typeES8_S8_S8_S8_S8_S8_S8_EENS1_3tagENS0_11use_defaultESB_EESC_EEmLj1EEEvT0_T1_SF_.num_agpr, 0
	.set _ZN6thrust23THRUST_200600_302600_NS11hip_rocprim14__parallel_for6kernelILj256ENS1_20__uninitialized_copy7functorINS0_7pointerINS0_5tupleIffNS0_9null_typeES8_S8_S8_S8_S8_S8_S8_EENS1_3tagENS0_11use_defaultESB_EESC_EEmLj1EEEvT0_T1_SF_.numbered_sgpr, 10
	.set _ZN6thrust23THRUST_200600_302600_NS11hip_rocprim14__parallel_for6kernelILj256ENS1_20__uninitialized_copy7functorINS0_7pointerINS0_5tupleIffNS0_9null_typeES8_S8_S8_S8_S8_S8_S8_EENS1_3tagENS0_11use_defaultESB_EESC_EEmLj1EEEvT0_T1_SF_.num_named_barrier, 0
	.set _ZN6thrust23THRUST_200600_302600_NS11hip_rocprim14__parallel_for6kernelILj256ENS1_20__uninitialized_copy7functorINS0_7pointerINS0_5tupleIffNS0_9null_typeES8_S8_S8_S8_S8_S8_S8_EENS1_3tagENS0_11use_defaultESB_EESC_EEmLj1EEEvT0_T1_SF_.private_seg_size, 0
	.set _ZN6thrust23THRUST_200600_302600_NS11hip_rocprim14__parallel_for6kernelILj256ENS1_20__uninitialized_copy7functorINS0_7pointerINS0_5tupleIffNS0_9null_typeES8_S8_S8_S8_S8_S8_S8_EENS1_3tagENS0_11use_defaultESB_EESC_EEmLj1EEEvT0_T1_SF_.uses_vcc, 1
	.set _ZN6thrust23THRUST_200600_302600_NS11hip_rocprim14__parallel_for6kernelILj256ENS1_20__uninitialized_copy7functorINS0_7pointerINS0_5tupleIffNS0_9null_typeES8_S8_S8_S8_S8_S8_S8_EENS1_3tagENS0_11use_defaultESB_EESC_EEmLj1EEEvT0_T1_SF_.uses_flat_scratch, 0
	.set _ZN6thrust23THRUST_200600_302600_NS11hip_rocprim14__parallel_for6kernelILj256ENS1_20__uninitialized_copy7functorINS0_7pointerINS0_5tupleIffNS0_9null_typeES8_S8_S8_S8_S8_S8_S8_EENS1_3tagENS0_11use_defaultESB_EESC_EEmLj1EEEvT0_T1_SF_.has_dyn_sized_stack, 0
	.set _ZN6thrust23THRUST_200600_302600_NS11hip_rocprim14__parallel_for6kernelILj256ENS1_20__uninitialized_copy7functorINS0_7pointerINS0_5tupleIffNS0_9null_typeES8_S8_S8_S8_S8_S8_S8_EENS1_3tagENS0_11use_defaultESB_EESC_EEmLj1EEEvT0_T1_SF_.has_recursion, 0
	.set _ZN6thrust23THRUST_200600_302600_NS11hip_rocprim14__parallel_for6kernelILj256ENS1_20__uninitialized_copy7functorINS0_7pointerINS0_5tupleIffNS0_9null_typeES8_S8_S8_S8_S8_S8_S8_EENS1_3tagENS0_11use_defaultESB_EESC_EEmLj1EEEvT0_T1_SF_.has_indirect_call, 0
	.section	.AMDGPU.csdata,"",@progbits
; Kernel info:
; codeLenInByte = 296
; TotalNumSgprs: 12
; NumVgprs: 5
; ScratchSize: 0
; MemoryBound: 0
; FloatMode: 240
; IeeeMode: 1
; LDSByteSize: 0 bytes/workgroup (compile time only)
; SGPRBlocks: 0
; VGPRBlocks: 0
; NumSGPRsForWavesPerEU: 12
; NumVGPRsForWavesPerEU: 5
; Occupancy: 16
; WaveLimiterHint : 0
; COMPUTE_PGM_RSRC2:SCRATCH_EN: 0
; COMPUTE_PGM_RSRC2:USER_SGPR: 2
; COMPUTE_PGM_RSRC2:TRAP_HANDLER: 0
; COMPUTE_PGM_RSRC2:TGID_X_EN: 1
; COMPUTE_PGM_RSRC2:TGID_Y_EN: 0
; COMPUTE_PGM_RSRC2:TGID_Z_EN: 0
; COMPUTE_PGM_RSRC2:TIDIG_COMP_CNT: 0
	.section	.text._ZN6thrust23THRUST_200600_302600_NS11hip_rocprim14__parallel_for6kernelILj256ENS1_10for_each_fINS0_10device_ptrINS0_5tupleIffNS0_9null_typeES7_S7_S7_S7_S7_S7_S7_EEEENS0_6detail16wrapped_functionINSA_23allocator_traits_detail5gozerEvEEEElLj1EEEvT0_T1_SH_,"axG",@progbits,_ZN6thrust23THRUST_200600_302600_NS11hip_rocprim14__parallel_for6kernelILj256ENS1_10for_each_fINS0_10device_ptrINS0_5tupleIffNS0_9null_typeES7_S7_S7_S7_S7_S7_S7_EEEENS0_6detail16wrapped_functionINSA_23allocator_traits_detail5gozerEvEEEElLj1EEEvT0_T1_SH_,comdat
	.protected	_ZN6thrust23THRUST_200600_302600_NS11hip_rocprim14__parallel_for6kernelILj256ENS1_10for_each_fINS0_10device_ptrINS0_5tupleIffNS0_9null_typeES7_S7_S7_S7_S7_S7_S7_EEEENS0_6detail16wrapped_functionINSA_23allocator_traits_detail5gozerEvEEEElLj1EEEvT0_T1_SH_ ; -- Begin function _ZN6thrust23THRUST_200600_302600_NS11hip_rocprim14__parallel_for6kernelILj256ENS1_10for_each_fINS0_10device_ptrINS0_5tupleIffNS0_9null_typeES7_S7_S7_S7_S7_S7_S7_EEEENS0_6detail16wrapped_functionINSA_23allocator_traits_detail5gozerEvEEEElLj1EEEvT0_T1_SH_
	.globl	_ZN6thrust23THRUST_200600_302600_NS11hip_rocprim14__parallel_for6kernelILj256ENS1_10for_each_fINS0_10device_ptrINS0_5tupleIffNS0_9null_typeES7_S7_S7_S7_S7_S7_S7_EEEENS0_6detail16wrapped_functionINSA_23allocator_traits_detail5gozerEvEEEElLj1EEEvT0_T1_SH_
	.p2align	8
	.type	_ZN6thrust23THRUST_200600_302600_NS11hip_rocprim14__parallel_for6kernelILj256ENS1_10for_each_fINS0_10device_ptrINS0_5tupleIffNS0_9null_typeES7_S7_S7_S7_S7_S7_S7_EEEENS0_6detail16wrapped_functionINSA_23allocator_traits_detail5gozerEvEEEElLj1EEEvT0_T1_SH_,@function
_ZN6thrust23THRUST_200600_302600_NS11hip_rocprim14__parallel_for6kernelILj256ENS1_10for_each_fINS0_10device_ptrINS0_5tupleIffNS0_9null_typeES7_S7_S7_S7_S7_S7_S7_EEEENS0_6detail16wrapped_functionINSA_23allocator_traits_detail5gozerEvEEEElLj1EEEvT0_T1_SH_: ; @_ZN6thrust23THRUST_200600_302600_NS11hip_rocprim14__parallel_for6kernelILj256ENS1_10for_each_fINS0_10device_ptrINS0_5tupleIffNS0_9null_typeES7_S7_S7_S7_S7_S7_S7_EEEENS0_6detail16wrapped_functionINSA_23allocator_traits_detail5gozerEvEEEElLj1EEEvT0_T1_SH_
; %bb.0:
	s_endpgm
	.section	.rodata,"a",@progbits
	.p2align	6, 0x0
	.amdhsa_kernel _ZN6thrust23THRUST_200600_302600_NS11hip_rocprim14__parallel_for6kernelILj256ENS1_10for_each_fINS0_10device_ptrINS0_5tupleIffNS0_9null_typeES7_S7_S7_S7_S7_S7_S7_EEEENS0_6detail16wrapped_functionINSA_23allocator_traits_detail5gozerEvEEEElLj1EEEvT0_T1_SH_
		.amdhsa_group_segment_fixed_size 0
		.amdhsa_private_segment_fixed_size 0
		.amdhsa_kernarg_size 32
		.amdhsa_user_sgpr_count 2
		.amdhsa_user_sgpr_dispatch_ptr 0
		.amdhsa_user_sgpr_queue_ptr 0
		.amdhsa_user_sgpr_kernarg_segment_ptr 1
		.amdhsa_user_sgpr_dispatch_id 0
		.amdhsa_user_sgpr_private_segment_size 0
		.amdhsa_wavefront_size32 1
		.amdhsa_uses_dynamic_stack 0
		.amdhsa_enable_private_segment 0
		.amdhsa_system_sgpr_workgroup_id_x 1
		.amdhsa_system_sgpr_workgroup_id_y 0
		.amdhsa_system_sgpr_workgroup_id_z 0
		.amdhsa_system_sgpr_workgroup_info 0
		.amdhsa_system_vgpr_workitem_id 0
		.amdhsa_next_free_vgpr 1
		.amdhsa_next_free_sgpr 1
		.amdhsa_reserve_vcc 0
		.amdhsa_float_round_mode_32 0
		.amdhsa_float_round_mode_16_64 0
		.amdhsa_float_denorm_mode_32 3
		.amdhsa_float_denorm_mode_16_64 3
		.amdhsa_fp16_overflow 0
		.amdhsa_workgroup_processor_mode 1
		.amdhsa_memory_ordered 1
		.amdhsa_forward_progress 1
		.amdhsa_inst_pref_size 1
		.amdhsa_round_robin_scheduling 0
		.amdhsa_exception_fp_ieee_invalid_op 0
		.amdhsa_exception_fp_denorm_src 0
		.amdhsa_exception_fp_ieee_div_zero 0
		.amdhsa_exception_fp_ieee_overflow 0
		.amdhsa_exception_fp_ieee_underflow 0
		.amdhsa_exception_fp_ieee_inexact 0
		.amdhsa_exception_int_div_zero 0
	.end_amdhsa_kernel
	.section	.text._ZN6thrust23THRUST_200600_302600_NS11hip_rocprim14__parallel_for6kernelILj256ENS1_10for_each_fINS0_10device_ptrINS0_5tupleIffNS0_9null_typeES7_S7_S7_S7_S7_S7_S7_EEEENS0_6detail16wrapped_functionINSA_23allocator_traits_detail5gozerEvEEEElLj1EEEvT0_T1_SH_,"axG",@progbits,_ZN6thrust23THRUST_200600_302600_NS11hip_rocprim14__parallel_for6kernelILj256ENS1_10for_each_fINS0_10device_ptrINS0_5tupleIffNS0_9null_typeES7_S7_S7_S7_S7_S7_S7_EEEENS0_6detail16wrapped_functionINSA_23allocator_traits_detail5gozerEvEEEElLj1EEEvT0_T1_SH_,comdat
.Lfunc_end4:
	.size	_ZN6thrust23THRUST_200600_302600_NS11hip_rocprim14__parallel_for6kernelILj256ENS1_10for_each_fINS0_10device_ptrINS0_5tupleIffNS0_9null_typeES7_S7_S7_S7_S7_S7_S7_EEEENS0_6detail16wrapped_functionINSA_23allocator_traits_detail5gozerEvEEEElLj1EEEvT0_T1_SH_, .Lfunc_end4-_ZN6thrust23THRUST_200600_302600_NS11hip_rocprim14__parallel_for6kernelILj256ENS1_10for_each_fINS0_10device_ptrINS0_5tupleIffNS0_9null_typeES7_S7_S7_S7_S7_S7_S7_EEEENS0_6detail16wrapped_functionINSA_23allocator_traits_detail5gozerEvEEEElLj1EEEvT0_T1_SH_
                                        ; -- End function
	.set _ZN6thrust23THRUST_200600_302600_NS11hip_rocprim14__parallel_for6kernelILj256ENS1_10for_each_fINS0_10device_ptrINS0_5tupleIffNS0_9null_typeES7_S7_S7_S7_S7_S7_S7_EEEENS0_6detail16wrapped_functionINSA_23allocator_traits_detail5gozerEvEEEElLj1EEEvT0_T1_SH_.num_vgpr, 0
	.set _ZN6thrust23THRUST_200600_302600_NS11hip_rocprim14__parallel_for6kernelILj256ENS1_10for_each_fINS0_10device_ptrINS0_5tupleIffNS0_9null_typeES7_S7_S7_S7_S7_S7_S7_EEEENS0_6detail16wrapped_functionINSA_23allocator_traits_detail5gozerEvEEEElLj1EEEvT0_T1_SH_.num_agpr, 0
	.set _ZN6thrust23THRUST_200600_302600_NS11hip_rocprim14__parallel_for6kernelILj256ENS1_10for_each_fINS0_10device_ptrINS0_5tupleIffNS0_9null_typeES7_S7_S7_S7_S7_S7_S7_EEEENS0_6detail16wrapped_functionINSA_23allocator_traits_detail5gozerEvEEEElLj1EEEvT0_T1_SH_.numbered_sgpr, 0
	.set _ZN6thrust23THRUST_200600_302600_NS11hip_rocprim14__parallel_for6kernelILj256ENS1_10for_each_fINS0_10device_ptrINS0_5tupleIffNS0_9null_typeES7_S7_S7_S7_S7_S7_S7_EEEENS0_6detail16wrapped_functionINSA_23allocator_traits_detail5gozerEvEEEElLj1EEEvT0_T1_SH_.num_named_barrier, 0
	.set _ZN6thrust23THRUST_200600_302600_NS11hip_rocprim14__parallel_for6kernelILj256ENS1_10for_each_fINS0_10device_ptrINS0_5tupleIffNS0_9null_typeES7_S7_S7_S7_S7_S7_S7_EEEENS0_6detail16wrapped_functionINSA_23allocator_traits_detail5gozerEvEEEElLj1EEEvT0_T1_SH_.private_seg_size, 0
	.set _ZN6thrust23THRUST_200600_302600_NS11hip_rocprim14__parallel_for6kernelILj256ENS1_10for_each_fINS0_10device_ptrINS0_5tupleIffNS0_9null_typeES7_S7_S7_S7_S7_S7_S7_EEEENS0_6detail16wrapped_functionINSA_23allocator_traits_detail5gozerEvEEEElLj1EEEvT0_T1_SH_.uses_vcc, 0
	.set _ZN6thrust23THRUST_200600_302600_NS11hip_rocprim14__parallel_for6kernelILj256ENS1_10for_each_fINS0_10device_ptrINS0_5tupleIffNS0_9null_typeES7_S7_S7_S7_S7_S7_S7_EEEENS0_6detail16wrapped_functionINSA_23allocator_traits_detail5gozerEvEEEElLj1EEEvT0_T1_SH_.uses_flat_scratch, 0
	.set _ZN6thrust23THRUST_200600_302600_NS11hip_rocprim14__parallel_for6kernelILj256ENS1_10for_each_fINS0_10device_ptrINS0_5tupleIffNS0_9null_typeES7_S7_S7_S7_S7_S7_S7_EEEENS0_6detail16wrapped_functionINSA_23allocator_traits_detail5gozerEvEEEElLj1EEEvT0_T1_SH_.has_dyn_sized_stack, 0
	.set _ZN6thrust23THRUST_200600_302600_NS11hip_rocprim14__parallel_for6kernelILj256ENS1_10for_each_fINS0_10device_ptrINS0_5tupleIffNS0_9null_typeES7_S7_S7_S7_S7_S7_S7_EEEENS0_6detail16wrapped_functionINSA_23allocator_traits_detail5gozerEvEEEElLj1EEEvT0_T1_SH_.has_recursion, 0
	.set _ZN6thrust23THRUST_200600_302600_NS11hip_rocprim14__parallel_for6kernelILj256ENS1_10for_each_fINS0_10device_ptrINS0_5tupleIffNS0_9null_typeES7_S7_S7_S7_S7_S7_S7_EEEENS0_6detail16wrapped_functionINSA_23allocator_traits_detail5gozerEvEEEElLj1EEEvT0_T1_SH_.has_indirect_call, 0
	.section	.AMDGPU.csdata,"",@progbits
; Kernel info:
; codeLenInByte = 4
; TotalNumSgprs: 0
; NumVgprs: 0
; ScratchSize: 0
; MemoryBound: 0
; FloatMode: 240
; IeeeMode: 1
; LDSByteSize: 0 bytes/workgroup (compile time only)
; SGPRBlocks: 0
; VGPRBlocks: 0
; NumSGPRsForWavesPerEU: 1
; NumVGPRsForWavesPerEU: 1
; Occupancy: 16
; WaveLimiterHint : 0
; COMPUTE_PGM_RSRC2:SCRATCH_EN: 0
; COMPUTE_PGM_RSRC2:USER_SGPR: 2
; COMPUTE_PGM_RSRC2:TRAP_HANDLER: 0
; COMPUTE_PGM_RSRC2:TGID_X_EN: 1
; COMPUTE_PGM_RSRC2:TGID_Y_EN: 0
; COMPUTE_PGM_RSRC2:TGID_Z_EN: 0
; COMPUTE_PGM_RSRC2:TIDIG_COMP_CNT: 0
	.section	.text._ZN6thrust23THRUST_200600_302600_NS11hip_rocprim14__parallel_for6kernelILj256ENS1_20__uninitialized_fill7functorINS0_10device_ptrIjEEjEEmLj1EEEvT0_T1_SA_,"axG",@progbits,_ZN6thrust23THRUST_200600_302600_NS11hip_rocprim14__parallel_for6kernelILj256ENS1_20__uninitialized_fill7functorINS0_10device_ptrIjEEjEEmLj1EEEvT0_T1_SA_,comdat
	.protected	_ZN6thrust23THRUST_200600_302600_NS11hip_rocprim14__parallel_for6kernelILj256ENS1_20__uninitialized_fill7functorINS0_10device_ptrIjEEjEEmLj1EEEvT0_T1_SA_ ; -- Begin function _ZN6thrust23THRUST_200600_302600_NS11hip_rocprim14__parallel_for6kernelILj256ENS1_20__uninitialized_fill7functorINS0_10device_ptrIjEEjEEmLj1EEEvT0_T1_SA_
	.globl	_ZN6thrust23THRUST_200600_302600_NS11hip_rocprim14__parallel_for6kernelILj256ENS1_20__uninitialized_fill7functorINS0_10device_ptrIjEEjEEmLj1EEEvT0_T1_SA_
	.p2align	8
	.type	_ZN6thrust23THRUST_200600_302600_NS11hip_rocprim14__parallel_for6kernelILj256ENS1_20__uninitialized_fill7functorINS0_10device_ptrIjEEjEEmLj1EEEvT0_T1_SA_,@function
_ZN6thrust23THRUST_200600_302600_NS11hip_rocprim14__parallel_for6kernelILj256ENS1_20__uninitialized_fill7functorINS0_10device_ptrIjEEjEEmLj1EEEvT0_T1_SA_: ; @_ZN6thrust23THRUST_200600_302600_NS11hip_rocprim14__parallel_for6kernelILj256ENS1_20__uninitialized_fill7functorINS0_10device_ptrIjEEjEEmLj1EEEvT0_T1_SA_
; %bb.0:
	s_clause 0x1
	s_load_b128 s[8:11], s[0:1], 0x10
	s_load_b96 s[0:2], s[0:1], 0x0
	s_lshl_b32 s4, ttmp9, 8
	s_mov_b32 s5, 0
	s_wait_kmcnt 0x0
	s_add_nc_u64 s[4:5], s[10:11], s[4:5]
	s_delay_alu instid0(SALU_CYCLE_1) | instskip(NEXT) | instid1(SALU_CYCLE_1)
	s_sub_nc_u64 s[6:7], s[8:9], s[4:5]
	v_cmp_lt_u64_e64 s3, 0xff, s[6:7]
	s_and_b32 vcc_lo, exec_lo, s3
	s_mov_b32 s3, -1
	s_cbranch_vccz .LBB5_3
; %bb.1:
	s_and_not1_b32 vcc_lo, exec_lo, s3
	s_cbranch_vccz .LBB5_6
.LBB5_2:
	s_endpgm
.LBB5_3:
	s_mov_b32 s3, exec_lo
	v_cmpx_gt_u32_e64 s6, v0
	s_cbranch_execz .LBB5_5
; %bb.4:
	v_lshlrev_b32_e32 v1, 2, v0
	s_lshl_b64 s[6:7], s[4:5], 2
	v_mov_b32_e32 v3, s2
	s_wait_alu 0xfffe
	s_add_nc_u64 s[6:7], s[0:1], s[6:7]
	s_wait_alu 0xfffe
	v_add_co_u32 v1, s6, s6, v1
	s_wait_alu 0xf1ff
	v_add_co_ci_u32_e64 v2, null, s7, 0, s6
	flat_store_b32 v[1:2], v3
.LBB5_5:
	s_or_b32 exec_lo, exec_lo, s3
	s_cbranch_execnz .LBB5_2
.LBB5_6:
	v_lshlrev_b32_e32 v0, 2, v0
	s_lshl_b64 s[4:5], s[4:5], 2
	v_mov_b32_e32 v2, s2
	s_add_nc_u64 s[0:1], s[0:1], s[4:5]
	s_delay_alu instid0(VALU_DEP_2) | instid1(SALU_CYCLE_1)
	v_add_co_u32 v0, s0, s0, v0
	s_wait_alu 0xf1ff
	v_add_co_ci_u32_e64 v1, null, s1, 0, s0
	flat_store_b32 v[0:1], v2
	s_endpgm
	.section	.rodata,"a",@progbits
	.p2align	6, 0x0
	.amdhsa_kernel _ZN6thrust23THRUST_200600_302600_NS11hip_rocprim14__parallel_for6kernelILj256ENS1_20__uninitialized_fill7functorINS0_10device_ptrIjEEjEEmLj1EEEvT0_T1_SA_
		.amdhsa_group_segment_fixed_size 0
		.amdhsa_private_segment_fixed_size 0
		.amdhsa_kernarg_size 32
		.amdhsa_user_sgpr_count 2
		.amdhsa_user_sgpr_dispatch_ptr 0
		.amdhsa_user_sgpr_queue_ptr 0
		.amdhsa_user_sgpr_kernarg_segment_ptr 1
		.amdhsa_user_sgpr_dispatch_id 0
		.amdhsa_user_sgpr_private_segment_size 0
		.amdhsa_wavefront_size32 1
		.amdhsa_uses_dynamic_stack 0
		.amdhsa_enable_private_segment 0
		.amdhsa_system_sgpr_workgroup_id_x 1
		.amdhsa_system_sgpr_workgroup_id_y 0
		.amdhsa_system_sgpr_workgroup_id_z 0
		.amdhsa_system_sgpr_workgroup_info 0
		.amdhsa_system_vgpr_workitem_id 0
		.amdhsa_next_free_vgpr 4
		.amdhsa_next_free_sgpr 12
		.amdhsa_reserve_vcc 1
		.amdhsa_float_round_mode_32 0
		.amdhsa_float_round_mode_16_64 0
		.amdhsa_float_denorm_mode_32 3
		.amdhsa_float_denorm_mode_16_64 3
		.amdhsa_fp16_overflow 0
		.amdhsa_workgroup_processor_mode 1
		.amdhsa_memory_ordered 1
		.amdhsa_forward_progress 1
		.amdhsa_inst_pref_size 2
		.amdhsa_round_robin_scheduling 0
		.amdhsa_exception_fp_ieee_invalid_op 0
		.amdhsa_exception_fp_denorm_src 0
		.amdhsa_exception_fp_ieee_div_zero 0
		.amdhsa_exception_fp_ieee_overflow 0
		.amdhsa_exception_fp_ieee_underflow 0
		.amdhsa_exception_fp_ieee_inexact 0
		.amdhsa_exception_int_div_zero 0
	.end_amdhsa_kernel
	.section	.text._ZN6thrust23THRUST_200600_302600_NS11hip_rocprim14__parallel_for6kernelILj256ENS1_20__uninitialized_fill7functorINS0_10device_ptrIjEEjEEmLj1EEEvT0_T1_SA_,"axG",@progbits,_ZN6thrust23THRUST_200600_302600_NS11hip_rocprim14__parallel_for6kernelILj256ENS1_20__uninitialized_fill7functorINS0_10device_ptrIjEEjEEmLj1EEEvT0_T1_SA_,comdat
.Lfunc_end5:
	.size	_ZN6thrust23THRUST_200600_302600_NS11hip_rocprim14__parallel_for6kernelILj256ENS1_20__uninitialized_fill7functorINS0_10device_ptrIjEEjEEmLj1EEEvT0_T1_SA_, .Lfunc_end5-_ZN6thrust23THRUST_200600_302600_NS11hip_rocprim14__parallel_for6kernelILj256ENS1_20__uninitialized_fill7functorINS0_10device_ptrIjEEjEEmLj1EEEvT0_T1_SA_
                                        ; -- End function
	.set _ZN6thrust23THRUST_200600_302600_NS11hip_rocprim14__parallel_for6kernelILj256ENS1_20__uninitialized_fill7functorINS0_10device_ptrIjEEjEEmLj1EEEvT0_T1_SA_.num_vgpr, 4
	.set _ZN6thrust23THRUST_200600_302600_NS11hip_rocprim14__parallel_for6kernelILj256ENS1_20__uninitialized_fill7functorINS0_10device_ptrIjEEjEEmLj1EEEvT0_T1_SA_.num_agpr, 0
	.set _ZN6thrust23THRUST_200600_302600_NS11hip_rocprim14__parallel_for6kernelILj256ENS1_20__uninitialized_fill7functorINS0_10device_ptrIjEEjEEmLj1EEEvT0_T1_SA_.numbered_sgpr, 12
	.set _ZN6thrust23THRUST_200600_302600_NS11hip_rocprim14__parallel_for6kernelILj256ENS1_20__uninitialized_fill7functorINS0_10device_ptrIjEEjEEmLj1EEEvT0_T1_SA_.num_named_barrier, 0
	.set _ZN6thrust23THRUST_200600_302600_NS11hip_rocprim14__parallel_for6kernelILj256ENS1_20__uninitialized_fill7functorINS0_10device_ptrIjEEjEEmLj1EEEvT0_T1_SA_.private_seg_size, 0
	.set _ZN6thrust23THRUST_200600_302600_NS11hip_rocprim14__parallel_for6kernelILj256ENS1_20__uninitialized_fill7functorINS0_10device_ptrIjEEjEEmLj1EEEvT0_T1_SA_.uses_vcc, 1
	.set _ZN6thrust23THRUST_200600_302600_NS11hip_rocprim14__parallel_for6kernelILj256ENS1_20__uninitialized_fill7functorINS0_10device_ptrIjEEjEEmLj1EEEvT0_T1_SA_.uses_flat_scratch, 0
	.set _ZN6thrust23THRUST_200600_302600_NS11hip_rocprim14__parallel_for6kernelILj256ENS1_20__uninitialized_fill7functorINS0_10device_ptrIjEEjEEmLj1EEEvT0_T1_SA_.has_dyn_sized_stack, 0
	.set _ZN6thrust23THRUST_200600_302600_NS11hip_rocprim14__parallel_for6kernelILj256ENS1_20__uninitialized_fill7functorINS0_10device_ptrIjEEjEEmLj1EEEvT0_T1_SA_.has_recursion, 0
	.set _ZN6thrust23THRUST_200600_302600_NS11hip_rocprim14__parallel_for6kernelILj256ENS1_20__uninitialized_fill7functorINS0_10device_ptrIjEEjEEmLj1EEEvT0_T1_SA_.has_indirect_call, 0
	.section	.AMDGPU.csdata,"",@progbits
; Kernel info:
; codeLenInByte = 216
; TotalNumSgprs: 14
; NumVgprs: 4
; ScratchSize: 0
; MemoryBound: 0
; FloatMode: 240
; IeeeMode: 1
; LDSByteSize: 0 bytes/workgroup (compile time only)
; SGPRBlocks: 0
; VGPRBlocks: 0
; NumSGPRsForWavesPerEU: 14
; NumVGPRsForWavesPerEU: 4
; Occupancy: 16
; WaveLimiterHint : 0
; COMPUTE_PGM_RSRC2:SCRATCH_EN: 0
; COMPUTE_PGM_RSRC2:USER_SGPR: 2
; COMPUTE_PGM_RSRC2:TRAP_HANDLER: 0
; COMPUTE_PGM_RSRC2:TGID_X_EN: 1
; COMPUTE_PGM_RSRC2:TGID_Y_EN: 0
; COMPUTE_PGM_RSRC2:TGID_Z_EN: 0
; COMPUTE_PGM_RSRC2:TIDIG_COMP_CNT: 0
	.section	.text._ZN6thrust23THRUST_200600_302600_NS11hip_rocprim14__parallel_for6kernelILj256ENS1_11__transform17unary_transform_fINS0_6detail15normal_iteratorINS0_10device_ptrINS0_5tupleIffNS0_9null_typeESA_SA_SA_SA_SA_SA_SA_EEEEEENS7_INS8_IjEEEENS4_14no_stencil_tagE21point_to_bucket_indexNS4_21always_true_predicateEEElLj1EEEvT0_T1_SL_,"axG",@progbits,_ZN6thrust23THRUST_200600_302600_NS11hip_rocprim14__parallel_for6kernelILj256ENS1_11__transform17unary_transform_fINS0_6detail15normal_iteratorINS0_10device_ptrINS0_5tupleIffNS0_9null_typeESA_SA_SA_SA_SA_SA_SA_EEEEEENS7_INS8_IjEEEENS4_14no_stencil_tagE21point_to_bucket_indexNS4_21always_true_predicateEEElLj1EEEvT0_T1_SL_,comdat
	.protected	_ZN6thrust23THRUST_200600_302600_NS11hip_rocprim14__parallel_for6kernelILj256ENS1_11__transform17unary_transform_fINS0_6detail15normal_iteratorINS0_10device_ptrINS0_5tupleIffNS0_9null_typeESA_SA_SA_SA_SA_SA_SA_EEEEEENS7_INS8_IjEEEENS4_14no_stencil_tagE21point_to_bucket_indexNS4_21always_true_predicateEEElLj1EEEvT0_T1_SL_ ; -- Begin function _ZN6thrust23THRUST_200600_302600_NS11hip_rocprim14__parallel_for6kernelILj256ENS1_11__transform17unary_transform_fINS0_6detail15normal_iteratorINS0_10device_ptrINS0_5tupleIffNS0_9null_typeESA_SA_SA_SA_SA_SA_SA_EEEEEENS7_INS8_IjEEEENS4_14no_stencil_tagE21point_to_bucket_indexNS4_21always_true_predicateEEElLj1EEEvT0_T1_SL_
	.globl	_ZN6thrust23THRUST_200600_302600_NS11hip_rocprim14__parallel_for6kernelILj256ENS1_11__transform17unary_transform_fINS0_6detail15normal_iteratorINS0_10device_ptrINS0_5tupleIffNS0_9null_typeESA_SA_SA_SA_SA_SA_SA_EEEEEENS7_INS8_IjEEEENS4_14no_stencil_tagE21point_to_bucket_indexNS4_21always_true_predicateEEElLj1EEEvT0_T1_SL_
	.p2align	8
	.type	_ZN6thrust23THRUST_200600_302600_NS11hip_rocprim14__parallel_for6kernelILj256ENS1_11__transform17unary_transform_fINS0_6detail15normal_iteratorINS0_10device_ptrINS0_5tupleIffNS0_9null_typeESA_SA_SA_SA_SA_SA_SA_EEEEEENS7_INS8_IjEEEENS4_14no_stencil_tagE21point_to_bucket_indexNS4_21always_true_predicateEEElLj1EEEvT0_T1_SL_,@function
_ZN6thrust23THRUST_200600_302600_NS11hip_rocprim14__parallel_for6kernelILj256ENS1_11__transform17unary_transform_fINS0_6detail15normal_iteratorINS0_10device_ptrINS0_5tupleIffNS0_9null_typeESA_SA_SA_SA_SA_SA_SA_EEEEEENS7_INS8_IjEEEENS4_14no_stencil_tagE21point_to_bucket_indexNS4_21always_true_predicateEEElLj1EEEvT0_T1_SL_: ; @_ZN6thrust23THRUST_200600_302600_NS11hip_rocprim14__parallel_for6kernelILj256ENS1_11__transform17unary_transform_fINS0_6detail15normal_iteratorINS0_10device_ptrINS0_5tupleIffNS0_9null_typeESA_SA_SA_SA_SA_SA_SA_EEEEEENS7_INS8_IjEEEENS4_14no_stencil_tagE21point_to_bucket_indexNS4_21always_true_predicateEEElLj1EEEvT0_T1_SL_
; %bb.0:
	s_clause 0x2
	s_load_b128 s[8:11], s[0:1], 0x20
	s_load_b128 s[4:7], s[0:1], 0x0
	s_load_b64 s[0:1], s[0:1], 0x10
	s_lshl_b32 s2, ttmp9, 8
	s_mov_b32 s3, 0
	s_wait_kmcnt 0x0
	s_add_nc_u64 s[2:3], s[10:11], s[2:3]
	s_delay_alu instid0(SALU_CYCLE_1) | instskip(NEXT) | instid1(SALU_CYCLE_1)
	s_sub_nc_u64 s[8:9], s[8:9], s[2:3]
	v_cmp_gt_i64_e64 s9, 0x100, s[8:9]
	s_and_b32 s9, s9, exec_lo
	s_cselect_b32 s9, s8, 0x100
	s_mov_b32 s8, -1
	s_wait_alu 0xfffe
	s_cmp_eq_u32 s9, 0x100
	s_cbranch_scc0 .LBB6_3
; %bb.1:
	s_and_not1_b32 vcc_lo, exec_lo, s8
	s_cbranch_vccz .LBB6_6
.LBB6_2:
	s_endpgm
.LBB6_3:
	s_mov_b32 s8, exec_lo
	v_cmpx_gt_u32_e64 s9, v0
	s_cbranch_execz .LBB6_5
; %bb.4:
	v_add_co_u32 v1, s9, s2, v0
	s_wait_alu 0xf1ff
	v_add_co_ci_u32_e64 v2, null, s3, 0, s9
	s_cvt_f32_u32 s9, s0
	s_cvt_f32_u32 s10, s1
	v_lshlrev_b64_e32 v[3:4], 3, v[1:2]
	v_lshlrev_b64_e32 v[1:2], 2, v[1:2]
	s_delay_alu instid0(VALU_DEP_2) | instskip(NEXT) | instid1(VALU_DEP_1)
	v_add_co_u32 v3, vcc_lo, s4, v3
	v_add_co_ci_u32_e64 v4, null, s5, v4, vcc_lo
	s_delay_alu instid0(VALU_DEP_3) | instskip(SKIP_1) | instid1(VALU_DEP_4)
	v_add_co_u32 v1, vcc_lo, s6, v1
	s_wait_alu 0xfffd
	v_add_co_ci_u32_e64 v2, null, s7, v2, vcc_lo
	flat_load_b64 v[3:4], v[3:4]
	s_wait_loadcnt_dscnt 0x0
	s_wait_alu 0xfffe
	v_dual_mul_f32 v3, s9, v3 :: v_dual_mul_f32 v4, s10, v4
	s_delay_alu instid0(VALU_DEP_1) | instskip(NEXT) | instid1(VALU_DEP_2)
	v_cvt_u32_f32_e32 v3, v3
	v_cvt_u32_f32_e32 v4, v4
	s_delay_alu instid0(VALU_DEP_1)
	v_mad_co_u64_u32 v[3:4], null, s0, v4, v[3:4]
	flat_store_b32 v[1:2], v3
.LBB6_5:
	s_wait_alu 0xfffe
	s_or_b32 exec_lo, exec_lo, s8
	s_cbranch_execnz .LBB6_2
.LBB6_6:
	v_add_co_u32 v0, s2, s2, v0
	s_wait_alu 0xf1ff
	v_add_co_ci_u32_e64 v1, null, s3, 0, s2
	s_cvt_f32_u32 s2, s0
	s_cvt_f32_u32 s1, s1
	v_lshlrev_b64_e32 v[2:3], 3, v[0:1]
	v_lshlrev_b64_e32 v[0:1], 2, v[0:1]
	s_delay_alu instid0(VALU_DEP_2) | instskip(SKIP_1) | instid1(VALU_DEP_3)
	v_add_co_u32 v2, vcc_lo, s4, v2
	s_wait_alu 0xfffd
	v_add_co_ci_u32_e64 v3, null, s5, v3, vcc_lo
	s_delay_alu instid0(VALU_DEP_3)
	v_add_co_u32 v0, vcc_lo, s6, v0
	s_wait_alu 0xfffd
	v_add_co_ci_u32_e64 v1, null, s7, v1, vcc_lo
	flat_load_b64 v[2:3], v[2:3]
	s_wait_loadcnt_dscnt 0x0
	s_wait_alu 0xfffe
	v_dual_mul_f32 v2, s2, v2 :: v_dual_mul_f32 v3, s1, v3
	s_delay_alu instid0(VALU_DEP_1) | instskip(NEXT) | instid1(VALU_DEP_2)
	v_cvt_u32_f32_e32 v2, v2
	v_cvt_u32_f32_e32 v3, v3
	s_delay_alu instid0(VALU_DEP_1)
	v_mad_co_u64_u32 v[2:3], null, s0, v3, v[2:3]
	flat_store_b32 v[0:1], v2
	s_endpgm
	.section	.rodata,"a",@progbits
	.p2align	6, 0x0
	.amdhsa_kernel _ZN6thrust23THRUST_200600_302600_NS11hip_rocprim14__parallel_for6kernelILj256ENS1_11__transform17unary_transform_fINS0_6detail15normal_iteratorINS0_10device_ptrINS0_5tupleIffNS0_9null_typeESA_SA_SA_SA_SA_SA_SA_EEEEEENS7_INS8_IjEEEENS4_14no_stencil_tagE21point_to_bucket_indexNS4_21always_true_predicateEEElLj1EEEvT0_T1_SL_
		.amdhsa_group_segment_fixed_size 0
		.amdhsa_private_segment_fixed_size 0
		.amdhsa_kernarg_size 48
		.amdhsa_user_sgpr_count 2
		.amdhsa_user_sgpr_dispatch_ptr 0
		.amdhsa_user_sgpr_queue_ptr 0
		.amdhsa_user_sgpr_kernarg_segment_ptr 1
		.amdhsa_user_sgpr_dispatch_id 0
		.amdhsa_user_sgpr_private_segment_size 0
		.amdhsa_wavefront_size32 1
		.amdhsa_uses_dynamic_stack 0
		.amdhsa_enable_private_segment 0
		.amdhsa_system_sgpr_workgroup_id_x 1
		.amdhsa_system_sgpr_workgroup_id_y 0
		.amdhsa_system_sgpr_workgroup_id_z 0
		.amdhsa_system_sgpr_workgroup_info 0
		.amdhsa_system_vgpr_workitem_id 0
		.amdhsa_next_free_vgpr 5
		.amdhsa_next_free_sgpr 12
		.amdhsa_reserve_vcc 1
		.amdhsa_float_round_mode_32 0
		.amdhsa_float_round_mode_16_64 0
		.amdhsa_float_denorm_mode_32 3
		.amdhsa_float_denorm_mode_16_64 3
		.amdhsa_fp16_overflow 0
		.amdhsa_workgroup_processor_mode 1
		.amdhsa_memory_ordered 1
		.amdhsa_forward_progress 1
		.amdhsa_inst_pref_size 4
		.amdhsa_round_robin_scheduling 0
		.amdhsa_exception_fp_ieee_invalid_op 0
		.amdhsa_exception_fp_denorm_src 0
		.amdhsa_exception_fp_ieee_div_zero 0
		.amdhsa_exception_fp_ieee_overflow 0
		.amdhsa_exception_fp_ieee_underflow 0
		.amdhsa_exception_fp_ieee_inexact 0
		.amdhsa_exception_int_div_zero 0
	.end_amdhsa_kernel
	.section	.text._ZN6thrust23THRUST_200600_302600_NS11hip_rocprim14__parallel_for6kernelILj256ENS1_11__transform17unary_transform_fINS0_6detail15normal_iteratorINS0_10device_ptrINS0_5tupleIffNS0_9null_typeESA_SA_SA_SA_SA_SA_SA_EEEEEENS7_INS8_IjEEEENS4_14no_stencil_tagE21point_to_bucket_indexNS4_21always_true_predicateEEElLj1EEEvT0_T1_SL_,"axG",@progbits,_ZN6thrust23THRUST_200600_302600_NS11hip_rocprim14__parallel_for6kernelILj256ENS1_11__transform17unary_transform_fINS0_6detail15normal_iteratorINS0_10device_ptrINS0_5tupleIffNS0_9null_typeESA_SA_SA_SA_SA_SA_SA_EEEEEENS7_INS8_IjEEEENS4_14no_stencil_tagE21point_to_bucket_indexNS4_21always_true_predicateEEElLj1EEEvT0_T1_SL_,comdat
.Lfunc_end6:
	.size	_ZN6thrust23THRUST_200600_302600_NS11hip_rocprim14__parallel_for6kernelILj256ENS1_11__transform17unary_transform_fINS0_6detail15normal_iteratorINS0_10device_ptrINS0_5tupleIffNS0_9null_typeESA_SA_SA_SA_SA_SA_SA_EEEEEENS7_INS8_IjEEEENS4_14no_stencil_tagE21point_to_bucket_indexNS4_21always_true_predicateEEElLj1EEEvT0_T1_SL_, .Lfunc_end6-_ZN6thrust23THRUST_200600_302600_NS11hip_rocprim14__parallel_for6kernelILj256ENS1_11__transform17unary_transform_fINS0_6detail15normal_iteratorINS0_10device_ptrINS0_5tupleIffNS0_9null_typeESA_SA_SA_SA_SA_SA_SA_EEEEEENS7_INS8_IjEEEENS4_14no_stencil_tagE21point_to_bucket_indexNS4_21always_true_predicateEEElLj1EEEvT0_T1_SL_
                                        ; -- End function
	.set _ZN6thrust23THRUST_200600_302600_NS11hip_rocprim14__parallel_for6kernelILj256ENS1_11__transform17unary_transform_fINS0_6detail15normal_iteratorINS0_10device_ptrINS0_5tupleIffNS0_9null_typeESA_SA_SA_SA_SA_SA_SA_EEEEEENS7_INS8_IjEEEENS4_14no_stencil_tagE21point_to_bucket_indexNS4_21always_true_predicateEEElLj1EEEvT0_T1_SL_.num_vgpr, 5
	.set _ZN6thrust23THRUST_200600_302600_NS11hip_rocprim14__parallel_for6kernelILj256ENS1_11__transform17unary_transform_fINS0_6detail15normal_iteratorINS0_10device_ptrINS0_5tupleIffNS0_9null_typeESA_SA_SA_SA_SA_SA_SA_EEEEEENS7_INS8_IjEEEENS4_14no_stencil_tagE21point_to_bucket_indexNS4_21always_true_predicateEEElLj1EEEvT0_T1_SL_.num_agpr, 0
	.set _ZN6thrust23THRUST_200600_302600_NS11hip_rocprim14__parallel_for6kernelILj256ENS1_11__transform17unary_transform_fINS0_6detail15normal_iteratorINS0_10device_ptrINS0_5tupleIffNS0_9null_typeESA_SA_SA_SA_SA_SA_SA_EEEEEENS7_INS8_IjEEEENS4_14no_stencil_tagE21point_to_bucket_indexNS4_21always_true_predicateEEElLj1EEEvT0_T1_SL_.numbered_sgpr, 12
	.set _ZN6thrust23THRUST_200600_302600_NS11hip_rocprim14__parallel_for6kernelILj256ENS1_11__transform17unary_transform_fINS0_6detail15normal_iteratorINS0_10device_ptrINS0_5tupleIffNS0_9null_typeESA_SA_SA_SA_SA_SA_SA_EEEEEENS7_INS8_IjEEEENS4_14no_stencil_tagE21point_to_bucket_indexNS4_21always_true_predicateEEElLj1EEEvT0_T1_SL_.num_named_barrier, 0
	.set _ZN6thrust23THRUST_200600_302600_NS11hip_rocprim14__parallel_for6kernelILj256ENS1_11__transform17unary_transform_fINS0_6detail15normal_iteratorINS0_10device_ptrINS0_5tupleIffNS0_9null_typeESA_SA_SA_SA_SA_SA_SA_EEEEEENS7_INS8_IjEEEENS4_14no_stencil_tagE21point_to_bucket_indexNS4_21always_true_predicateEEElLj1EEEvT0_T1_SL_.private_seg_size, 0
	.set _ZN6thrust23THRUST_200600_302600_NS11hip_rocprim14__parallel_for6kernelILj256ENS1_11__transform17unary_transform_fINS0_6detail15normal_iteratorINS0_10device_ptrINS0_5tupleIffNS0_9null_typeESA_SA_SA_SA_SA_SA_SA_EEEEEENS7_INS8_IjEEEENS4_14no_stencil_tagE21point_to_bucket_indexNS4_21always_true_predicateEEElLj1EEEvT0_T1_SL_.uses_vcc, 1
	.set _ZN6thrust23THRUST_200600_302600_NS11hip_rocprim14__parallel_for6kernelILj256ENS1_11__transform17unary_transform_fINS0_6detail15normal_iteratorINS0_10device_ptrINS0_5tupleIffNS0_9null_typeESA_SA_SA_SA_SA_SA_SA_EEEEEENS7_INS8_IjEEEENS4_14no_stencil_tagE21point_to_bucket_indexNS4_21always_true_predicateEEElLj1EEEvT0_T1_SL_.uses_flat_scratch, 0
	.set _ZN6thrust23THRUST_200600_302600_NS11hip_rocprim14__parallel_for6kernelILj256ENS1_11__transform17unary_transform_fINS0_6detail15normal_iteratorINS0_10device_ptrINS0_5tupleIffNS0_9null_typeESA_SA_SA_SA_SA_SA_SA_EEEEEENS7_INS8_IjEEEENS4_14no_stencil_tagE21point_to_bucket_indexNS4_21always_true_predicateEEElLj1EEEvT0_T1_SL_.has_dyn_sized_stack, 0
	.set _ZN6thrust23THRUST_200600_302600_NS11hip_rocprim14__parallel_for6kernelILj256ENS1_11__transform17unary_transform_fINS0_6detail15normal_iteratorINS0_10device_ptrINS0_5tupleIffNS0_9null_typeESA_SA_SA_SA_SA_SA_SA_EEEEEENS7_INS8_IjEEEENS4_14no_stencil_tagE21point_to_bucket_indexNS4_21always_true_predicateEEElLj1EEEvT0_T1_SL_.has_recursion, 0
	.set _ZN6thrust23THRUST_200600_302600_NS11hip_rocprim14__parallel_for6kernelILj256ENS1_11__transform17unary_transform_fINS0_6detail15normal_iteratorINS0_10device_ptrINS0_5tupleIffNS0_9null_typeESA_SA_SA_SA_SA_SA_SA_EEEEEENS7_INS8_IjEEEENS4_14no_stencil_tagE21point_to_bucket_indexNS4_21always_true_predicateEEElLj1EEEvT0_T1_SL_.has_indirect_call, 0
	.section	.AMDGPU.csdata,"",@progbits
; Kernel info:
; codeLenInByte = 432
; TotalNumSgprs: 14
; NumVgprs: 5
; ScratchSize: 0
; MemoryBound: 0
; FloatMode: 240
; IeeeMode: 1
; LDSByteSize: 0 bytes/workgroup (compile time only)
; SGPRBlocks: 0
; VGPRBlocks: 0
; NumSGPRsForWavesPerEU: 14
; NumVGPRsForWavesPerEU: 5
; Occupancy: 16
; WaveLimiterHint : 0
; COMPUTE_PGM_RSRC2:SCRATCH_EN: 0
; COMPUTE_PGM_RSRC2:USER_SGPR: 2
; COMPUTE_PGM_RSRC2:TRAP_HANDLER: 0
; COMPUTE_PGM_RSRC2:TGID_X_EN: 1
; COMPUTE_PGM_RSRC2:TGID_Y_EN: 0
; COMPUTE_PGM_RSRC2:TGID_Z_EN: 0
; COMPUTE_PGM_RSRC2:TIDIG_COMP_CNT: 0
	.section	.text._ZN7rocprim17ROCPRIM_400000_NS6detail17trampoline_kernelINS0_13kernel_configILj256ELj4ELj4294967295EEENS1_37radix_sort_block_sort_config_selectorIjN6thrust23THRUST_200600_302600_NS5tupleIffNS7_9null_typeES9_S9_S9_S9_S9_S9_S9_EEEEZNS1_21radix_sort_block_sortIS4_Lb0ENS7_6detail15normal_iteratorINS7_10device_ptrIjEEEESH_NSE_INSF_ISA_EEEESJ_NS0_19identity_decomposerEEE10hipError_tT1_T2_T3_T4_jRjT5_jjP12ihipStream_tbEUlT_E_NS1_11comp_targetILNS1_3genE0ELNS1_11target_archE4294967295ELNS1_3gpuE0ELNS1_3repE0EEENS1_44radix_sort_block_sort_config_static_selectorELNS0_4arch9wavefront6targetE0EEEvSM_,"axG",@progbits,_ZN7rocprim17ROCPRIM_400000_NS6detail17trampoline_kernelINS0_13kernel_configILj256ELj4ELj4294967295EEENS1_37radix_sort_block_sort_config_selectorIjN6thrust23THRUST_200600_302600_NS5tupleIffNS7_9null_typeES9_S9_S9_S9_S9_S9_S9_EEEEZNS1_21radix_sort_block_sortIS4_Lb0ENS7_6detail15normal_iteratorINS7_10device_ptrIjEEEESH_NSE_INSF_ISA_EEEESJ_NS0_19identity_decomposerEEE10hipError_tT1_T2_T3_T4_jRjT5_jjP12ihipStream_tbEUlT_E_NS1_11comp_targetILNS1_3genE0ELNS1_11target_archE4294967295ELNS1_3gpuE0ELNS1_3repE0EEENS1_44radix_sort_block_sort_config_static_selectorELNS0_4arch9wavefront6targetE0EEEvSM_,comdat
	.protected	_ZN7rocprim17ROCPRIM_400000_NS6detail17trampoline_kernelINS0_13kernel_configILj256ELj4ELj4294967295EEENS1_37radix_sort_block_sort_config_selectorIjN6thrust23THRUST_200600_302600_NS5tupleIffNS7_9null_typeES9_S9_S9_S9_S9_S9_S9_EEEEZNS1_21radix_sort_block_sortIS4_Lb0ENS7_6detail15normal_iteratorINS7_10device_ptrIjEEEESH_NSE_INSF_ISA_EEEESJ_NS0_19identity_decomposerEEE10hipError_tT1_T2_T3_T4_jRjT5_jjP12ihipStream_tbEUlT_E_NS1_11comp_targetILNS1_3genE0ELNS1_11target_archE4294967295ELNS1_3gpuE0ELNS1_3repE0EEENS1_44radix_sort_block_sort_config_static_selectorELNS0_4arch9wavefront6targetE0EEEvSM_ ; -- Begin function _ZN7rocprim17ROCPRIM_400000_NS6detail17trampoline_kernelINS0_13kernel_configILj256ELj4ELj4294967295EEENS1_37radix_sort_block_sort_config_selectorIjN6thrust23THRUST_200600_302600_NS5tupleIffNS7_9null_typeES9_S9_S9_S9_S9_S9_S9_EEEEZNS1_21radix_sort_block_sortIS4_Lb0ENS7_6detail15normal_iteratorINS7_10device_ptrIjEEEESH_NSE_INSF_ISA_EEEESJ_NS0_19identity_decomposerEEE10hipError_tT1_T2_T3_T4_jRjT5_jjP12ihipStream_tbEUlT_E_NS1_11comp_targetILNS1_3genE0ELNS1_11target_archE4294967295ELNS1_3gpuE0ELNS1_3repE0EEENS1_44radix_sort_block_sort_config_static_selectorELNS0_4arch9wavefront6targetE0EEEvSM_
	.globl	_ZN7rocprim17ROCPRIM_400000_NS6detail17trampoline_kernelINS0_13kernel_configILj256ELj4ELj4294967295EEENS1_37radix_sort_block_sort_config_selectorIjN6thrust23THRUST_200600_302600_NS5tupleIffNS7_9null_typeES9_S9_S9_S9_S9_S9_S9_EEEEZNS1_21radix_sort_block_sortIS4_Lb0ENS7_6detail15normal_iteratorINS7_10device_ptrIjEEEESH_NSE_INSF_ISA_EEEESJ_NS0_19identity_decomposerEEE10hipError_tT1_T2_T3_T4_jRjT5_jjP12ihipStream_tbEUlT_E_NS1_11comp_targetILNS1_3genE0ELNS1_11target_archE4294967295ELNS1_3gpuE0ELNS1_3repE0EEENS1_44radix_sort_block_sort_config_static_selectorELNS0_4arch9wavefront6targetE0EEEvSM_
	.p2align	8
	.type	_ZN7rocprim17ROCPRIM_400000_NS6detail17trampoline_kernelINS0_13kernel_configILj256ELj4ELj4294967295EEENS1_37radix_sort_block_sort_config_selectorIjN6thrust23THRUST_200600_302600_NS5tupleIffNS7_9null_typeES9_S9_S9_S9_S9_S9_S9_EEEEZNS1_21radix_sort_block_sortIS4_Lb0ENS7_6detail15normal_iteratorINS7_10device_ptrIjEEEESH_NSE_INSF_ISA_EEEESJ_NS0_19identity_decomposerEEE10hipError_tT1_T2_T3_T4_jRjT5_jjP12ihipStream_tbEUlT_E_NS1_11comp_targetILNS1_3genE0ELNS1_11target_archE4294967295ELNS1_3gpuE0ELNS1_3repE0EEENS1_44radix_sort_block_sort_config_static_selectorELNS0_4arch9wavefront6targetE0EEEvSM_,@function
_ZN7rocprim17ROCPRIM_400000_NS6detail17trampoline_kernelINS0_13kernel_configILj256ELj4ELj4294967295EEENS1_37radix_sort_block_sort_config_selectorIjN6thrust23THRUST_200600_302600_NS5tupleIffNS7_9null_typeES9_S9_S9_S9_S9_S9_S9_EEEEZNS1_21radix_sort_block_sortIS4_Lb0ENS7_6detail15normal_iteratorINS7_10device_ptrIjEEEESH_NSE_INSF_ISA_EEEESJ_NS0_19identity_decomposerEEE10hipError_tT1_T2_T3_T4_jRjT5_jjP12ihipStream_tbEUlT_E_NS1_11comp_targetILNS1_3genE0ELNS1_11target_archE4294967295ELNS1_3gpuE0ELNS1_3repE0EEENS1_44radix_sort_block_sort_config_static_selectorELNS0_4arch9wavefront6targetE0EEEvSM_: ; @_ZN7rocprim17ROCPRIM_400000_NS6detail17trampoline_kernelINS0_13kernel_configILj256ELj4ELj4294967295EEENS1_37radix_sort_block_sort_config_selectorIjN6thrust23THRUST_200600_302600_NS5tupleIffNS7_9null_typeES9_S9_S9_S9_S9_S9_S9_EEEEZNS1_21radix_sort_block_sortIS4_Lb0ENS7_6detail15normal_iteratorINS7_10device_ptrIjEEEESH_NSE_INSF_ISA_EEEESJ_NS0_19identity_decomposerEEE10hipError_tT1_T2_T3_T4_jRjT5_jjP12ihipStream_tbEUlT_E_NS1_11comp_targetILNS1_3genE0ELNS1_11target_archE4294967295ELNS1_3gpuE0ELNS1_3repE0EEENS1_44radix_sort_block_sort_config_static_selectorELNS0_4arch9wavefront6targetE0EEEvSM_
; %bb.0:
	.section	.rodata,"a",@progbits
	.p2align	6, 0x0
	.amdhsa_kernel _ZN7rocprim17ROCPRIM_400000_NS6detail17trampoline_kernelINS0_13kernel_configILj256ELj4ELj4294967295EEENS1_37radix_sort_block_sort_config_selectorIjN6thrust23THRUST_200600_302600_NS5tupleIffNS7_9null_typeES9_S9_S9_S9_S9_S9_S9_EEEEZNS1_21radix_sort_block_sortIS4_Lb0ENS7_6detail15normal_iteratorINS7_10device_ptrIjEEEESH_NSE_INSF_ISA_EEEESJ_NS0_19identity_decomposerEEE10hipError_tT1_T2_T3_T4_jRjT5_jjP12ihipStream_tbEUlT_E_NS1_11comp_targetILNS1_3genE0ELNS1_11target_archE4294967295ELNS1_3gpuE0ELNS1_3repE0EEENS1_44radix_sort_block_sort_config_static_selectorELNS0_4arch9wavefront6targetE0EEEvSM_
		.amdhsa_group_segment_fixed_size 0
		.amdhsa_private_segment_fixed_size 0
		.amdhsa_kernarg_size 48
		.amdhsa_user_sgpr_count 2
		.amdhsa_user_sgpr_dispatch_ptr 0
		.amdhsa_user_sgpr_queue_ptr 0
		.amdhsa_user_sgpr_kernarg_segment_ptr 1
		.amdhsa_user_sgpr_dispatch_id 0
		.amdhsa_user_sgpr_private_segment_size 0
		.amdhsa_wavefront_size32 1
		.amdhsa_uses_dynamic_stack 0
		.amdhsa_enable_private_segment 0
		.amdhsa_system_sgpr_workgroup_id_x 1
		.amdhsa_system_sgpr_workgroup_id_y 0
		.amdhsa_system_sgpr_workgroup_id_z 0
		.amdhsa_system_sgpr_workgroup_info 0
		.amdhsa_system_vgpr_workitem_id 0
		.amdhsa_next_free_vgpr 1
		.amdhsa_next_free_sgpr 1
		.amdhsa_reserve_vcc 0
		.amdhsa_float_round_mode_32 0
		.amdhsa_float_round_mode_16_64 0
		.amdhsa_float_denorm_mode_32 3
		.amdhsa_float_denorm_mode_16_64 3
		.amdhsa_fp16_overflow 0
		.amdhsa_workgroup_processor_mode 1
		.amdhsa_memory_ordered 1
		.amdhsa_forward_progress 1
		.amdhsa_inst_pref_size 0
		.amdhsa_round_robin_scheduling 0
		.amdhsa_exception_fp_ieee_invalid_op 0
		.amdhsa_exception_fp_denorm_src 0
		.amdhsa_exception_fp_ieee_div_zero 0
		.amdhsa_exception_fp_ieee_overflow 0
		.amdhsa_exception_fp_ieee_underflow 0
		.amdhsa_exception_fp_ieee_inexact 0
		.amdhsa_exception_int_div_zero 0
	.end_amdhsa_kernel
	.section	.text._ZN7rocprim17ROCPRIM_400000_NS6detail17trampoline_kernelINS0_13kernel_configILj256ELj4ELj4294967295EEENS1_37radix_sort_block_sort_config_selectorIjN6thrust23THRUST_200600_302600_NS5tupleIffNS7_9null_typeES9_S9_S9_S9_S9_S9_S9_EEEEZNS1_21radix_sort_block_sortIS4_Lb0ENS7_6detail15normal_iteratorINS7_10device_ptrIjEEEESH_NSE_INSF_ISA_EEEESJ_NS0_19identity_decomposerEEE10hipError_tT1_T2_T3_T4_jRjT5_jjP12ihipStream_tbEUlT_E_NS1_11comp_targetILNS1_3genE0ELNS1_11target_archE4294967295ELNS1_3gpuE0ELNS1_3repE0EEENS1_44radix_sort_block_sort_config_static_selectorELNS0_4arch9wavefront6targetE0EEEvSM_,"axG",@progbits,_ZN7rocprim17ROCPRIM_400000_NS6detail17trampoline_kernelINS0_13kernel_configILj256ELj4ELj4294967295EEENS1_37radix_sort_block_sort_config_selectorIjN6thrust23THRUST_200600_302600_NS5tupleIffNS7_9null_typeES9_S9_S9_S9_S9_S9_S9_EEEEZNS1_21radix_sort_block_sortIS4_Lb0ENS7_6detail15normal_iteratorINS7_10device_ptrIjEEEESH_NSE_INSF_ISA_EEEESJ_NS0_19identity_decomposerEEE10hipError_tT1_T2_T3_T4_jRjT5_jjP12ihipStream_tbEUlT_E_NS1_11comp_targetILNS1_3genE0ELNS1_11target_archE4294967295ELNS1_3gpuE0ELNS1_3repE0EEENS1_44radix_sort_block_sort_config_static_selectorELNS0_4arch9wavefront6targetE0EEEvSM_,comdat
.Lfunc_end7:
	.size	_ZN7rocprim17ROCPRIM_400000_NS6detail17trampoline_kernelINS0_13kernel_configILj256ELj4ELj4294967295EEENS1_37radix_sort_block_sort_config_selectorIjN6thrust23THRUST_200600_302600_NS5tupleIffNS7_9null_typeES9_S9_S9_S9_S9_S9_S9_EEEEZNS1_21radix_sort_block_sortIS4_Lb0ENS7_6detail15normal_iteratorINS7_10device_ptrIjEEEESH_NSE_INSF_ISA_EEEESJ_NS0_19identity_decomposerEEE10hipError_tT1_T2_T3_T4_jRjT5_jjP12ihipStream_tbEUlT_E_NS1_11comp_targetILNS1_3genE0ELNS1_11target_archE4294967295ELNS1_3gpuE0ELNS1_3repE0EEENS1_44radix_sort_block_sort_config_static_selectorELNS0_4arch9wavefront6targetE0EEEvSM_, .Lfunc_end7-_ZN7rocprim17ROCPRIM_400000_NS6detail17trampoline_kernelINS0_13kernel_configILj256ELj4ELj4294967295EEENS1_37radix_sort_block_sort_config_selectorIjN6thrust23THRUST_200600_302600_NS5tupleIffNS7_9null_typeES9_S9_S9_S9_S9_S9_S9_EEEEZNS1_21radix_sort_block_sortIS4_Lb0ENS7_6detail15normal_iteratorINS7_10device_ptrIjEEEESH_NSE_INSF_ISA_EEEESJ_NS0_19identity_decomposerEEE10hipError_tT1_T2_T3_T4_jRjT5_jjP12ihipStream_tbEUlT_E_NS1_11comp_targetILNS1_3genE0ELNS1_11target_archE4294967295ELNS1_3gpuE0ELNS1_3repE0EEENS1_44radix_sort_block_sort_config_static_selectorELNS0_4arch9wavefront6targetE0EEEvSM_
                                        ; -- End function
	.set _ZN7rocprim17ROCPRIM_400000_NS6detail17trampoline_kernelINS0_13kernel_configILj256ELj4ELj4294967295EEENS1_37radix_sort_block_sort_config_selectorIjN6thrust23THRUST_200600_302600_NS5tupleIffNS7_9null_typeES9_S9_S9_S9_S9_S9_S9_EEEEZNS1_21radix_sort_block_sortIS4_Lb0ENS7_6detail15normal_iteratorINS7_10device_ptrIjEEEESH_NSE_INSF_ISA_EEEESJ_NS0_19identity_decomposerEEE10hipError_tT1_T2_T3_T4_jRjT5_jjP12ihipStream_tbEUlT_E_NS1_11comp_targetILNS1_3genE0ELNS1_11target_archE4294967295ELNS1_3gpuE0ELNS1_3repE0EEENS1_44radix_sort_block_sort_config_static_selectorELNS0_4arch9wavefront6targetE0EEEvSM_.num_vgpr, 0
	.set _ZN7rocprim17ROCPRIM_400000_NS6detail17trampoline_kernelINS0_13kernel_configILj256ELj4ELj4294967295EEENS1_37radix_sort_block_sort_config_selectorIjN6thrust23THRUST_200600_302600_NS5tupleIffNS7_9null_typeES9_S9_S9_S9_S9_S9_S9_EEEEZNS1_21radix_sort_block_sortIS4_Lb0ENS7_6detail15normal_iteratorINS7_10device_ptrIjEEEESH_NSE_INSF_ISA_EEEESJ_NS0_19identity_decomposerEEE10hipError_tT1_T2_T3_T4_jRjT5_jjP12ihipStream_tbEUlT_E_NS1_11comp_targetILNS1_3genE0ELNS1_11target_archE4294967295ELNS1_3gpuE0ELNS1_3repE0EEENS1_44radix_sort_block_sort_config_static_selectorELNS0_4arch9wavefront6targetE0EEEvSM_.num_agpr, 0
	.set _ZN7rocprim17ROCPRIM_400000_NS6detail17trampoline_kernelINS0_13kernel_configILj256ELj4ELj4294967295EEENS1_37radix_sort_block_sort_config_selectorIjN6thrust23THRUST_200600_302600_NS5tupleIffNS7_9null_typeES9_S9_S9_S9_S9_S9_S9_EEEEZNS1_21radix_sort_block_sortIS4_Lb0ENS7_6detail15normal_iteratorINS7_10device_ptrIjEEEESH_NSE_INSF_ISA_EEEESJ_NS0_19identity_decomposerEEE10hipError_tT1_T2_T3_T4_jRjT5_jjP12ihipStream_tbEUlT_E_NS1_11comp_targetILNS1_3genE0ELNS1_11target_archE4294967295ELNS1_3gpuE0ELNS1_3repE0EEENS1_44radix_sort_block_sort_config_static_selectorELNS0_4arch9wavefront6targetE0EEEvSM_.numbered_sgpr, 0
	.set _ZN7rocprim17ROCPRIM_400000_NS6detail17trampoline_kernelINS0_13kernel_configILj256ELj4ELj4294967295EEENS1_37radix_sort_block_sort_config_selectorIjN6thrust23THRUST_200600_302600_NS5tupleIffNS7_9null_typeES9_S9_S9_S9_S9_S9_S9_EEEEZNS1_21radix_sort_block_sortIS4_Lb0ENS7_6detail15normal_iteratorINS7_10device_ptrIjEEEESH_NSE_INSF_ISA_EEEESJ_NS0_19identity_decomposerEEE10hipError_tT1_T2_T3_T4_jRjT5_jjP12ihipStream_tbEUlT_E_NS1_11comp_targetILNS1_3genE0ELNS1_11target_archE4294967295ELNS1_3gpuE0ELNS1_3repE0EEENS1_44radix_sort_block_sort_config_static_selectorELNS0_4arch9wavefront6targetE0EEEvSM_.num_named_barrier, 0
	.set _ZN7rocprim17ROCPRIM_400000_NS6detail17trampoline_kernelINS0_13kernel_configILj256ELj4ELj4294967295EEENS1_37radix_sort_block_sort_config_selectorIjN6thrust23THRUST_200600_302600_NS5tupleIffNS7_9null_typeES9_S9_S9_S9_S9_S9_S9_EEEEZNS1_21radix_sort_block_sortIS4_Lb0ENS7_6detail15normal_iteratorINS7_10device_ptrIjEEEESH_NSE_INSF_ISA_EEEESJ_NS0_19identity_decomposerEEE10hipError_tT1_T2_T3_T4_jRjT5_jjP12ihipStream_tbEUlT_E_NS1_11comp_targetILNS1_3genE0ELNS1_11target_archE4294967295ELNS1_3gpuE0ELNS1_3repE0EEENS1_44radix_sort_block_sort_config_static_selectorELNS0_4arch9wavefront6targetE0EEEvSM_.private_seg_size, 0
	.set _ZN7rocprim17ROCPRIM_400000_NS6detail17trampoline_kernelINS0_13kernel_configILj256ELj4ELj4294967295EEENS1_37radix_sort_block_sort_config_selectorIjN6thrust23THRUST_200600_302600_NS5tupleIffNS7_9null_typeES9_S9_S9_S9_S9_S9_S9_EEEEZNS1_21radix_sort_block_sortIS4_Lb0ENS7_6detail15normal_iteratorINS7_10device_ptrIjEEEESH_NSE_INSF_ISA_EEEESJ_NS0_19identity_decomposerEEE10hipError_tT1_T2_T3_T4_jRjT5_jjP12ihipStream_tbEUlT_E_NS1_11comp_targetILNS1_3genE0ELNS1_11target_archE4294967295ELNS1_3gpuE0ELNS1_3repE0EEENS1_44radix_sort_block_sort_config_static_selectorELNS0_4arch9wavefront6targetE0EEEvSM_.uses_vcc, 0
	.set _ZN7rocprim17ROCPRIM_400000_NS6detail17trampoline_kernelINS0_13kernel_configILj256ELj4ELj4294967295EEENS1_37radix_sort_block_sort_config_selectorIjN6thrust23THRUST_200600_302600_NS5tupleIffNS7_9null_typeES9_S9_S9_S9_S9_S9_S9_EEEEZNS1_21radix_sort_block_sortIS4_Lb0ENS7_6detail15normal_iteratorINS7_10device_ptrIjEEEESH_NSE_INSF_ISA_EEEESJ_NS0_19identity_decomposerEEE10hipError_tT1_T2_T3_T4_jRjT5_jjP12ihipStream_tbEUlT_E_NS1_11comp_targetILNS1_3genE0ELNS1_11target_archE4294967295ELNS1_3gpuE0ELNS1_3repE0EEENS1_44radix_sort_block_sort_config_static_selectorELNS0_4arch9wavefront6targetE0EEEvSM_.uses_flat_scratch, 0
	.set _ZN7rocprim17ROCPRIM_400000_NS6detail17trampoline_kernelINS0_13kernel_configILj256ELj4ELj4294967295EEENS1_37radix_sort_block_sort_config_selectorIjN6thrust23THRUST_200600_302600_NS5tupleIffNS7_9null_typeES9_S9_S9_S9_S9_S9_S9_EEEEZNS1_21radix_sort_block_sortIS4_Lb0ENS7_6detail15normal_iteratorINS7_10device_ptrIjEEEESH_NSE_INSF_ISA_EEEESJ_NS0_19identity_decomposerEEE10hipError_tT1_T2_T3_T4_jRjT5_jjP12ihipStream_tbEUlT_E_NS1_11comp_targetILNS1_3genE0ELNS1_11target_archE4294967295ELNS1_3gpuE0ELNS1_3repE0EEENS1_44radix_sort_block_sort_config_static_selectorELNS0_4arch9wavefront6targetE0EEEvSM_.has_dyn_sized_stack, 0
	.set _ZN7rocprim17ROCPRIM_400000_NS6detail17trampoline_kernelINS0_13kernel_configILj256ELj4ELj4294967295EEENS1_37radix_sort_block_sort_config_selectorIjN6thrust23THRUST_200600_302600_NS5tupleIffNS7_9null_typeES9_S9_S9_S9_S9_S9_S9_EEEEZNS1_21radix_sort_block_sortIS4_Lb0ENS7_6detail15normal_iteratorINS7_10device_ptrIjEEEESH_NSE_INSF_ISA_EEEESJ_NS0_19identity_decomposerEEE10hipError_tT1_T2_T3_T4_jRjT5_jjP12ihipStream_tbEUlT_E_NS1_11comp_targetILNS1_3genE0ELNS1_11target_archE4294967295ELNS1_3gpuE0ELNS1_3repE0EEENS1_44radix_sort_block_sort_config_static_selectorELNS0_4arch9wavefront6targetE0EEEvSM_.has_recursion, 0
	.set _ZN7rocprim17ROCPRIM_400000_NS6detail17trampoline_kernelINS0_13kernel_configILj256ELj4ELj4294967295EEENS1_37radix_sort_block_sort_config_selectorIjN6thrust23THRUST_200600_302600_NS5tupleIffNS7_9null_typeES9_S9_S9_S9_S9_S9_S9_EEEEZNS1_21radix_sort_block_sortIS4_Lb0ENS7_6detail15normal_iteratorINS7_10device_ptrIjEEEESH_NSE_INSF_ISA_EEEESJ_NS0_19identity_decomposerEEE10hipError_tT1_T2_T3_T4_jRjT5_jjP12ihipStream_tbEUlT_E_NS1_11comp_targetILNS1_3genE0ELNS1_11target_archE4294967295ELNS1_3gpuE0ELNS1_3repE0EEENS1_44radix_sort_block_sort_config_static_selectorELNS0_4arch9wavefront6targetE0EEEvSM_.has_indirect_call, 0
	.section	.AMDGPU.csdata,"",@progbits
; Kernel info:
; codeLenInByte = 0
; TotalNumSgprs: 0
; NumVgprs: 0
; ScratchSize: 0
; MemoryBound: 0
; FloatMode: 240
; IeeeMode: 1
; LDSByteSize: 0 bytes/workgroup (compile time only)
; SGPRBlocks: 0
; VGPRBlocks: 0
; NumSGPRsForWavesPerEU: 1
; NumVGPRsForWavesPerEU: 1
; Occupancy: 16
; WaveLimiterHint : 0
; COMPUTE_PGM_RSRC2:SCRATCH_EN: 0
; COMPUTE_PGM_RSRC2:USER_SGPR: 2
; COMPUTE_PGM_RSRC2:TRAP_HANDLER: 0
; COMPUTE_PGM_RSRC2:TGID_X_EN: 1
; COMPUTE_PGM_RSRC2:TGID_Y_EN: 0
; COMPUTE_PGM_RSRC2:TGID_Z_EN: 0
; COMPUTE_PGM_RSRC2:TIDIG_COMP_CNT: 0
	.section	.text._ZN7rocprim17ROCPRIM_400000_NS6detail17trampoline_kernelINS0_13kernel_configILj256ELj4ELj4294967295EEENS1_37radix_sort_block_sort_config_selectorIjN6thrust23THRUST_200600_302600_NS5tupleIffNS7_9null_typeES9_S9_S9_S9_S9_S9_S9_EEEEZNS1_21radix_sort_block_sortIS4_Lb0ENS7_6detail15normal_iteratorINS7_10device_ptrIjEEEESH_NSE_INSF_ISA_EEEESJ_NS0_19identity_decomposerEEE10hipError_tT1_T2_T3_T4_jRjT5_jjP12ihipStream_tbEUlT_E_NS1_11comp_targetILNS1_3genE5ELNS1_11target_archE942ELNS1_3gpuE9ELNS1_3repE0EEENS1_44radix_sort_block_sort_config_static_selectorELNS0_4arch9wavefront6targetE0EEEvSM_,"axG",@progbits,_ZN7rocprim17ROCPRIM_400000_NS6detail17trampoline_kernelINS0_13kernel_configILj256ELj4ELj4294967295EEENS1_37radix_sort_block_sort_config_selectorIjN6thrust23THRUST_200600_302600_NS5tupleIffNS7_9null_typeES9_S9_S9_S9_S9_S9_S9_EEEEZNS1_21radix_sort_block_sortIS4_Lb0ENS7_6detail15normal_iteratorINS7_10device_ptrIjEEEESH_NSE_INSF_ISA_EEEESJ_NS0_19identity_decomposerEEE10hipError_tT1_T2_T3_T4_jRjT5_jjP12ihipStream_tbEUlT_E_NS1_11comp_targetILNS1_3genE5ELNS1_11target_archE942ELNS1_3gpuE9ELNS1_3repE0EEENS1_44radix_sort_block_sort_config_static_selectorELNS0_4arch9wavefront6targetE0EEEvSM_,comdat
	.protected	_ZN7rocprim17ROCPRIM_400000_NS6detail17trampoline_kernelINS0_13kernel_configILj256ELj4ELj4294967295EEENS1_37radix_sort_block_sort_config_selectorIjN6thrust23THRUST_200600_302600_NS5tupleIffNS7_9null_typeES9_S9_S9_S9_S9_S9_S9_EEEEZNS1_21radix_sort_block_sortIS4_Lb0ENS7_6detail15normal_iteratorINS7_10device_ptrIjEEEESH_NSE_INSF_ISA_EEEESJ_NS0_19identity_decomposerEEE10hipError_tT1_T2_T3_T4_jRjT5_jjP12ihipStream_tbEUlT_E_NS1_11comp_targetILNS1_3genE5ELNS1_11target_archE942ELNS1_3gpuE9ELNS1_3repE0EEENS1_44radix_sort_block_sort_config_static_selectorELNS0_4arch9wavefront6targetE0EEEvSM_ ; -- Begin function _ZN7rocprim17ROCPRIM_400000_NS6detail17trampoline_kernelINS0_13kernel_configILj256ELj4ELj4294967295EEENS1_37radix_sort_block_sort_config_selectorIjN6thrust23THRUST_200600_302600_NS5tupleIffNS7_9null_typeES9_S9_S9_S9_S9_S9_S9_EEEEZNS1_21radix_sort_block_sortIS4_Lb0ENS7_6detail15normal_iteratorINS7_10device_ptrIjEEEESH_NSE_INSF_ISA_EEEESJ_NS0_19identity_decomposerEEE10hipError_tT1_T2_T3_T4_jRjT5_jjP12ihipStream_tbEUlT_E_NS1_11comp_targetILNS1_3genE5ELNS1_11target_archE942ELNS1_3gpuE9ELNS1_3repE0EEENS1_44radix_sort_block_sort_config_static_selectorELNS0_4arch9wavefront6targetE0EEEvSM_
	.globl	_ZN7rocprim17ROCPRIM_400000_NS6detail17trampoline_kernelINS0_13kernel_configILj256ELj4ELj4294967295EEENS1_37radix_sort_block_sort_config_selectorIjN6thrust23THRUST_200600_302600_NS5tupleIffNS7_9null_typeES9_S9_S9_S9_S9_S9_S9_EEEEZNS1_21radix_sort_block_sortIS4_Lb0ENS7_6detail15normal_iteratorINS7_10device_ptrIjEEEESH_NSE_INSF_ISA_EEEESJ_NS0_19identity_decomposerEEE10hipError_tT1_T2_T3_T4_jRjT5_jjP12ihipStream_tbEUlT_E_NS1_11comp_targetILNS1_3genE5ELNS1_11target_archE942ELNS1_3gpuE9ELNS1_3repE0EEENS1_44radix_sort_block_sort_config_static_selectorELNS0_4arch9wavefront6targetE0EEEvSM_
	.p2align	8
	.type	_ZN7rocprim17ROCPRIM_400000_NS6detail17trampoline_kernelINS0_13kernel_configILj256ELj4ELj4294967295EEENS1_37radix_sort_block_sort_config_selectorIjN6thrust23THRUST_200600_302600_NS5tupleIffNS7_9null_typeES9_S9_S9_S9_S9_S9_S9_EEEEZNS1_21radix_sort_block_sortIS4_Lb0ENS7_6detail15normal_iteratorINS7_10device_ptrIjEEEESH_NSE_INSF_ISA_EEEESJ_NS0_19identity_decomposerEEE10hipError_tT1_T2_T3_T4_jRjT5_jjP12ihipStream_tbEUlT_E_NS1_11comp_targetILNS1_3genE5ELNS1_11target_archE942ELNS1_3gpuE9ELNS1_3repE0EEENS1_44radix_sort_block_sort_config_static_selectorELNS0_4arch9wavefront6targetE0EEEvSM_,@function
_ZN7rocprim17ROCPRIM_400000_NS6detail17trampoline_kernelINS0_13kernel_configILj256ELj4ELj4294967295EEENS1_37radix_sort_block_sort_config_selectorIjN6thrust23THRUST_200600_302600_NS5tupleIffNS7_9null_typeES9_S9_S9_S9_S9_S9_S9_EEEEZNS1_21radix_sort_block_sortIS4_Lb0ENS7_6detail15normal_iteratorINS7_10device_ptrIjEEEESH_NSE_INSF_ISA_EEEESJ_NS0_19identity_decomposerEEE10hipError_tT1_T2_T3_T4_jRjT5_jjP12ihipStream_tbEUlT_E_NS1_11comp_targetILNS1_3genE5ELNS1_11target_archE942ELNS1_3gpuE9ELNS1_3repE0EEENS1_44radix_sort_block_sort_config_static_selectorELNS0_4arch9wavefront6targetE0EEEvSM_: ; @_ZN7rocprim17ROCPRIM_400000_NS6detail17trampoline_kernelINS0_13kernel_configILj256ELj4ELj4294967295EEENS1_37radix_sort_block_sort_config_selectorIjN6thrust23THRUST_200600_302600_NS5tupleIffNS7_9null_typeES9_S9_S9_S9_S9_S9_S9_EEEEZNS1_21radix_sort_block_sortIS4_Lb0ENS7_6detail15normal_iteratorINS7_10device_ptrIjEEEESH_NSE_INSF_ISA_EEEESJ_NS0_19identity_decomposerEEE10hipError_tT1_T2_T3_T4_jRjT5_jjP12ihipStream_tbEUlT_E_NS1_11comp_targetILNS1_3genE5ELNS1_11target_archE942ELNS1_3gpuE9ELNS1_3repE0EEENS1_44radix_sort_block_sort_config_static_selectorELNS0_4arch9wavefront6targetE0EEEvSM_
; %bb.0:
	.section	.rodata,"a",@progbits
	.p2align	6, 0x0
	.amdhsa_kernel _ZN7rocprim17ROCPRIM_400000_NS6detail17trampoline_kernelINS0_13kernel_configILj256ELj4ELj4294967295EEENS1_37radix_sort_block_sort_config_selectorIjN6thrust23THRUST_200600_302600_NS5tupleIffNS7_9null_typeES9_S9_S9_S9_S9_S9_S9_EEEEZNS1_21radix_sort_block_sortIS4_Lb0ENS7_6detail15normal_iteratorINS7_10device_ptrIjEEEESH_NSE_INSF_ISA_EEEESJ_NS0_19identity_decomposerEEE10hipError_tT1_T2_T3_T4_jRjT5_jjP12ihipStream_tbEUlT_E_NS1_11comp_targetILNS1_3genE5ELNS1_11target_archE942ELNS1_3gpuE9ELNS1_3repE0EEENS1_44radix_sort_block_sort_config_static_selectorELNS0_4arch9wavefront6targetE0EEEvSM_
		.amdhsa_group_segment_fixed_size 0
		.amdhsa_private_segment_fixed_size 0
		.amdhsa_kernarg_size 48
		.amdhsa_user_sgpr_count 2
		.amdhsa_user_sgpr_dispatch_ptr 0
		.amdhsa_user_sgpr_queue_ptr 0
		.amdhsa_user_sgpr_kernarg_segment_ptr 1
		.amdhsa_user_sgpr_dispatch_id 0
		.amdhsa_user_sgpr_private_segment_size 0
		.amdhsa_wavefront_size32 1
		.amdhsa_uses_dynamic_stack 0
		.amdhsa_enable_private_segment 0
		.amdhsa_system_sgpr_workgroup_id_x 1
		.amdhsa_system_sgpr_workgroup_id_y 0
		.amdhsa_system_sgpr_workgroup_id_z 0
		.amdhsa_system_sgpr_workgroup_info 0
		.amdhsa_system_vgpr_workitem_id 0
		.amdhsa_next_free_vgpr 1
		.amdhsa_next_free_sgpr 1
		.amdhsa_reserve_vcc 0
		.amdhsa_float_round_mode_32 0
		.amdhsa_float_round_mode_16_64 0
		.amdhsa_float_denorm_mode_32 3
		.amdhsa_float_denorm_mode_16_64 3
		.amdhsa_fp16_overflow 0
		.amdhsa_workgroup_processor_mode 1
		.amdhsa_memory_ordered 1
		.amdhsa_forward_progress 1
		.amdhsa_inst_pref_size 0
		.amdhsa_round_robin_scheduling 0
		.amdhsa_exception_fp_ieee_invalid_op 0
		.amdhsa_exception_fp_denorm_src 0
		.amdhsa_exception_fp_ieee_div_zero 0
		.amdhsa_exception_fp_ieee_overflow 0
		.amdhsa_exception_fp_ieee_underflow 0
		.amdhsa_exception_fp_ieee_inexact 0
		.amdhsa_exception_int_div_zero 0
	.end_amdhsa_kernel
	.section	.text._ZN7rocprim17ROCPRIM_400000_NS6detail17trampoline_kernelINS0_13kernel_configILj256ELj4ELj4294967295EEENS1_37radix_sort_block_sort_config_selectorIjN6thrust23THRUST_200600_302600_NS5tupleIffNS7_9null_typeES9_S9_S9_S9_S9_S9_S9_EEEEZNS1_21radix_sort_block_sortIS4_Lb0ENS7_6detail15normal_iteratorINS7_10device_ptrIjEEEESH_NSE_INSF_ISA_EEEESJ_NS0_19identity_decomposerEEE10hipError_tT1_T2_T3_T4_jRjT5_jjP12ihipStream_tbEUlT_E_NS1_11comp_targetILNS1_3genE5ELNS1_11target_archE942ELNS1_3gpuE9ELNS1_3repE0EEENS1_44radix_sort_block_sort_config_static_selectorELNS0_4arch9wavefront6targetE0EEEvSM_,"axG",@progbits,_ZN7rocprim17ROCPRIM_400000_NS6detail17trampoline_kernelINS0_13kernel_configILj256ELj4ELj4294967295EEENS1_37radix_sort_block_sort_config_selectorIjN6thrust23THRUST_200600_302600_NS5tupleIffNS7_9null_typeES9_S9_S9_S9_S9_S9_S9_EEEEZNS1_21radix_sort_block_sortIS4_Lb0ENS7_6detail15normal_iteratorINS7_10device_ptrIjEEEESH_NSE_INSF_ISA_EEEESJ_NS0_19identity_decomposerEEE10hipError_tT1_T2_T3_T4_jRjT5_jjP12ihipStream_tbEUlT_E_NS1_11comp_targetILNS1_3genE5ELNS1_11target_archE942ELNS1_3gpuE9ELNS1_3repE0EEENS1_44radix_sort_block_sort_config_static_selectorELNS0_4arch9wavefront6targetE0EEEvSM_,comdat
.Lfunc_end8:
	.size	_ZN7rocprim17ROCPRIM_400000_NS6detail17trampoline_kernelINS0_13kernel_configILj256ELj4ELj4294967295EEENS1_37radix_sort_block_sort_config_selectorIjN6thrust23THRUST_200600_302600_NS5tupleIffNS7_9null_typeES9_S9_S9_S9_S9_S9_S9_EEEEZNS1_21radix_sort_block_sortIS4_Lb0ENS7_6detail15normal_iteratorINS7_10device_ptrIjEEEESH_NSE_INSF_ISA_EEEESJ_NS0_19identity_decomposerEEE10hipError_tT1_T2_T3_T4_jRjT5_jjP12ihipStream_tbEUlT_E_NS1_11comp_targetILNS1_3genE5ELNS1_11target_archE942ELNS1_3gpuE9ELNS1_3repE0EEENS1_44radix_sort_block_sort_config_static_selectorELNS0_4arch9wavefront6targetE0EEEvSM_, .Lfunc_end8-_ZN7rocprim17ROCPRIM_400000_NS6detail17trampoline_kernelINS0_13kernel_configILj256ELj4ELj4294967295EEENS1_37radix_sort_block_sort_config_selectorIjN6thrust23THRUST_200600_302600_NS5tupleIffNS7_9null_typeES9_S9_S9_S9_S9_S9_S9_EEEEZNS1_21radix_sort_block_sortIS4_Lb0ENS7_6detail15normal_iteratorINS7_10device_ptrIjEEEESH_NSE_INSF_ISA_EEEESJ_NS0_19identity_decomposerEEE10hipError_tT1_T2_T3_T4_jRjT5_jjP12ihipStream_tbEUlT_E_NS1_11comp_targetILNS1_3genE5ELNS1_11target_archE942ELNS1_3gpuE9ELNS1_3repE0EEENS1_44radix_sort_block_sort_config_static_selectorELNS0_4arch9wavefront6targetE0EEEvSM_
                                        ; -- End function
	.set _ZN7rocprim17ROCPRIM_400000_NS6detail17trampoline_kernelINS0_13kernel_configILj256ELj4ELj4294967295EEENS1_37radix_sort_block_sort_config_selectorIjN6thrust23THRUST_200600_302600_NS5tupleIffNS7_9null_typeES9_S9_S9_S9_S9_S9_S9_EEEEZNS1_21radix_sort_block_sortIS4_Lb0ENS7_6detail15normal_iteratorINS7_10device_ptrIjEEEESH_NSE_INSF_ISA_EEEESJ_NS0_19identity_decomposerEEE10hipError_tT1_T2_T3_T4_jRjT5_jjP12ihipStream_tbEUlT_E_NS1_11comp_targetILNS1_3genE5ELNS1_11target_archE942ELNS1_3gpuE9ELNS1_3repE0EEENS1_44radix_sort_block_sort_config_static_selectorELNS0_4arch9wavefront6targetE0EEEvSM_.num_vgpr, 0
	.set _ZN7rocprim17ROCPRIM_400000_NS6detail17trampoline_kernelINS0_13kernel_configILj256ELj4ELj4294967295EEENS1_37radix_sort_block_sort_config_selectorIjN6thrust23THRUST_200600_302600_NS5tupleIffNS7_9null_typeES9_S9_S9_S9_S9_S9_S9_EEEEZNS1_21radix_sort_block_sortIS4_Lb0ENS7_6detail15normal_iteratorINS7_10device_ptrIjEEEESH_NSE_INSF_ISA_EEEESJ_NS0_19identity_decomposerEEE10hipError_tT1_T2_T3_T4_jRjT5_jjP12ihipStream_tbEUlT_E_NS1_11comp_targetILNS1_3genE5ELNS1_11target_archE942ELNS1_3gpuE9ELNS1_3repE0EEENS1_44radix_sort_block_sort_config_static_selectorELNS0_4arch9wavefront6targetE0EEEvSM_.num_agpr, 0
	.set _ZN7rocprim17ROCPRIM_400000_NS6detail17trampoline_kernelINS0_13kernel_configILj256ELj4ELj4294967295EEENS1_37radix_sort_block_sort_config_selectorIjN6thrust23THRUST_200600_302600_NS5tupleIffNS7_9null_typeES9_S9_S9_S9_S9_S9_S9_EEEEZNS1_21radix_sort_block_sortIS4_Lb0ENS7_6detail15normal_iteratorINS7_10device_ptrIjEEEESH_NSE_INSF_ISA_EEEESJ_NS0_19identity_decomposerEEE10hipError_tT1_T2_T3_T4_jRjT5_jjP12ihipStream_tbEUlT_E_NS1_11comp_targetILNS1_3genE5ELNS1_11target_archE942ELNS1_3gpuE9ELNS1_3repE0EEENS1_44radix_sort_block_sort_config_static_selectorELNS0_4arch9wavefront6targetE0EEEvSM_.numbered_sgpr, 0
	.set _ZN7rocprim17ROCPRIM_400000_NS6detail17trampoline_kernelINS0_13kernel_configILj256ELj4ELj4294967295EEENS1_37radix_sort_block_sort_config_selectorIjN6thrust23THRUST_200600_302600_NS5tupleIffNS7_9null_typeES9_S9_S9_S9_S9_S9_S9_EEEEZNS1_21radix_sort_block_sortIS4_Lb0ENS7_6detail15normal_iteratorINS7_10device_ptrIjEEEESH_NSE_INSF_ISA_EEEESJ_NS0_19identity_decomposerEEE10hipError_tT1_T2_T3_T4_jRjT5_jjP12ihipStream_tbEUlT_E_NS1_11comp_targetILNS1_3genE5ELNS1_11target_archE942ELNS1_3gpuE9ELNS1_3repE0EEENS1_44radix_sort_block_sort_config_static_selectorELNS0_4arch9wavefront6targetE0EEEvSM_.num_named_barrier, 0
	.set _ZN7rocprim17ROCPRIM_400000_NS6detail17trampoline_kernelINS0_13kernel_configILj256ELj4ELj4294967295EEENS1_37radix_sort_block_sort_config_selectorIjN6thrust23THRUST_200600_302600_NS5tupleIffNS7_9null_typeES9_S9_S9_S9_S9_S9_S9_EEEEZNS1_21radix_sort_block_sortIS4_Lb0ENS7_6detail15normal_iteratorINS7_10device_ptrIjEEEESH_NSE_INSF_ISA_EEEESJ_NS0_19identity_decomposerEEE10hipError_tT1_T2_T3_T4_jRjT5_jjP12ihipStream_tbEUlT_E_NS1_11comp_targetILNS1_3genE5ELNS1_11target_archE942ELNS1_3gpuE9ELNS1_3repE0EEENS1_44radix_sort_block_sort_config_static_selectorELNS0_4arch9wavefront6targetE0EEEvSM_.private_seg_size, 0
	.set _ZN7rocprim17ROCPRIM_400000_NS6detail17trampoline_kernelINS0_13kernel_configILj256ELj4ELj4294967295EEENS1_37radix_sort_block_sort_config_selectorIjN6thrust23THRUST_200600_302600_NS5tupleIffNS7_9null_typeES9_S9_S9_S9_S9_S9_S9_EEEEZNS1_21radix_sort_block_sortIS4_Lb0ENS7_6detail15normal_iteratorINS7_10device_ptrIjEEEESH_NSE_INSF_ISA_EEEESJ_NS0_19identity_decomposerEEE10hipError_tT1_T2_T3_T4_jRjT5_jjP12ihipStream_tbEUlT_E_NS1_11comp_targetILNS1_3genE5ELNS1_11target_archE942ELNS1_3gpuE9ELNS1_3repE0EEENS1_44radix_sort_block_sort_config_static_selectorELNS0_4arch9wavefront6targetE0EEEvSM_.uses_vcc, 0
	.set _ZN7rocprim17ROCPRIM_400000_NS6detail17trampoline_kernelINS0_13kernel_configILj256ELj4ELj4294967295EEENS1_37radix_sort_block_sort_config_selectorIjN6thrust23THRUST_200600_302600_NS5tupleIffNS7_9null_typeES9_S9_S9_S9_S9_S9_S9_EEEEZNS1_21radix_sort_block_sortIS4_Lb0ENS7_6detail15normal_iteratorINS7_10device_ptrIjEEEESH_NSE_INSF_ISA_EEEESJ_NS0_19identity_decomposerEEE10hipError_tT1_T2_T3_T4_jRjT5_jjP12ihipStream_tbEUlT_E_NS1_11comp_targetILNS1_3genE5ELNS1_11target_archE942ELNS1_3gpuE9ELNS1_3repE0EEENS1_44radix_sort_block_sort_config_static_selectorELNS0_4arch9wavefront6targetE0EEEvSM_.uses_flat_scratch, 0
	.set _ZN7rocprim17ROCPRIM_400000_NS6detail17trampoline_kernelINS0_13kernel_configILj256ELj4ELj4294967295EEENS1_37radix_sort_block_sort_config_selectorIjN6thrust23THRUST_200600_302600_NS5tupleIffNS7_9null_typeES9_S9_S9_S9_S9_S9_S9_EEEEZNS1_21radix_sort_block_sortIS4_Lb0ENS7_6detail15normal_iteratorINS7_10device_ptrIjEEEESH_NSE_INSF_ISA_EEEESJ_NS0_19identity_decomposerEEE10hipError_tT1_T2_T3_T4_jRjT5_jjP12ihipStream_tbEUlT_E_NS1_11comp_targetILNS1_3genE5ELNS1_11target_archE942ELNS1_3gpuE9ELNS1_3repE0EEENS1_44radix_sort_block_sort_config_static_selectorELNS0_4arch9wavefront6targetE0EEEvSM_.has_dyn_sized_stack, 0
	.set _ZN7rocprim17ROCPRIM_400000_NS6detail17trampoline_kernelINS0_13kernel_configILj256ELj4ELj4294967295EEENS1_37radix_sort_block_sort_config_selectorIjN6thrust23THRUST_200600_302600_NS5tupleIffNS7_9null_typeES9_S9_S9_S9_S9_S9_S9_EEEEZNS1_21radix_sort_block_sortIS4_Lb0ENS7_6detail15normal_iteratorINS7_10device_ptrIjEEEESH_NSE_INSF_ISA_EEEESJ_NS0_19identity_decomposerEEE10hipError_tT1_T2_T3_T4_jRjT5_jjP12ihipStream_tbEUlT_E_NS1_11comp_targetILNS1_3genE5ELNS1_11target_archE942ELNS1_3gpuE9ELNS1_3repE0EEENS1_44radix_sort_block_sort_config_static_selectorELNS0_4arch9wavefront6targetE0EEEvSM_.has_recursion, 0
	.set _ZN7rocprim17ROCPRIM_400000_NS6detail17trampoline_kernelINS0_13kernel_configILj256ELj4ELj4294967295EEENS1_37radix_sort_block_sort_config_selectorIjN6thrust23THRUST_200600_302600_NS5tupleIffNS7_9null_typeES9_S9_S9_S9_S9_S9_S9_EEEEZNS1_21radix_sort_block_sortIS4_Lb0ENS7_6detail15normal_iteratorINS7_10device_ptrIjEEEESH_NSE_INSF_ISA_EEEESJ_NS0_19identity_decomposerEEE10hipError_tT1_T2_T3_T4_jRjT5_jjP12ihipStream_tbEUlT_E_NS1_11comp_targetILNS1_3genE5ELNS1_11target_archE942ELNS1_3gpuE9ELNS1_3repE0EEENS1_44radix_sort_block_sort_config_static_selectorELNS0_4arch9wavefront6targetE0EEEvSM_.has_indirect_call, 0
	.section	.AMDGPU.csdata,"",@progbits
; Kernel info:
; codeLenInByte = 0
; TotalNumSgprs: 0
; NumVgprs: 0
; ScratchSize: 0
; MemoryBound: 0
; FloatMode: 240
; IeeeMode: 1
; LDSByteSize: 0 bytes/workgroup (compile time only)
; SGPRBlocks: 0
; VGPRBlocks: 0
; NumSGPRsForWavesPerEU: 1
; NumVGPRsForWavesPerEU: 1
; Occupancy: 16
; WaveLimiterHint : 0
; COMPUTE_PGM_RSRC2:SCRATCH_EN: 0
; COMPUTE_PGM_RSRC2:USER_SGPR: 2
; COMPUTE_PGM_RSRC2:TRAP_HANDLER: 0
; COMPUTE_PGM_RSRC2:TGID_X_EN: 1
; COMPUTE_PGM_RSRC2:TGID_Y_EN: 0
; COMPUTE_PGM_RSRC2:TGID_Z_EN: 0
; COMPUTE_PGM_RSRC2:TIDIG_COMP_CNT: 0
	.section	.text._ZN7rocprim17ROCPRIM_400000_NS6detail17trampoline_kernelINS0_13kernel_configILj256ELj4ELj4294967295EEENS1_37radix_sort_block_sort_config_selectorIjN6thrust23THRUST_200600_302600_NS5tupleIffNS7_9null_typeES9_S9_S9_S9_S9_S9_S9_EEEEZNS1_21radix_sort_block_sortIS4_Lb0ENS7_6detail15normal_iteratorINS7_10device_ptrIjEEEESH_NSE_INSF_ISA_EEEESJ_NS0_19identity_decomposerEEE10hipError_tT1_T2_T3_T4_jRjT5_jjP12ihipStream_tbEUlT_E_NS1_11comp_targetILNS1_3genE4ELNS1_11target_archE910ELNS1_3gpuE8ELNS1_3repE0EEENS1_44radix_sort_block_sort_config_static_selectorELNS0_4arch9wavefront6targetE0EEEvSM_,"axG",@progbits,_ZN7rocprim17ROCPRIM_400000_NS6detail17trampoline_kernelINS0_13kernel_configILj256ELj4ELj4294967295EEENS1_37radix_sort_block_sort_config_selectorIjN6thrust23THRUST_200600_302600_NS5tupleIffNS7_9null_typeES9_S9_S9_S9_S9_S9_S9_EEEEZNS1_21radix_sort_block_sortIS4_Lb0ENS7_6detail15normal_iteratorINS7_10device_ptrIjEEEESH_NSE_INSF_ISA_EEEESJ_NS0_19identity_decomposerEEE10hipError_tT1_T2_T3_T4_jRjT5_jjP12ihipStream_tbEUlT_E_NS1_11comp_targetILNS1_3genE4ELNS1_11target_archE910ELNS1_3gpuE8ELNS1_3repE0EEENS1_44radix_sort_block_sort_config_static_selectorELNS0_4arch9wavefront6targetE0EEEvSM_,comdat
	.protected	_ZN7rocprim17ROCPRIM_400000_NS6detail17trampoline_kernelINS0_13kernel_configILj256ELj4ELj4294967295EEENS1_37radix_sort_block_sort_config_selectorIjN6thrust23THRUST_200600_302600_NS5tupleIffNS7_9null_typeES9_S9_S9_S9_S9_S9_S9_EEEEZNS1_21radix_sort_block_sortIS4_Lb0ENS7_6detail15normal_iteratorINS7_10device_ptrIjEEEESH_NSE_INSF_ISA_EEEESJ_NS0_19identity_decomposerEEE10hipError_tT1_T2_T3_T4_jRjT5_jjP12ihipStream_tbEUlT_E_NS1_11comp_targetILNS1_3genE4ELNS1_11target_archE910ELNS1_3gpuE8ELNS1_3repE0EEENS1_44radix_sort_block_sort_config_static_selectorELNS0_4arch9wavefront6targetE0EEEvSM_ ; -- Begin function _ZN7rocprim17ROCPRIM_400000_NS6detail17trampoline_kernelINS0_13kernel_configILj256ELj4ELj4294967295EEENS1_37radix_sort_block_sort_config_selectorIjN6thrust23THRUST_200600_302600_NS5tupleIffNS7_9null_typeES9_S9_S9_S9_S9_S9_S9_EEEEZNS1_21radix_sort_block_sortIS4_Lb0ENS7_6detail15normal_iteratorINS7_10device_ptrIjEEEESH_NSE_INSF_ISA_EEEESJ_NS0_19identity_decomposerEEE10hipError_tT1_T2_T3_T4_jRjT5_jjP12ihipStream_tbEUlT_E_NS1_11comp_targetILNS1_3genE4ELNS1_11target_archE910ELNS1_3gpuE8ELNS1_3repE0EEENS1_44radix_sort_block_sort_config_static_selectorELNS0_4arch9wavefront6targetE0EEEvSM_
	.globl	_ZN7rocprim17ROCPRIM_400000_NS6detail17trampoline_kernelINS0_13kernel_configILj256ELj4ELj4294967295EEENS1_37radix_sort_block_sort_config_selectorIjN6thrust23THRUST_200600_302600_NS5tupleIffNS7_9null_typeES9_S9_S9_S9_S9_S9_S9_EEEEZNS1_21radix_sort_block_sortIS4_Lb0ENS7_6detail15normal_iteratorINS7_10device_ptrIjEEEESH_NSE_INSF_ISA_EEEESJ_NS0_19identity_decomposerEEE10hipError_tT1_T2_T3_T4_jRjT5_jjP12ihipStream_tbEUlT_E_NS1_11comp_targetILNS1_3genE4ELNS1_11target_archE910ELNS1_3gpuE8ELNS1_3repE0EEENS1_44radix_sort_block_sort_config_static_selectorELNS0_4arch9wavefront6targetE0EEEvSM_
	.p2align	8
	.type	_ZN7rocprim17ROCPRIM_400000_NS6detail17trampoline_kernelINS0_13kernel_configILj256ELj4ELj4294967295EEENS1_37radix_sort_block_sort_config_selectorIjN6thrust23THRUST_200600_302600_NS5tupleIffNS7_9null_typeES9_S9_S9_S9_S9_S9_S9_EEEEZNS1_21radix_sort_block_sortIS4_Lb0ENS7_6detail15normal_iteratorINS7_10device_ptrIjEEEESH_NSE_INSF_ISA_EEEESJ_NS0_19identity_decomposerEEE10hipError_tT1_T2_T3_T4_jRjT5_jjP12ihipStream_tbEUlT_E_NS1_11comp_targetILNS1_3genE4ELNS1_11target_archE910ELNS1_3gpuE8ELNS1_3repE0EEENS1_44radix_sort_block_sort_config_static_selectorELNS0_4arch9wavefront6targetE0EEEvSM_,@function
_ZN7rocprim17ROCPRIM_400000_NS6detail17trampoline_kernelINS0_13kernel_configILj256ELj4ELj4294967295EEENS1_37radix_sort_block_sort_config_selectorIjN6thrust23THRUST_200600_302600_NS5tupleIffNS7_9null_typeES9_S9_S9_S9_S9_S9_S9_EEEEZNS1_21radix_sort_block_sortIS4_Lb0ENS7_6detail15normal_iteratorINS7_10device_ptrIjEEEESH_NSE_INSF_ISA_EEEESJ_NS0_19identity_decomposerEEE10hipError_tT1_T2_T3_T4_jRjT5_jjP12ihipStream_tbEUlT_E_NS1_11comp_targetILNS1_3genE4ELNS1_11target_archE910ELNS1_3gpuE8ELNS1_3repE0EEENS1_44radix_sort_block_sort_config_static_selectorELNS0_4arch9wavefront6targetE0EEEvSM_: ; @_ZN7rocprim17ROCPRIM_400000_NS6detail17trampoline_kernelINS0_13kernel_configILj256ELj4ELj4294967295EEENS1_37radix_sort_block_sort_config_selectorIjN6thrust23THRUST_200600_302600_NS5tupleIffNS7_9null_typeES9_S9_S9_S9_S9_S9_S9_EEEEZNS1_21radix_sort_block_sortIS4_Lb0ENS7_6detail15normal_iteratorINS7_10device_ptrIjEEEESH_NSE_INSF_ISA_EEEESJ_NS0_19identity_decomposerEEE10hipError_tT1_T2_T3_T4_jRjT5_jjP12ihipStream_tbEUlT_E_NS1_11comp_targetILNS1_3genE4ELNS1_11target_archE910ELNS1_3gpuE8ELNS1_3repE0EEENS1_44radix_sort_block_sort_config_static_selectorELNS0_4arch9wavefront6targetE0EEEvSM_
; %bb.0:
	.section	.rodata,"a",@progbits
	.p2align	6, 0x0
	.amdhsa_kernel _ZN7rocprim17ROCPRIM_400000_NS6detail17trampoline_kernelINS0_13kernel_configILj256ELj4ELj4294967295EEENS1_37radix_sort_block_sort_config_selectorIjN6thrust23THRUST_200600_302600_NS5tupleIffNS7_9null_typeES9_S9_S9_S9_S9_S9_S9_EEEEZNS1_21radix_sort_block_sortIS4_Lb0ENS7_6detail15normal_iteratorINS7_10device_ptrIjEEEESH_NSE_INSF_ISA_EEEESJ_NS0_19identity_decomposerEEE10hipError_tT1_T2_T3_T4_jRjT5_jjP12ihipStream_tbEUlT_E_NS1_11comp_targetILNS1_3genE4ELNS1_11target_archE910ELNS1_3gpuE8ELNS1_3repE0EEENS1_44radix_sort_block_sort_config_static_selectorELNS0_4arch9wavefront6targetE0EEEvSM_
		.amdhsa_group_segment_fixed_size 0
		.amdhsa_private_segment_fixed_size 0
		.amdhsa_kernarg_size 48
		.amdhsa_user_sgpr_count 2
		.amdhsa_user_sgpr_dispatch_ptr 0
		.amdhsa_user_sgpr_queue_ptr 0
		.amdhsa_user_sgpr_kernarg_segment_ptr 1
		.amdhsa_user_sgpr_dispatch_id 0
		.amdhsa_user_sgpr_private_segment_size 0
		.amdhsa_wavefront_size32 1
		.amdhsa_uses_dynamic_stack 0
		.amdhsa_enable_private_segment 0
		.amdhsa_system_sgpr_workgroup_id_x 1
		.amdhsa_system_sgpr_workgroup_id_y 0
		.amdhsa_system_sgpr_workgroup_id_z 0
		.amdhsa_system_sgpr_workgroup_info 0
		.amdhsa_system_vgpr_workitem_id 0
		.amdhsa_next_free_vgpr 1
		.amdhsa_next_free_sgpr 1
		.amdhsa_reserve_vcc 0
		.amdhsa_float_round_mode_32 0
		.amdhsa_float_round_mode_16_64 0
		.amdhsa_float_denorm_mode_32 3
		.amdhsa_float_denorm_mode_16_64 3
		.amdhsa_fp16_overflow 0
		.amdhsa_workgroup_processor_mode 1
		.amdhsa_memory_ordered 1
		.amdhsa_forward_progress 1
		.amdhsa_inst_pref_size 0
		.amdhsa_round_robin_scheduling 0
		.amdhsa_exception_fp_ieee_invalid_op 0
		.amdhsa_exception_fp_denorm_src 0
		.amdhsa_exception_fp_ieee_div_zero 0
		.amdhsa_exception_fp_ieee_overflow 0
		.amdhsa_exception_fp_ieee_underflow 0
		.amdhsa_exception_fp_ieee_inexact 0
		.amdhsa_exception_int_div_zero 0
	.end_amdhsa_kernel
	.section	.text._ZN7rocprim17ROCPRIM_400000_NS6detail17trampoline_kernelINS0_13kernel_configILj256ELj4ELj4294967295EEENS1_37radix_sort_block_sort_config_selectorIjN6thrust23THRUST_200600_302600_NS5tupleIffNS7_9null_typeES9_S9_S9_S9_S9_S9_S9_EEEEZNS1_21radix_sort_block_sortIS4_Lb0ENS7_6detail15normal_iteratorINS7_10device_ptrIjEEEESH_NSE_INSF_ISA_EEEESJ_NS0_19identity_decomposerEEE10hipError_tT1_T2_T3_T4_jRjT5_jjP12ihipStream_tbEUlT_E_NS1_11comp_targetILNS1_3genE4ELNS1_11target_archE910ELNS1_3gpuE8ELNS1_3repE0EEENS1_44radix_sort_block_sort_config_static_selectorELNS0_4arch9wavefront6targetE0EEEvSM_,"axG",@progbits,_ZN7rocprim17ROCPRIM_400000_NS6detail17trampoline_kernelINS0_13kernel_configILj256ELj4ELj4294967295EEENS1_37radix_sort_block_sort_config_selectorIjN6thrust23THRUST_200600_302600_NS5tupleIffNS7_9null_typeES9_S9_S9_S9_S9_S9_S9_EEEEZNS1_21radix_sort_block_sortIS4_Lb0ENS7_6detail15normal_iteratorINS7_10device_ptrIjEEEESH_NSE_INSF_ISA_EEEESJ_NS0_19identity_decomposerEEE10hipError_tT1_T2_T3_T4_jRjT5_jjP12ihipStream_tbEUlT_E_NS1_11comp_targetILNS1_3genE4ELNS1_11target_archE910ELNS1_3gpuE8ELNS1_3repE0EEENS1_44radix_sort_block_sort_config_static_selectorELNS0_4arch9wavefront6targetE0EEEvSM_,comdat
.Lfunc_end9:
	.size	_ZN7rocprim17ROCPRIM_400000_NS6detail17trampoline_kernelINS0_13kernel_configILj256ELj4ELj4294967295EEENS1_37radix_sort_block_sort_config_selectorIjN6thrust23THRUST_200600_302600_NS5tupleIffNS7_9null_typeES9_S9_S9_S9_S9_S9_S9_EEEEZNS1_21radix_sort_block_sortIS4_Lb0ENS7_6detail15normal_iteratorINS7_10device_ptrIjEEEESH_NSE_INSF_ISA_EEEESJ_NS0_19identity_decomposerEEE10hipError_tT1_T2_T3_T4_jRjT5_jjP12ihipStream_tbEUlT_E_NS1_11comp_targetILNS1_3genE4ELNS1_11target_archE910ELNS1_3gpuE8ELNS1_3repE0EEENS1_44radix_sort_block_sort_config_static_selectorELNS0_4arch9wavefront6targetE0EEEvSM_, .Lfunc_end9-_ZN7rocprim17ROCPRIM_400000_NS6detail17trampoline_kernelINS0_13kernel_configILj256ELj4ELj4294967295EEENS1_37radix_sort_block_sort_config_selectorIjN6thrust23THRUST_200600_302600_NS5tupleIffNS7_9null_typeES9_S9_S9_S9_S9_S9_S9_EEEEZNS1_21radix_sort_block_sortIS4_Lb0ENS7_6detail15normal_iteratorINS7_10device_ptrIjEEEESH_NSE_INSF_ISA_EEEESJ_NS0_19identity_decomposerEEE10hipError_tT1_T2_T3_T4_jRjT5_jjP12ihipStream_tbEUlT_E_NS1_11comp_targetILNS1_3genE4ELNS1_11target_archE910ELNS1_3gpuE8ELNS1_3repE0EEENS1_44radix_sort_block_sort_config_static_selectorELNS0_4arch9wavefront6targetE0EEEvSM_
                                        ; -- End function
	.set _ZN7rocprim17ROCPRIM_400000_NS6detail17trampoline_kernelINS0_13kernel_configILj256ELj4ELj4294967295EEENS1_37radix_sort_block_sort_config_selectorIjN6thrust23THRUST_200600_302600_NS5tupleIffNS7_9null_typeES9_S9_S9_S9_S9_S9_S9_EEEEZNS1_21radix_sort_block_sortIS4_Lb0ENS7_6detail15normal_iteratorINS7_10device_ptrIjEEEESH_NSE_INSF_ISA_EEEESJ_NS0_19identity_decomposerEEE10hipError_tT1_T2_T3_T4_jRjT5_jjP12ihipStream_tbEUlT_E_NS1_11comp_targetILNS1_3genE4ELNS1_11target_archE910ELNS1_3gpuE8ELNS1_3repE0EEENS1_44radix_sort_block_sort_config_static_selectorELNS0_4arch9wavefront6targetE0EEEvSM_.num_vgpr, 0
	.set _ZN7rocprim17ROCPRIM_400000_NS6detail17trampoline_kernelINS0_13kernel_configILj256ELj4ELj4294967295EEENS1_37radix_sort_block_sort_config_selectorIjN6thrust23THRUST_200600_302600_NS5tupleIffNS7_9null_typeES9_S9_S9_S9_S9_S9_S9_EEEEZNS1_21radix_sort_block_sortIS4_Lb0ENS7_6detail15normal_iteratorINS7_10device_ptrIjEEEESH_NSE_INSF_ISA_EEEESJ_NS0_19identity_decomposerEEE10hipError_tT1_T2_T3_T4_jRjT5_jjP12ihipStream_tbEUlT_E_NS1_11comp_targetILNS1_3genE4ELNS1_11target_archE910ELNS1_3gpuE8ELNS1_3repE0EEENS1_44radix_sort_block_sort_config_static_selectorELNS0_4arch9wavefront6targetE0EEEvSM_.num_agpr, 0
	.set _ZN7rocprim17ROCPRIM_400000_NS6detail17trampoline_kernelINS0_13kernel_configILj256ELj4ELj4294967295EEENS1_37radix_sort_block_sort_config_selectorIjN6thrust23THRUST_200600_302600_NS5tupleIffNS7_9null_typeES9_S9_S9_S9_S9_S9_S9_EEEEZNS1_21radix_sort_block_sortIS4_Lb0ENS7_6detail15normal_iteratorINS7_10device_ptrIjEEEESH_NSE_INSF_ISA_EEEESJ_NS0_19identity_decomposerEEE10hipError_tT1_T2_T3_T4_jRjT5_jjP12ihipStream_tbEUlT_E_NS1_11comp_targetILNS1_3genE4ELNS1_11target_archE910ELNS1_3gpuE8ELNS1_3repE0EEENS1_44radix_sort_block_sort_config_static_selectorELNS0_4arch9wavefront6targetE0EEEvSM_.numbered_sgpr, 0
	.set _ZN7rocprim17ROCPRIM_400000_NS6detail17trampoline_kernelINS0_13kernel_configILj256ELj4ELj4294967295EEENS1_37radix_sort_block_sort_config_selectorIjN6thrust23THRUST_200600_302600_NS5tupleIffNS7_9null_typeES9_S9_S9_S9_S9_S9_S9_EEEEZNS1_21radix_sort_block_sortIS4_Lb0ENS7_6detail15normal_iteratorINS7_10device_ptrIjEEEESH_NSE_INSF_ISA_EEEESJ_NS0_19identity_decomposerEEE10hipError_tT1_T2_T3_T4_jRjT5_jjP12ihipStream_tbEUlT_E_NS1_11comp_targetILNS1_3genE4ELNS1_11target_archE910ELNS1_3gpuE8ELNS1_3repE0EEENS1_44radix_sort_block_sort_config_static_selectorELNS0_4arch9wavefront6targetE0EEEvSM_.num_named_barrier, 0
	.set _ZN7rocprim17ROCPRIM_400000_NS6detail17trampoline_kernelINS0_13kernel_configILj256ELj4ELj4294967295EEENS1_37radix_sort_block_sort_config_selectorIjN6thrust23THRUST_200600_302600_NS5tupleIffNS7_9null_typeES9_S9_S9_S9_S9_S9_S9_EEEEZNS1_21radix_sort_block_sortIS4_Lb0ENS7_6detail15normal_iteratorINS7_10device_ptrIjEEEESH_NSE_INSF_ISA_EEEESJ_NS0_19identity_decomposerEEE10hipError_tT1_T2_T3_T4_jRjT5_jjP12ihipStream_tbEUlT_E_NS1_11comp_targetILNS1_3genE4ELNS1_11target_archE910ELNS1_3gpuE8ELNS1_3repE0EEENS1_44radix_sort_block_sort_config_static_selectorELNS0_4arch9wavefront6targetE0EEEvSM_.private_seg_size, 0
	.set _ZN7rocprim17ROCPRIM_400000_NS6detail17trampoline_kernelINS0_13kernel_configILj256ELj4ELj4294967295EEENS1_37radix_sort_block_sort_config_selectorIjN6thrust23THRUST_200600_302600_NS5tupleIffNS7_9null_typeES9_S9_S9_S9_S9_S9_S9_EEEEZNS1_21radix_sort_block_sortIS4_Lb0ENS7_6detail15normal_iteratorINS7_10device_ptrIjEEEESH_NSE_INSF_ISA_EEEESJ_NS0_19identity_decomposerEEE10hipError_tT1_T2_T3_T4_jRjT5_jjP12ihipStream_tbEUlT_E_NS1_11comp_targetILNS1_3genE4ELNS1_11target_archE910ELNS1_3gpuE8ELNS1_3repE0EEENS1_44radix_sort_block_sort_config_static_selectorELNS0_4arch9wavefront6targetE0EEEvSM_.uses_vcc, 0
	.set _ZN7rocprim17ROCPRIM_400000_NS6detail17trampoline_kernelINS0_13kernel_configILj256ELj4ELj4294967295EEENS1_37radix_sort_block_sort_config_selectorIjN6thrust23THRUST_200600_302600_NS5tupleIffNS7_9null_typeES9_S9_S9_S9_S9_S9_S9_EEEEZNS1_21radix_sort_block_sortIS4_Lb0ENS7_6detail15normal_iteratorINS7_10device_ptrIjEEEESH_NSE_INSF_ISA_EEEESJ_NS0_19identity_decomposerEEE10hipError_tT1_T2_T3_T4_jRjT5_jjP12ihipStream_tbEUlT_E_NS1_11comp_targetILNS1_3genE4ELNS1_11target_archE910ELNS1_3gpuE8ELNS1_3repE0EEENS1_44radix_sort_block_sort_config_static_selectorELNS0_4arch9wavefront6targetE0EEEvSM_.uses_flat_scratch, 0
	.set _ZN7rocprim17ROCPRIM_400000_NS6detail17trampoline_kernelINS0_13kernel_configILj256ELj4ELj4294967295EEENS1_37radix_sort_block_sort_config_selectorIjN6thrust23THRUST_200600_302600_NS5tupleIffNS7_9null_typeES9_S9_S9_S9_S9_S9_S9_EEEEZNS1_21radix_sort_block_sortIS4_Lb0ENS7_6detail15normal_iteratorINS7_10device_ptrIjEEEESH_NSE_INSF_ISA_EEEESJ_NS0_19identity_decomposerEEE10hipError_tT1_T2_T3_T4_jRjT5_jjP12ihipStream_tbEUlT_E_NS1_11comp_targetILNS1_3genE4ELNS1_11target_archE910ELNS1_3gpuE8ELNS1_3repE0EEENS1_44radix_sort_block_sort_config_static_selectorELNS0_4arch9wavefront6targetE0EEEvSM_.has_dyn_sized_stack, 0
	.set _ZN7rocprim17ROCPRIM_400000_NS6detail17trampoline_kernelINS0_13kernel_configILj256ELj4ELj4294967295EEENS1_37radix_sort_block_sort_config_selectorIjN6thrust23THRUST_200600_302600_NS5tupleIffNS7_9null_typeES9_S9_S9_S9_S9_S9_S9_EEEEZNS1_21radix_sort_block_sortIS4_Lb0ENS7_6detail15normal_iteratorINS7_10device_ptrIjEEEESH_NSE_INSF_ISA_EEEESJ_NS0_19identity_decomposerEEE10hipError_tT1_T2_T3_T4_jRjT5_jjP12ihipStream_tbEUlT_E_NS1_11comp_targetILNS1_3genE4ELNS1_11target_archE910ELNS1_3gpuE8ELNS1_3repE0EEENS1_44radix_sort_block_sort_config_static_selectorELNS0_4arch9wavefront6targetE0EEEvSM_.has_recursion, 0
	.set _ZN7rocprim17ROCPRIM_400000_NS6detail17trampoline_kernelINS0_13kernel_configILj256ELj4ELj4294967295EEENS1_37radix_sort_block_sort_config_selectorIjN6thrust23THRUST_200600_302600_NS5tupleIffNS7_9null_typeES9_S9_S9_S9_S9_S9_S9_EEEEZNS1_21radix_sort_block_sortIS4_Lb0ENS7_6detail15normal_iteratorINS7_10device_ptrIjEEEESH_NSE_INSF_ISA_EEEESJ_NS0_19identity_decomposerEEE10hipError_tT1_T2_T3_T4_jRjT5_jjP12ihipStream_tbEUlT_E_NS1_11comp_targetILNS1_3genE4ELNS1_11target_archE910ELNS1_3gpuE8ELNS1_3repE0EEENS1_44radix_sort_block_sort_config_static_selectorELNS0_4arch9wavefront6targetE0EEEvSM_.has_indirect_call, 0
	.section	.AMDGPU.csdata,"",@progbits
; Kernel info:
; codeLenInByte = 0
; TotalNumSgprs: 0
; NumVgprs: 0
; ScratchSize: 0
; MemoryBound: 0
; FloatMode: 240
; IeeeMode: 1
; LDSByteSize: 0 bytes/workgroup (compile time only)
; SGPRBlocks: 0
; VGPRBlocks: 0
; NumSGPRsForWavesPerEU: 1
; NumVGPRsForWavesPerEU: 1
; Occupancy: 16
; WaveLimiterHint : 0
; COMPUTE_PGM_RSRC2:SCRATCH_EN: 0
; COMPUTE_PGM_RSRC2:USER_SGPR: 2
; COMPUTE_PGM_RSRC2:TRAP_HANDLER: 0
; COMPUTE_PGM_RSRC2:TGID_X_EN: 1
; COMPUTE_PGM_RSRC2:TGID_Y_EN: 0
; COMPUTE_PGM_RSRC2:TGID_Z_EN: 0
; COMPUTE_PGM_RSRC2:TIDIG_COMP_CNT: 0
	.section	.text._ZN7rocprim17ROCPRIM_400000_NS6detail17trampoline_kernelINS0_13kernel_configILj256ELj4ELj4294967295EEENS1_37radix_sort_block_sort_config_selectorIjN6thrust23THRUST_200600_302600_NS5tupleIffNS7_9null_typeES9_S9_S9_S9_S9_S9_S9_EEEEZNS1_21radix_sort_block_sortIS4_Lb0ENS7_6detail15normal_iteratorINS7_10device_ptrIjEEEESH_NSE_INSF_ISA_EEEESJ_NS0_19identity_decomposerEEE10hipError_tT1_T2_T3_T4_jRjT5_jjP12ihipStream_tbEUlT_E_NS1_11comp_targetILNS1_3genE3ELNS1_11target_archE908ELNS1_3gpuE7ELNS1_3repE0EEENS1_44radix_sort_block_sort_config_static_selectorELNS0_4arch9wavefront6targetE0EEEvSM_,"axG",@progbits,_ZN7rocprim17ROCPRIM_400000_NS6detail17trampoline_kernelINS0_13kernel_configILj256ELj4ELj4294967295EEENS1_37radix_sort_block_sort_config_selectorIjN6thrust23THRUST_200600_302600_NS5tupleIffNS7_9null_typeES9_S9_S9_S9_S9_S9_S9_EEEEZNS1_21radix_sort_block_sortIS4_Lb0ENS7_6detail15normal_iteratorINS7_10device_ptrIjEEEESH_NSE_INSF_ISA_EEEESJ_NS0_19identity_decomposerEEE10hipError_tT1_T2_T3_T4_jRjT5_jjP12ihipStream_tbEUlT_E_NS1_11comp_targetILNS1_3genE3ELNS1_11target_archE908ELNS1_3gpuE7ELNS1_3repE0EEENS1_44radix_sort_block_sort_config_static_selectorELNS0_4arch9wavefront6targetE0EEEvSM_,comdat
	.protected	_ZN7rocprim17ROCPRIM_400000_NS6detail17trampoline_kernelINS0_13kernel_configILj256ELj4ELj4294967295EEENS1_37radix_sort_block_sort_config_selectorIjN6thrust23THRUST_200600_302600_NS5tupleIffNS7_9null_typeES9_S9_S9_S9_S9_S9_S9_EEEEZNS1_21radix_sort_block_sortIS4_Lb0ENS7_6detail15normal_iteratorINS7_10device_ptrIjEEEESH_NSE_INSF_ISA_EEEESJ_NS0_19identity_decomposerEEE10hipError_tT1_T2_T3_T4_jRjT5_jjP12ihipStream_tbEUlT_E_NS1_11comp_targetILNS1_3genE3ELNS1_11target_archE908ELNS1_3gpuE7ELNS1_3repE0EEENS1_44radix_sort_block_sort_config_static_selectorELNS0_4arch9wavefront6targetE0EEEvSM_ ; -- Begin function _ZN7rocprim17ROCPRIM_400000_NS6detail17trampoline_kernelINS0_13kernel_configILj256ELj4ELj4294967295EEENS1_37radix_sort_block_sort_config_selectorIjN6thrust23THRUST_200600_302600_NS5tupleIffNS7_9null_typeES9_S9_S9_S9_S9_S9_S9_EEEEZNS1_21radix_sort_block_sortIS4_Lb0ENS7_6detail15normal_iteratorINS7_10device_ptrIjEEEESH_NSE_INSF_ISA_EEEESJ_NS0_19identity_decomposerEEE10hipError_tT1_T2_T3_T4_jRjT5_jjP12ihipStream_tbEUlT_E_NS1_11comp_targetILNS1_3genE3ELNS1_11target_archE908ELNS1_3gpuE7ELNS1_3repE0EEENS1_44radix_sort_block_sort_config_static_selectorELNS0_4arch9wavefront6targetE0EEEvSM_
	.globl	_ZN7rocprim17ROCPRIM_400000_NS6detail17trampoline_kernelINS0_13kernel_configILj256ELj4ELj4294967295EEENS1_37radix_sort_block_sort_config_selectorIjN6thrust23THRUST_200600_302600_NS5tupleIffNS7_9null_typeES9_S9_S9_S9_S9_S9_S9_EEEEZNS1_21radix_sort_block_sortIS4_Lb0ENS7_6detail15normal_iteratorINS7_10device_ptrIjEEEESH_NSE_INSF_ISA_EEEESJ_NS0_19identity_decomposerEEE10hipError_tT1_T2_T3_T4_jRjT5_jjP12ihipStream_tbEUlT_E_NS1_11comp_targetILNS1_3genE3ELNS1_11target_archE908ELNS1_3gpuE7ELNS1_3repE0EEENS1_44radix_sort_block_sort_config_static_selectorELNS0_4arch9wavefront6targetE0EEEvSM_
	.p2align	8
	.type	_ZN7rocprim17ROCPRIM_400000_NS6detail17trampoline_kernelINS0_13kernel_configILj256ELj4ELj4294967295EEENS1_37radix_sort_block_sort_config_selectorIjN6thrust23THRUST_200600_302600_NS5tupleIffNS7_9null_typeES9_S9_S9_S9_S9_S9_S9_EEEEZNS1_21radix_sort_block_sortIS4_Lb0ENS7_6detail15normal_iteratorINS7_10device_ptrIjEEEESH_NSE_INSF_ISA_EEEESJ_NS0_19identity_decomposerEEE10hipError_tT1_T2_T3_T4_jRjT5_jjP12ihipStream_tbEUlT_E_NS1_11comp_targetILNS1_3genE3ELNS1_11target_archE908ELNS1_3gpuE7ELNS1_3repE0EEENS1_44radix_sort_block_sort_config_static_selectorELNS0_4arch9wavefront6targetE0EEEvSM_,@function
_ZN7rocprim17ROCPRIM_400000_NS6detail17trampoline_kernelINS0_13kernel_configILj256ELj4ELj4294967295EEENS1_37radix_sort_block_sort_config_selectorIjN6thrust23THRUST_200600_302600_NS5tupleIffNS7_9null_typeES9_S9_S9_S9_S9_S9_S9_EEEEZNS1_21radix_sort_block_sortIS4_Lb0ENS7_6detail15normal_iteratorINS7_10device_ptrIjEEEESH_NSE_INSF_ISA_EEEESJ_NS0_19identity_decomposerEEE10hipError_tT1_T2_T3_T4_jRjT5_jjP12ihipStream_tbEUlT_E_NS1_11comp_targetILNS1_3genE3ELNS1_11target_archE908ELNS1_3gpuE7ELNS1_3repE0EEENS1_44radix_sort_block_sort_config_static_selectorELNS0_4arch9wavefront6targetE0EEEvSM_: ; @_ZN7rocprim17ROCPRIM_400000_NS6detail17trampoline_kernelINS0_13kernel_configILj256ELj4ELj4294967295EEENS1_37radix_sort_block_sort_config_selectorIjN6thrust23THRUST_200600_302600_NS5tupleIffNS7_9null_typeES9_S9_S9_S9_S9_S9_S9_EEEEZNS1_21radix_sort_block_sortIS4_Lb0ENS7_6detail15normal_iteratorINS7_10device_ptrIjEEEESH_NSE_INSF_ISA_EEEESJ_NS0_19identity_decomposerEEE10hipError_tT1_T2_T3_T4_jRjT5_jjP12ihipStream_tbEUlT_E_NS1_11comp_targetILNS1_3genE3ELNS1_11target_archE908ELNS1_3gpuE7ELNS1_3repE0EEENS1_44radix_sort_block_sort_config_static_selectorELNS0_4arch9wavefront6targetE0EEEvSM_
; %bb.0:
	.section	.rodata,"a",@progbits
	.p2align	6, 0x0
	.amdhsa_kernel _ZN7rocprim17ROCPRIM_400000_NS6detail17trampoline_kernelINS0_13kernel_configILj256ELj4ELj4294967295EEENS1_37radix_sort_block_sort_config_selectorIjN6thrust23THRUST_200600_302600_NS5tupleIffNS7_9null_typeES9_S9_S9_S9_S9_S9_S9_EEEEZNS1_21radix_sort_block_sortIS4_Lb0ENS7_6detail15normal_iteratorINS7_10device_ptrIjEEEESH_NSE_INSF_ISA_EEEESJ_NS0_19identity_decomposerEEE10hipError_tT1_T2_T3_T4_jRjT5_jjP12ihipStream_tbEUlT_E_NS1_11comp_targetILNS1_3genE3ELNS1_11target_archE908ELNS1_3gpuE7ELNS1_3repE0EEENS1_44radix_sort_block_sort_config_static_selectorELNS0_4arch9wavefront6targetE0EEEvSM_
		.amdhsa_group_segment_fixed_size 0
		.amdhsa_private_segment_fixed_size 0
		.amdhsa_kernarg_size 48
		.amdhsa_user_sgpr_count 2
		.amdhsa_user_sgpr_dispatch_ptr 0
		.amdhsa_user_sgpr_queue_ptr 0
		.amdhsa_user_sgpr_kernarg_segment_ptr 1
		.amdhsa_user_sgpr_dispatch_id 0
		.amdhsa_user_sgpr_private_segment_size 0
		.amdhsa_wavefront_size32 1
		.amdhsa_uses_dynamic_stack 0
		.amdhsa_enable_private_segment 0
		.amdhsa_system_sgpr_workgroup_id_x 1
		.amdhsa_system_sgpr_workgroup_id_y 0
		.amdhsa_system_sgpr_workgroup_id_z 0
		.amdhsa_system_sgpr_workgroup_info 0
		.amdhsa_system_vgpr_workitem_id 0
		.amdhsa_next_free_vgpr 1
		.amdhsa_next_free_sgpr 1
		.amdhsa_reserve_vcc 0
		.amdhsa_float_round_mode_32 0
		.amdhsa_float_round_mode_16_64 0
		.amdhsa_float_denorm_mode_32 3
		.amdhsa_float_denorm_mode_16_64 3
		.amdhsa_fp16_overflow 0
		.amdhsa_workgroup_processor_mode 1
		.amdhsa_memory_ordered 1
		.amdhsa_forward_progress 1
		.amdhsa_inst_pref_size 0
		.amdhsa_round_robin_scheduling 0
		.amdhsa_exception_fp_ieee_invalid_op 0
		.amdhsa_exception_fp_denorm_src 0
		.amdhsa_exception_fp_ieee_div_zero 0
		.amdhsa_exception_fp_ieee_overflow 0
		.amdhsa_exception_fp_ieee_underflow 0
		.amdhsa_exception_fp_ieee_inexact 0
		.amdhsa_exception_int_div_zero 0
	.end_amdhsa_kernel
	.section	.text._ZN7rocprim17ROCPRIM_400000_NS6detail17trampoline_kernelINS0_13kernel_configILj256ELj4ELj4294967295EEENS1_37radix_sort_block_sort_config_selectorIjN6thrust23THRUST_200600_302600_NS5tupleIffNS7_9null_typeES9_S9_S9_S9_S9_S9_S9_EEEEZNS1_21radix_sort_block_sortIS4_Lb0ENS7_6detail15normal_iteratorINS7_10device_ptrIjEEEESH_NSE_INSF_ISA_EEEESJ_NS0_19identity_decomposerEEE10hipError_tT1_T2_T3_T4_jRjT5_jjP12ihipStream_tbEUlT_E_NS1_11comp_targetILNS1_3genE3ELNS1_11target_archE908ELNS1_3gpuE7ELNS1_3repE0EEENS1_44radix_sort_block_sort_config_static_selectorELNS0_4arch9wavefront6targetE0EEEvSM_,"axG",@progbits,_ZN7rocprim17ROCPRIM_400000_NS6detail17trampoline_kernelINS0_13kernel_configILj256ELj4ELj4294967295EEENS1_37radix_sort_block_sort_config_selectorIjN6thrust23THRUST_200600_302600_NS5tupleIffNS7_9null_typeES9_S9_S9_S9_S9_S9_S9_EEEEZNS1_21radix_sort_block_sortIS4_Lb0ENS7_6detail15normal_iteratorINS7_10device_ptrIjEEEESH_NSE_INSF_ISA_EEEESJ_NS0_19identity_decomposerEEE10hipError_tT1_T2_T3_T4_jRjT5_jjP12ihipStream_tbEUlT_E_NS1_11comp_targetILNS1_3genE3ELNS1_11target_archE908ELNS1_3gpuE7ELNS1_3repE0EEENS1_44radix_sort_block_sort_config_static_selectorELNS0_4arch9wavefront6targetE0EEEvSM_,comdat
.Lfunc_end10:
	.size	_ZN7rocprim17ROCPRIM_400000_NS6detail17trampoline_kernelINS0_13kernel_configILj256ELj4ELj4294967295EEENS1_37radix_sort_block_sort_config_selectorIjN6thrust23THRUST_200600_302600_NS5tupleIffNS7_9null_typeES9_S9_S9_S9_S9_S9_S9_EEEEZNS1_21radix_sort_block_sortIS4_Lb0ENS7_6detail15normal_iteratorINS7_10device_ptrIjEEEESH_NSE_INSF_ISA_EEEESJ_NS0_19identity_decomposerEEE10hipError_tT1_T2_T3_T4_jRjT5_jjP12ihipStream_tbEUlT_E_NS1_11comp_targetILNS1_3genE3ELNS1_11target_archE908ELNS1_3gpuE7ELNS1_3repE0EEENS1_44radix_sort_block_sort_config_static_selectorELNS0_4arch9wavefront6targetE0EEEvSM_, .Lfunc_end10-_ZN7rocprim17ROCPRIM_400000_NS6detail17trampoline_kernelINS0_13kernel_configILj256ELj4ELj4294967295EEENS1_37radix_sort_block_sort_config_selectorIjN6thrust23THRUST_200600_302600_NS5tupleIffNS7_9null_typeES9_S9_S9_S9_S9_S9_S9_EEEEZNS1_21radix_sort_block_sortIS4_Lb0ENS7_6detail15normal_iteratorINS7_10device_ptrIjEEEESH_NSE_INSF_ISA_EEEESJ_NS0_19identity_decomposerEEE10hipError_tT1_T2_T3_T4_jRjT5_jjP12ihipStream_tbEUlT_E_NS1_11comp_targetILNS1_3genE3ELNS1_11target_archE908ELNS1_3gpuE7ELNS1_3repE0EEENS1_44radix_sort_block_sort_config_static_selectorELNS0_4arch9wavefront6targetE0EEEvSM_
                                        ; -- End function
	.set _ZN7rocprim17ROCPRIM_400000_NS6detail17trampoline_kernelINS0_13kernel_configILj256ELj4ELj4294967295EEENS1_37radix_sort_block_sort_config_selectorIjN6thrust23THRUST_200600_302600_NS5tupleIffNS7_9null_typeES9_S9_S9_S9_S9_S9_S9_EEEEZNS1_21radix_sort_block_sortIS4_Lb0ENS7_6detail15normal_iteratorINS7_10device_ptrIjEEEESH_NSE_INSF_ISA_EEEESJ_NS0_19identity_decomposerEEE10hipError_tT1_T2_T3_T4_jRjT5_jjP12ihipStream_tbEUlT_E_NS1_11comp_targetILNS1_3genE3ELNS1_11target_archE908ELNS1_3gpuE7ELNS1_3repE0EEENS1_44radix_sort_block_sort_config_static_selectorELNS0_4arch9wavefront6targetE0EEEvSM_.num_vgpr, 0
	.set _ZN7rocprim17ROCPRIM_400000_NS6detail17trampoline_kernelINS0_13kernel_configILj256ELj4ELj4294967295EEENS1_37radix_sort_block_sort_config_selectorIjN6thrust23THRUST_200600_302600_NS5tupleIffNS7_9null_typeES9_S9_S9_S9_S9_S9_S9_EEEEZNS1_21radix_sort_block_sortIS4_Lb0ENS7_6detail15normal_iteratorINS7_10device_ptrIjEEEESH_NSE_INSF_ISA_EEEESJ_NS0_19identity_decomposerEEE10hipError_tT1_T2_T3_T4_jRjT5_jjP12ihipStream_tbEUlT_E_NS1_11comp_targetILNS1_3genE3ELNS1_11target_archE908ELNS1_3gpuE7ELNS1_3repE0EEENS1_44radix_sort_block_sort_config_static_selectorELNS0_4arch9wavefront6targetE0EEEvSM_.num_agpr, 0
	.set _ZN7rocprim17ROCPRIM_400000_NS6detail17trampoline_kernelINS0_13kernel_configILj256ELj4ELj4294967295EEENS1_37radix_sort_block_sort_config_selectorIjN6thrust23THRUST_200600_302600_NS5tupleIffNS7_9null_typeES9_S9_S9_S9_S9_S9_S9_EEEEZNS1_21radix_sort_block_sortIS4_Lb0ENS7_6detail15normal_iteratorINS7_10device_ptrIjEEEESH_NSE_INSF_ISA_EEEESJ_NS0_19identity_decomposerEEE10hipError_tT1_T2_T3_T4_jRjT5_jjP12ihipStream_tbEUlT_E_NS1_11comp_targetILNS1_3genE3ELNS1_11target_archE908ELNS1_3gpuE7ELNS1_3repE0EEENS1_44radix_sort_block_sort_config_static_selectorELNS0_4arch9wavefront6targetE0EEEvSM_.numbered_sgpr, 0
	.set _ZN7rocprim17ROCPRIM_400000_NS6detail17trampoline_kernelINS0_13kernel_configILj256ELj4ELj4294967295EEENS1_37radix_sort_block_sort_config_selectorIjN6thrust23THRUST_200600_302600_NS5tupleIffNS7_9null_typeES9_S9_S9_S9_S9_S9_S9_EEEEZNS1_21radix_sort_block_sortIS4_Lb0ENS7_6detail15normal_iteratorINS7_10device_ptrIjEEEESH_NSE_INSF_ISA_EEEESJ_NS0_19identity_decomposerEEE10hipError_tT1_T2_T3_T4_jRjT5_jjP12ihipStream_tbEUlT_E_NS1_11comp_targetILNS1_3genE3ELNS1_11target_archE908ELNS1_3gpuE7ELNS1_3repE0EEENS1_44radix_sort_block_sort_config_static_selectorELNS0_4arch9wavefront6targetE0EEEvSM_.num_named_barrier, 0
	.set _ZN7rocprim17ROCPRIM_400000_NS6detail17trampoline_kernelINS0_13kernel_configILj256ELj4ELj4294967295EEENS1_37radix_sort_block_sort_config_selectorIjN6thrust23THRUST_200600_302600_NS5tupleIffNS7_9null_typeES9_S9_S9_S9_S9_S9_S9_EEEEZNS1_21radix_sort_block_sortIS4_Lb0ENS7_6detail15normal_iteratorINS7_10device_ptrIjEEEESH_NSE_INSF_ISA_EEEESJ_NS0_19identity_decomposerEEE10hipError_tT1_T2_T3_T4_jRjT5_jjP12ihipStream_tbEUlT_E_NS1_11comp_targetILNS1_3genE3ELNS1_11target_archE908ELNS1_3gpuE7ELNS1_3repE0EEENS1_44radix_sort_block_sort_config_static_selectorELNS0_4arch9wavefront6targetE0EEEvSM_.private_seg_size, 0
	.set _ZN7rocprim17ROCPRIM_400000_NS6detail17trampoline_kernelINS0_13kernel_configILj256ELj4ELj4294967295EEENS1_37radix_sort_block_sort_config_selectorIjN6thrust23THRUST_200600_302600_NS5tupleIffNS7_9null_typeES9_S9_S9_S9_S9_S9_S9_EEEEZNS1_21radix_sort_block_sortIS4_Lb0ENS7_6detail15normal_iteratorINS7_10device_ptrIjEEEESH_NSE_INSF_ISA_EEEESJ_NS0_19identity_decomposerEEE10hipError_tT1_T2_T3_T4_jRjT5_jjP12ihipStream_tbEUlT_E_NS1_11comp_targetILNS1_3genE3ELNS1_11target_archE908ELNS1_3gpuE7ELNS1_3repE0EEENS1_44radix_sort_block_sort_config_static_selectorELNS0_4arch9wavefront6targetE0EEEvSM_.uses_vcc, 0
	.set _ZN7rocprim17ROCPRIM_400000_NS6detail17trampoline_kernelINS0_13kernel_configILj256ELj4ELj4294967295EEENS1_37radix_sort_block_sort_config_selectorIjN6thrust23THRUST_200600_302600_NS5tupleIffNS7_9null_typeES9_S9_S9_S9_S9_S9_S9_EEEEZNS1_21radix_sort_block_sortIS4_Lb0ENS7_6detail15normal_iteratorINS7_10device_ptrIjEEEESH_NSE_INSF_ISA_EEEESJ_NS0_19identity_decomposerEEE10hipError_tT1_T2_T3_T4_jRjT5_jjP12ihipStream_tbEUlT_E_NS1_11comp_targetILNS1_3genE3ELNS1_11target_archE908ELNS1_3gpuE7ELNS1_3repE0EEENS1_44radix_sort_block_sort_config_static_selectorELNS0_4arch9wavefront6targetE0EEEvSM_.uses_flat_scratch, 0
	.set _ZN7rocprim17ROCPRIM_400000_NS6detail17trampoline_kernelINS0_13kernel_configILj256ELj4ELj4294967295EEENS1_37radix_sort_block_sort_config_selectorIjN6thrust23THRUST_200600_302600_NS5tupleIffNS7_9null_typeES9_S9_S9_S9_S9_S9_S9_EEEEZNS1_21radix_sort_block_sortIS4_Lb0ENS7_6detail15normal_iteratorINS7_10device_ptrIjEEEESH_NSE_INSF_ISA_EEEESJ_NS0_19identity_decomposerEEE10hipError_tT1_T2_T3_T4_jRjT5_jjP12ihipStream_tbEUlT_E_NS1_11comp_targetILNS1_3genE3ELNS1_11target_archE908ELNS1_3gpuE7ELNS1_3repE0EEENS1_44radix_sort_block_sort_config_static_selectorELNS0_4arch9wavefront6targetE0EEEvSM_.has_dyn_sized_stack, 0
	.set _ZN7rocprim17ROCPRIM_400000_NS6detail17trampoline_kernelINS0_13kernel_configILj256ELj4ELj4294967295EEENS1_37radix_sort_block_sort_config_selectorIjN6thrust23THRUST_200600_302600_NS5tupleIffNS7_9null_typeES9_S9_S9_S9_S9_S9_S9_EEEEZNS1_21radix_sort_block_sortIS4_Lb0ENS7_6detail15normal_iteratorINS7_10device_ptrIjEEEESH_NSE_INSF_ISA_EEEESJ_NS0_19identity_decomposerEEE10hipError_tT1_T2_T3_T4_jRjT5_jjP12ihipStream_tbEUlT_E_NS1_11comp_targetILNS1_3genE3ELNS1_11target_archE908ELNS1_3gpuE7ELNS1_3repE0EEENS1_44radix_sort_block_sort_config_static_selectorELNS0_4arch9wavefront6targetE0EEEvSM_.has_recursion, 0
	.set _ZN7rocprim17ROCPRIM_400000_NS6detail17trampoline_kernelINS0_13kernel_configILj256ELj4ELj4294967295EEENS1_37radix_sort_block_sort_config_selectorIjN6thrust23THRUST_200600_302600_NS5tupleIffNS7_9null_typeES9_S9_S9_S9_S9_S9_S9_EEEEZNS1_21radix_sort_block_sortIS4_Lb0ENS7_6detail15normal_iteratorINS7_10device_ptrIjEEEESH_NSE_INSF_ISA_EEEESJ_NS0_19identity_decomposerEEE10hipError_tT1_T2_T3_T4_jRjT5_jjP12ihipStream_tbEUlT_E_NS1_11comp_targetILNS1_3genE3ELNS1_11target_archE908ELNS1_3gpuE7ELNS1_3repE0EEENS1_44radix_sort_block_sort_config_static_selectorELNS0_4arch9wavefront6targetE0EEEvSM_.has_indirect_call, 0
	.section	.AMDGPU.csdata,"",@progbits
; Kernel info:
; codeLenInByte = 0
; TotalNumSgprs: 0
; NumVgprs: 0
; ScratchSize: 0
; MemoryBound: 0
; FloatMode: 240
; IeeeMode: 1
; LDSByteSize: 0 bytes/workgroup (compile time only)
; SGPRBlocks: 0
; VGPRBlocks: 0
; NumSGPRsForWavesPerEU: 1
; NumVGPRsForWavesPerEU: 1
; Occupancy: 16
; WaveLimiterHint : 0
; COMPUTE_PGM_RSRC2:SCRATCH_EN: 0
; COMPUTE_PGM_RSRC2:USER_SGPR: 2
; COMPUTE_PGM_RSRC2:TRAP_HANDLER: 0
; COMPUTE_PGM_RSRC2:TGID_X_EN: 1
; COMPUTE_PGM_RSRC2:TGID_Y_EN: 0
; COMPUTE_PGM_RSRC2:TGID_Z_EN: 0
; COMPUTE_PGM_RSRC2:TIDIG_COMP_CNT: 0
	.section	.text._ZN7rocprim17ROCPRIM_400000_NS6detail17trampoline_kernelINS0_13kernel_configILj256ELj4ELj4294967295EEENS1_37radix_sort_block_sort_config_selectorIjN6thrust23THRUST_200600_302600_NS5tupleIffNS7_9null_typeES9_S9_S9_S9_S9_S9_S9_EEEEZNS1_21radix_sort_block_sortIS4_Lb0ENS7_6detail15normal_iteratorINS7_10device_ptrIjEEEESH_NSE_INSF_ISA_EEEESJ_NS0_19identity_decomposerEEE10hipError_tT1_T2_T3_T4_jRjT5_jjP12ihipStream_tbEUlT_E_NS1_11comp_targetILNS1_3genE2ELNS1_11target_archE906ELNS1_3gpuE6ELNS1_3repE0EEENS1_44radix_sort_block_sort_config_static_selectorELNS0_4arch9wavefront6targetE0EEEvSM_,"axG",@progbits,_ZN7rocprim17ROCPRIM_400000_NS6detail17trampoline_kernelINS0_13kernel_configILj256ELj4ELj4294967295EEENS1_37radix_sort_block_sort_config_selectorIjN6thrust23THRUST_200600_302600_NS5tupleIffNS7_9null_typeES9_S9_S9_S9_S9_S9_S9_EEEEZNS1_21radix_sort_block_sortIS4_Lb0ENS7_6detail15normal_iteratorINS7_10device_ptrIjEEEESH_NSE_INSF_ISA_EEEESJ_NS0_19identity_decomposerEEE10hipError_tT1_T2_T3_T4_jRjT5_jjP12ihipStream_tbEUlT_E_NS1_11comp_targetILNS1_3genE2ELNS1_11target_archE906ELNS1_3gpuE6ELNS1_3repE0EEENS1_44radix_sort_block_sort_config_static_selectorELNS0_4arch9wavefront6targetE0EEEvSM_,comdat
	.protected	_ZN7rocprim17ROCPRIM_400000_NS6detail17trampoline_kernelINS0_13kernel_configILj256ELj4ELj4294967295EEENS1_37radix_sort_block_sort_config_selectorIjN6thrust23THRUST_200600_302600_NS5tupleIffNS7_9null_typeES9_S9_S9_S9_S9_S9_S9_EEEEZNS1_21radix_sort_block_sortIS4_Lb0ENS7_6detail15normal_iteratorINS7_10device_ptrIjEEEESH_NSE_INSF_ISA_EEEESJ_NS0_19identity_decomposerEEE10hipError_tT1_T2_T3_T4_jRjT5_jjP12ihipStream_tbEUlT_E_NS1_11comp_targetILNS1_3genE2ELNS1_11target_archE906ELNS1_3gpuE6ELNS1_3repE0EEENS1_44radix_sort_block_sort_config_static_selectorELNS0_4arch9wavefront6targetE0EEEvSM_ ; -- Begin function _ZN7rocprim17ROCPRIM_400000_NS6detail17trampoline_kernelINS0_13kernel_configILj256ELj4ELj4294967295EEENS1_37radix_sort_block_sort_config_selectorIjN6thrust23THRUST_200600_302600_NS5tupleIffNS7_9null_typeES9_S9_S9_S9_S9_S9_S9_EEEEZNS1_21radix_sort_block_sortIS4_Lb0ENS7_6detail15normal_iteratorINS7_10device_ptrIjEEEESH_NSE_INSF_ISA_EEEESJ_NS0_19identity_decomposerEEE10hipError_tT1_T2_T3_T4_jRjT5_jjP12ihipStream_tbEUlT_E_NS1_11comp_targetILNS1_3genE2ELNS1_11target_archE906ELNS1_3gpuE6ELNS1_3repE0EEENS1_44radix_sort_block_sort_config_static_selectorELNS0_4arch9wavefront6targetE0EEEvSM_
	.globl	_ZN7rocprim17ROCPRIM_400000_NS6detail17trampoline_kernelINS0_13kernel_configILj256ELj4ELj4294967295EEENS1_37radix_sort_block_sort_config_selectorIjN6thrust23THRUST_200600_302600_NS5tupleIffNS7_9null_typeES9_S9_S9_S9_S9_S9_S9_EEEEZNS1_21radix_sort_block_sortIS4_Lb0ENS7_6detail15normal_iteratorINS7_10device_ptrIjEEEESH_NSE_INSF_ISA_EEEESJ_NS0_19identity_decomposerEEE10hipError_tT1_T2_T3_T4_jRjT5_jjP12ihipStream_tbEUlT_E_NS1_11comp_targetILNS1_3genE2ELNS1_11target_archE906ELNS1_3gpuE6ELNS1_3repE0EEENS1_44radix_sort_block_sort_config_static_selectorELNS0_4arch9wavefront6targetE0EEEvSM_
	.p2align	8
	.type	_ZN7rocprim17ROCPRIM_400000_NS6detail17trampoline_kernelINS0_13kernel_configILj256ELj4ELj4294967295EEENS1_37radix_sort_block_sort_config_selectorIjN6thrust23THRUST_200600_302600_NS5tupleIffNS7_9null_typeES9_S9_S9_S9_S9_S9_S9_EEEEZNS1_21radix_sort_block_sortIS4_Lb0ENS7_6detail15normal_iteratorINS7_10device_ptrIjEEEESH_NSE_INSF_ISA_EEEESJ_NS0_19identity_decomposerEEE10hipError_tT1_T2_T3_T4_jRjT5_jjP12ihipStream_tbEUlT_E_NS1_11comp_targetILNS1_3genE2ELNS1_11target_archE906ELNS1_3gpuE6ELNS1_3repE0EEENS1_44radix_sort_block_sort_config_static_selectorELNS0_4arch9wavefront6targetE0EEEvSM_,@function
_ZN7rocprim17ROCPRIM_400000_NS6detail17trampoline_kernelINS0_13kernel_configILj256ELj4ELj4294967295EEENS1_37radix_sort_block_sort_config_selectorIjN6thrust23THRUST_200600_302600_NS5tupleIffNS7_9null_typeES9_S9_S9_S9_S9_S9_S9_EEEEZNS1_21radix_sort_block_sortIS4_Lb0ENS7_6detail15normal_iteratorINS7_10device_ptrIjEEEESH_NSE_INSF_ISA_EEEESJ_NS0_19identity_decomposerEEE10hipError_tT1_T2_T3_T4_jRjT5_jjP12ihipStream_tbEUlT_E_NS1_11comp_targetILNS1_3genE2ELNS1_11target_archE906ELNS1_3gpuE6ELNS1_3repE0EEENS1_44radix_sort_block_sort_config_static_selectorELNS0_4arch9wavefront6targetE0EEEvSM_: ; @_ZN7rocprim17ROCPRIM_400000_NS6detail17trampoline_kernelINS0_13kernel_configILj256ELj4ELj4294967295EEENS1_37radix_sort_block_sort_config_selectorIjN6thrust23THRUST_200600_302600_NS5tupleIffNS7_9null_typeES9_S9_S9_S9_S9_S9_S9_EEEEZNS1_21radix_sort_block_sortIS4_Lb0ENS7_6detail15normal_iteratorINS7_10device_ptrIjEEEESH_NSE_INSF_ISA_EEEESJ_NS0_19identity_decomposerEEE10hipError_tT1_T2_T3_T4_jRjT5_jjP12ihipStream_tbEUlT_E_NS1_11comp_targetILNS1_3genE2ELNS1_11target_archE906ELNS1_3gpuE6ELNS1_3repE0EEENS1_44radix_sort_block_sort_config_static_selectorELNS0_4arch9wavefront6targetE0EEEvSM_
; %bb.0:
	.section	.rodata,"a",@progbits
	.p2align	6, 0x0
	.amdhsa_kernel _ZN7rocprim17ROCPRIM_400000_NS6detail17trampoline_kernelINS0_13kernel_configILj256ELj4ELj4294967295EEENS1_37radix_sort_block_sort_config_selectorIjN6thrust23THRUST_200600_302600_NS5tupleIffNS7_9null_typeES9_S9_S9_S9_S9_S9_S9_EEEEZNS1_21radix_sort_block_sortIS4_Lb0ENS7_6detail15normal_iteratorINS7_10device_ptrIjEEEESH_NSE_INSF_ISA_EEEESJ_NS0_19identity_decomposerEEE10hipError_tT1_T2_T3_T4_jRjT5_jjP12ihipStream_tbEUlT_E_NS1_11comp_targetILNS1_3genE2ELNS1_11target_archE906ELNS1_3gpuE6ELNS1_3repE0EEENS1_44radix_sort_block_sort_config_static_selectorELNS0_4arch9wavefront6targetE0EEEvSM_
		.amdhsa_group_segment_fixed_size 0
		.amdhsa_private_segment_fixed_size 0
		.amdhsa_kernarg_size 48
		.amdhsa_user_sgpr_count 2
		.amdhsa_user_sgpr_dispatch_ptr 0
		.amdhsa_user_sgpr_queue_ptr 0
		.amdhsa_user_sgpr_kernarg_segment_ptr 1
		.amdhsa_user_sgpr_dispatch_id 0
		.amdhsa_user_sgpr_private_segment_size 0
		.amdhsa_wavefront_size32 1
		.amdhsa_uses_dynamic_stack 0
		.amdhsa_enable_private_segment 0
		.amdhsa_system_sgpr_workgroup_id_x 1
		.amdhsa_system_sgpr_workgroup_id_y 0
		.amdhsa_system_sgpr_workgroup_id_z 0
		.amdhsa_system_sgpr_workgroup_info 0
		.amdhsa_system_vgpr_workitem_id 0
		.amdhsa_next_free_vgpr 1
		.amdhsa_next_free_sgpr 1
		.amdhsa_reserve_vcc 0
		.amdhsa_float_round_mode_32 0
		.amdhsa_float_round_mode_16_64 0
		.amdhsa_float_denorm_mode_32 3
		.amdhsa_float_denorm_mode_16_64 3
		.amdhsa_fp16_overflow 0
		.amdhsa_workgroup_processor_mode 1
		.amdhsa_memory_ordered 1
		.amdhsa_forward_progress 1
		.amdhsa_inst_pref_size 0
		.amdhsa_round_robin_scheduling 0
		.amdhsa_exception_fp_ieee_invalid_op 0
		.amdhsa_exception_fp_denorm_src 0
		.amdhsa_exception_fp_ieee_div_zero 0
		.amdhsa_exception_fp_ieee_overflow 0
		.amdhsa_exception_fp_ieee_underflow 0
		.amdhsa_exception_fp_ieee_inexact 0
		.amdhsa_exception_int_div_zero 0
	.end_amdhsa_kernel
	.section	.text._ZN7rocprim17ROCPRIM_400000_NS6detail17trampoline_kernelINS0_13kernel_configILj256ELj4ELj4294967295EEENS1_37radix_sort_block_sort_config_selectorIjN6thrust23THRUST_200600_302600_NS5tupleIffNS7_9null_typeES9_S9_S9_S9_S9_S9_S9_EEEEZNS1_21radix_sort_block_sortIS4_Lb0ENS7_6detail15normal_iteratorINS7_10device_ptrIjEEEESH_NSE_INSF_ISA_EEEESJ_NS0_19identity_decomposerEEE10hipError_tT1_T2_T3_T4_jRjT5_jjP12ihipStream_tbEUlT_E_NS1_11comp_targetILNS1_3genE2ELNS1_11target_archE906ELNS1_3gpuE6ELNS1_3repE0EEENS1_44radix_sort_block_sort_config_static_selectorELNS0_4arch9wavefront6targetE0EEEvSM_,"axG",@progbits,_ZN7rocprim17ROCPRIM_400000_NS6detail17trampoline_kernelINS0_13kernel_configILj256ELj4ELj4294967295EEENS1_37radix_sort_block_sort_config_selectorIjN6thrust23THRUST_200600_302600_NS5tupleIffNS7_9null_typeES9_S9_S9_S9_S9_S9_S9_EEEEZNS1_21radix_sort_block_sortIS4_Lb0ENS7_6detail15normal_iteratorINS7_10device_ptrIjEEEESH_NSE_INSF_ISA_EEEESJ_NS0_19identity_decomposerEEE10hipError_tT1_T2_T3_T4_jRjT5_jjP12ihipStream_tbEUlT_E_NS1_11comp_targetILNS1_3genE2ELNS1_11target_archE906ELNS1_3gpuE6ELNS1_3repE0EEENS1_44radix_sort_block_sort_config_static_selectorELNS0_4arch9wavefront6targetE0EEEvSM_,comdat
.Lfunc_end11:
	.size	_ZN7rocprim17ROCPRIM_400000_NS6detail17trampoline_kernelINS0_13kernel_configILj256ELj4ELj4294967295EEENS1_37radix_sort_block_sort_config_selectorIjN6thrust23THRUST_200600_302600_NS5tupleIffNS7_9null_typeES9_S9_S9_S9_S9_S9_S9_EEEEZNS1_21radix_sort_block_sortIS4_Lb0ENS7_6detail15normal_iteratorINS7_10device_ptrIjEEEESH_NSE_INSF_ISA_EEEESJ_NS0_19identity_decomposerEEE10hipError_tT1_T2_T3_T4_jRjT5_jjP12ihipStream_tbEUlT_E_NS1_11comp_targetILNS1_3genE2ELNS1_11target_archE906ELNS1_3gpuE6ELNS1_3repE0EEENS1_44radix_sort_block_sort_config_static_selectorELNS0_4arch9wavefront6targetE0EEEvSM_, .Lfunc_end11-_ZN7rocprim17ROCPRIM_400000_NS6detail17trampoline_kernelINS0_13kernel_configILj256ELj4ELj4294967295EEENS1_37radix_sort_block_sort_config_selectorIjN6thrust23THRUST_200600_302600_NS5tupleIffNS7_9null_typeES9_S9_S9_S9_S9_S9_S9_EEEEZNS1_21radix_sort_block_sortIS4_Lb0ENS7_6detail15normal_iteratorINS7_10device_ptrIjEEEESH_NSE_INSF_ISA_EEEESJ_NS0_19identity_decomposerEEE10hipError_tT1_T2_T3_T4_jRjT5_jjP12ihipStream_tbEUlT_E_NS1_11comp_targetILNS1_3genE2ELNS1_11target_archE906ELNS1_3gpuE6ELNS1_3repE0EEENS1_44radix_sort_block_sort_config_static_selectorELNS0_4arch9wavefront6targetE0EEEvSM_
                                        ; -- End function
	.set _ZN7rocprim17ROCPRIM_400000_NS6detail17trampoline_kernelINS0_13kernel_configILj256ELj4ELj4294967295EEENS1_37radix_sort_block_sort_config_selectorIjN6thrust23THRUST_200600_302600_NS5tupleIffNS7_9null_typeES9_S9_S9_S9_S9_S9_S9_EEEEZNS1_21radix_sort_block_sortIS4_Lb0ENS7_6detail15normal_iteratorINS7_10device_ptrIjEEEESH_NSE_INSF_ISA_EEEESJ_NS0_19identity_decomposerEEE10hipError_tT1_T2_T3_T4_jRjT5_jjP12ihipStream_tbEUlT_E_NS1_11comp_targetILNS1_3genE2ELNS1_11target_archE906ELNS1_3gpuE6ELNS1_3repE0EEENS1_44radix_sort_block_sort_config_static_selectorELNS0_4arch9wavefront6targetE0EEEvSM_.num_vgpr, 0
	.set _ZN7rocprim17ROCPRIM_400000_NS6detail17trampoline_kernelINS0_13kernel_configILj256ELj4ELj4294967295EEENS1_37radix_sort_block_sort_config_selectorIjN6thrust23THRUST_200600_302600_NS5tupleIffNS7_9null_typeES9_S9_S9_S9_S9_S9_S9_EEEEZNS1_21radix_sort_block_sortIS4_Lb0ENS7_6detail15normal_iteratorINS7_10device_ptrIjEEEESH_NSE_INSF_ISA_EEEESJ_NS0_19identity_decomposerEEE10hipError_tT1_T2_T3_T4_jRjT5_jjP12ihipStream_tbEUlT_E_NS1_11comp_targetILNS1_3genE2ELNS1_11target_archE906ELNS1_3gpuE6ELNS1_3repE0EEENS1_44radix_sort_block_sort_config_static_selectorELNS0_4arch9wavefront6targetE0EEEvSM_.num_agpr, 0
	.set _ZN7rocprim17ROCPRIM_400000_NS6detail17trampoline_kernelINS0_13kernel_configILj256ELj4ELj4294967295EEENS1_37radix_sort_block_sort_config_selectorIjN6thrust23THRUST_200600_302600_NS5tupleIffNS7_9null_typeES9_S9_S9_S9_S9_S9_S9_EEEEZNS1_21radix_sort_block_sortIS4_Lb0ENS7_6detail15normal_iteratorINS7_10device_ptrIjEEEESH_NSE_INSF_ISA_EEEESJ_NS0_19identity_decomposerEEE10hipError_tT1_T2_T3_T4_jRjT5_jjP12ihipStream_tbEUlT_E_NS1_11comp_targetILNS1_3genE2ELNS1_11target_archE906ELNS1_3gpuE6ELNS1_3repE0EEENS1_44radix_sort_block_sort_config_static_selectorELNS0_4arch9wavefront6targetE0EEEvSM_.numbered_sgpr, 0
	.set _ZN7rocprim17ROCPRIM_400000_NS6detail17trampoline_kernelINS0_13kernel_configILj256ELj4ELj4294967295EEENS1_37radix_sort_block_sort_config_selectorIjN6thrust23THRUST_200600_302600_NS5tupleIffNS7_9null_typeES9_S9_S9_S9_S9_S9_S9_EEEEZNS1_21radix_sort_block_sortIS4_Lb0ENS7_6detail15normal_iteratorINS7_10device_ptrIjEEEESH_NSE_INSF_ISA_EEEESJ_NS0_19identity_decomposerEEE10hipError_tT1_T2_T3_T4_jRjT5_jjP12ihipStream_tbEUlT_E_NS1_11comp_targetILNS1_3genE2ELNS1_11target_archE906ELNS1_3gpuE6ELNS1_3repE0EEENS1_44radix_sort_block_sort_config_static_selectorELNS0_4arch9wavefront6targetE0EEEvSM_.num_named_barrier, 0
	.set _ZN7rocprim17ROCPRIM_400000_NS6detail17trampoline_kernelINS0_13kernel_configILj256ELj4ELj4294967295EEENS1_37radix_sort_block_sort_config_selectorIjN6thrust23THRUST_200600_302600_NS5tupleIffNS7_9null_typeES9_S9_S9_S9_S9_S9_S9_EEEEZNS1_21radix_sort_block_sortIS4_Lb0ENS7_6detail15normal_iteratorINS7_10device_ptrIjEEEESH_NSE_INSF_ISA_EEEESJ_NS0_19identity_decomposerEEE10hipError_tT1_T2_T3_T4_jRjT5_jjP12ihipStream_tbEUlT_E_NS1_11comp_targetILNS1_3genE2ELNS1_11target_archE906ELNS1_3gpuE6ELNS1_3repE0EEENS1_44radix_sort_block_sort_config_static_selectorELNS0_4arch9wavefront6targetE0EEEvSM_.private_seg_size, 0
	.set _ZN7rocprim17ROCPRIM_400000_NS6detail17trampoline_kernelINS0_13kernel_configILj256ELj4ELj4294967295EEENS1_37radix_sort_block_sort_config_selectorIjN6thrust23THRUST_200600_302600_NS5tupleIffNS7_9null_typeES9_S9_S9_S9_S9_S9_S9_EEEEZNS1_21radix_sort_block_sortIS4_Lb0ENS7_6detail15normal_iteratorINS7_10device_ptrIjEEEESH_NSE_INSF_ISA_EEEESJ_NS0_19identity_decomposerEEE10hipError_tT1_T2_T3_T4_jRjT5_jjP12ihipStream_tbEUlT_E_NS1_11comp_targetILNS1_3genE2ELNS1_11target_archE906ELNS1_3gpuE6ELNS1_3repE0EEENS1_44radix_sort_block_sort_config_static_selectorELNS0_4arch9wavefront6targetE0EEEvSM_.uses_vcc, 0
	.set _ZN7rocprim17ROCPRIM_400000_NS6detail17trampoline_kernelINS0_13kernel_configILj256ELj4ELj4294967295EEENS1_37radix_sort_block_sort_config_selectorIjN6thrust23THRUST_200600_302600_NS5tupleIffNS7_9null_typeES9_S9_S9_S9_S9_S9_S9_EEEEZNS1_21radix_sort_block_sortIS4_Lb0ENS7_6detail15normal_iteratorINS7_10device_ptrIjEEEESH_NSE_INSF_ISA_EEEESJ_NS0_19identity_decomposerEEE10hipError_tT1_T2_T3_T4_jRjT5_jjP12ihipStream_tbEUlT_E_NS1_11comp_targetILNS1_3genE2ELNS1_11target_archE906ELNS1_3gpuE6ELNS1_3repE0EEENS1_44radix_sort_block_sort_config_static_selectorELNS0_4arch9wavefront6targetE0EEEvSM_.uses_flat_scratch, 0
	.set _ZN7rocprim17ROCPRIM_400000_NS6detail17trampoline_kernelINS0_13kernel_configILj256ELj4ELj4294967295EEENS1_37radix_sort_block_sort_config_selectorIjN6thrust23THRUST_200600_302600_NS5tupleIffNS7_9null_typeES9_S9_S9_S9_S9_S9_S9_EEEEZNS1_21radix_sort_block_sortIS4_Lb0ENS7_6detail15normal_iteratorINS7_10device_ptrIjEEEESH_NSE_INSF_ISA_EEEESJ_NS0_19identity_decomposerEEE10hipError_tT1_T2_T3_T4_jRjT5_jjP12ihipStream_tbEUlT_E_NS1_11comp_targetILNS1_3genE2ELNS1_11target_archE906ELNS1_3gpuE6ELNS1_3repE0EEENS1_44radix_sort_block_sort_config_static_selectorELNS0_4arch9wavefront6targetE0EEEvSM_.has_dyn_sized_stack, 0
	.set _ZN7rocprim17ROCPRIM_400000_NS6detail17trampoline_kernelINS0_13kernel_configILj256ELj4ELj4294967295EEENS1_37radix_sort_block_sort_config_selectorIjN6thrust23THRUST_200600_302600_NS5tupleIffNS7_9null_typeES9_S9_S9_S9_S9_S9_S9_EEEEZNS1_21radix_sort_block_sortIS4_Lb0ENS7_6detail15normal_iteratorINS7_10device_ptrIjEEEESH_NSE_INSF_ISA_EEEESJ_NS0_19identity_decomposerEEE10hipError_tT1_T2_T3_T4_jRjT5_jjP12ihipStream_tbEUlT_E_NS1_11comp_targetILNS1_3genE2ELNS1_11target_archE906ELNS1_3gpuE6ELNS1_3repE0EEENS1_44radix_sort_block_sort_config_static_selectorELNS0_4arch9wavefront6targetE0EEEvSM_.has_recursion, 0
	.set _ZN7rocprim17ROCPRIM_400000_NS6detail17trampoline_kernelINS0_13kernel_configILj256ELj4ELj4294967295EEENS1_37radix_sort_block_sort_config_selectorIjN6thrust23THRUST_200600_302600_NS5tupleIffNS7_9null_typeES9_S9_S9_S9_S9_S9_S9_EEEEZNS1_21radix_sort_block_sortIS4_Lb0ENS7_6detail15normal_iteratorINS7_10device_ptrIjEEEESH_NSE_INSF_ISA_EEEESJ_NS0_19identity_decomposerEEE10hipError_tT1_T2_T3_T4_jRjT5_jjP12ihipStream_tbEUlT_E_NS1_11comp_targetILNS1_3genE2ELNS1_11target_archE906ELNS1_3gpuE6ELNS1_3repE0EEENS1_44radix_sort_block_sort_config_static_selectorELNS0_4arch9wavefront6targetE0EEEvSM_.has_indirect_call, 0
	.section	.AMDGPU.csdata,"",@progbits
; Kernel info:
; codeLenInByte = 0
; TotalNumSgprs: 0
; NumVgprs: 0
; ScratchSize: 0
; MemoryBound: 0
; FloatMode: 240
; IeeeMode: 1
; LDSByteSize: 0 bytes/workgroup (compile time only)
; SGPRBlocks: 0
; VGPRBlocks: 0
; NumSGPRsForWavesPerEU: 1
; NumVGPRsForWavesPerEU: 1
; Occupancy: 16
; WaveLimiterHint : 0
; COMPUTE_PGM_RSRC2:SCRATCH_EN: 0
; COMPUTE_PGM_RSRC2:USER_SGPR: 2
; COMPUTE_PGM_RSRC2:TRAP_HANDLER: 0
; COMPUTE_PGM_RSRC2:TGID_X_EN: 1
; COMPUTE_PGM_RSRC2:TGID_Y_EN: 0
; COMPUTE_PGM_RSRC2:TGID_Z_EN: 0
; COMPUTE_PGM_RSRC2:TIDIG_COMP_CNT: 0
	.section	.text._ZN7rocprim17ROCPRIM_400000_NS6detail17trampoline_kernelINS0_13kernel_configILj256ELj4ELj4294967295EEENS1_37radix_sort_block_sort_config_selectorIjN6thrust23THRUST_200600_302600_NS5tupleIffNS7_9null_typeES9_S9_S9_S9_S9_S9_S9_EEEEZNS1_21radix_sort_block_sortIS4_Lb0ENS7_6detail15normal_iteratorINS7_10device_ptrIjEEEESH_NSE_INSF_ISA_EEEESJ_NS0_19identity_decomposerEEE10hipError_tT1_T2_T3_T4_jRjT5_jjP12ihipStream_tbEUlT_E_NS1_11comp_targetILNS1_3genE10ELNS1_11target_archE1201ELNS1_3gpuE5ELNS1_3repE0EEENS1_44radix_sort_block_sort_config_static_selectorELNS0_4arch9wavefront6targetE0EEEvSM_,"axG",@progbits,_ZN7rocprim17ROCPRIM_400000_NS6detail17trampoline_kernelINS0_13kernel_configILj256ELj4ELj4294967295EEENS1_37radix_sort_block_sort_config_selectorIjN6thrust23THRUST_200600_302600_NS5tupleIffNS7_9null_typeES9_S9_S9_S9_S9_S9_S9_EEEEZNS1_21radix_sort_block_sortIS4_Lb0ENS7_6detail15normal_iteratorINS7_10device_ptrIjEEEESH_NSE_INSF_ISA_EEEESJ_NS0_19identity_decomposerEEE10hipError_tT1_T2_T3_T4_jRjT5_jjP12ihipStream_tbEUlT_E_NS1_11comp_targetILNS1_3genE10ELNS1_11target_archE1201ELNS1_3gpuE5ELNS1_3repE0EEENS1_44radix_sort_block_sort_config_static_selectorELNS0_4arch9wavefront6targetE0EEEvSM_,comdat
	.protected	_ZN7rocprim17ROCPRIM_400000_NS6detail17trampoline_kernelINS0_13kernel_configILj256ELj4ELj4294967295EEENS1_37radix_sort_block_sort_config_selectorIjN6thrust23THRUST_200600_302600_NS5tupleIffNS7_9null_typeES9_S9_S9_S9_S9_S9_S9_EEEEZNS1_21radix_sort_block_sortIS4_Lb0ENS7_6detail15normal_iteratorINS7_10device_ptrIjEEEESH_NSE_INSF_ISA_EEEESJ_NS0_19identity_decomposerEEE10hipError_tT1_T2_T3_T4_jRjT5_jjP12ihipStream_tbEUlT_E_NS1_11comp_targetILNS1_3genE10ELNS1_11target_archE1201ELNS1_3gpuE5ELNS1_3repE0EEENS1_44radix_sort_block_sort_config_static_selectorELNS0_4arch9wavefront6targetE0EEEvSM_ ; -- Begin function _ZN7rocprim17ROCPRIM_400000_NS6detail17trampoline_kernelINS0_13kernel_configILj256ELj4ELj4294967295EEENS1_37radix_sort_block_sort_config_selectorIjN6thrust23THRUST_200600_302600_NS5tupleIffNS7_9null_typeES9_S9_S9_S9_S9_S9_S9_EEEEZNS1_21radix_sort_block_sortIS4_Lb0ENS7_6detail15normal_iteratorINS7_10device_ptrIjEEEESH_NSE_INSF_ISA_EEEESJ_NS0_19identity_decomposerEEE10hipError_tT1_T2_T3_T4_jRjT5_jjP12ihipStream_tbEUlT_E_NS1_11comp_targetILNS1_3genE10ELNS1_11target_archE1201ELNS1_3gpuE5ELNS1_3repE0EEENS1_44radix_sort_block_sort_config_static_selectorELNS0_4arch9wavefront6targetE0EEEvSM_
	.globl	_ZN7rocprim17ROCPRIM_400000_NS6detail17trampoline_kernelINS0_13kernel_configILj256ELj4ELj4294967295EEENS1_37radix_sort_block_sort_config_selectorIjN6thrust23THRUST_200600_302600_NS5tupleIffNS7_9null_typeES9_S9_S9_S9_S9_S9_S9_EEEEZNS1_21radix_sort_block_sortIS4_Lb0ENS7_6detail15normal_iteratorINS7_10device_ptrIjEEEESH_NSE_INSF_ISA_EEEESJ_NS0_19identity_decomposerEEE10hipError_tT1_T2_T3_T4_jRjT5_jjP12ihipStream_tbEUlT_E_NS1_11comp_targetILNS1_3genE10ELNS1_11target_archE1201ELNS1_3gpuE5ELNS1_3repE0EEENS1_44radix_sort_block_sort_config_static_selectorELNS0_4arch9wavefront6targetE0EEEvSM_
	.p2align	8
	.type	_ZN7rocprim17ROCPRIM_400000_NS6detail17trampoline_kernelINS0_13kernel_configILj256ELj4ELj4294967295EEENS1_37radix_sort_block_sort_config_selectorIjN6thrust23THRUST_200600_302600_NS5tupleIffNS7_9null_typeES9_S9_S9_S9_S9_S9_S9_EEEEZNS1_21radix_sort_block_sortIS4_Lb0ENS7_6detail15normal_iteratorINS7_10device_ptrIjEEEESH_NSE_INSF_ISA_EEEESJ_NS0_19identity_decomposerEEE10hipError_tT1_T2_T3_T4_jRjT5_jjP12ihipStream_tbEUlT_E_NS1_11comp_targetILNS1_3genE10ELNS1_11target_archE1201ELNS1_3gpuE5ELNS1_3repE0EEENS1_44radix_sort_block_sort_config_static_selectorELNS0_4arch9wavefront6targetE0EEEvSM_,@function
_ZN7rocprim17ROCPRIM_400000_NS6detail17trampoline_kernelINS0_13kernel_configILj256ELj4ELj4294967295EEENS1_37radix_sort_block_sort_config_selectorIjN6thrust23THRUST_200600_302600_NS5tupleIffNS7_9null_typeES9_S9_S9_S9_S9_S9_S9_EEEEZNS1_21radix_sort_block_sortIS4_Lb0ENS7_6detail15normal_iteratorINS7_10device_ptrIjEEEESH_NSE_INSF_ISA_EEEESJ_NS0_19identity_decomposerEEE10hipError_tT1_T2_T3_T4_jRjT5_jjP12ihipStream_tbEUlT_E_NS1_11comp_targetILNS1_3genE10ELNS1_11target_archE1201ELNS1_3gpuE5ELNS1_3repE0EEENS1_44radix_sort_block_sort_config_static_selectorELNS0_4arch9wavefront6targetE0EEEvSM_: ; @_ZN7rocprim17ROCPRIM_400000_NS6detail17trampoline_kernelINS0_13kernel_configILj256ELj4ELj4294967295EEENS1_37radix_sort_block_sort_config_selectorIjN6thrust23THRUST_200600_302600_NS5tupleIffNS7_9null_typeES9_S9_S9_S9_S9_S9_S9_EEEEZNS1_21radix_sort_block_sortIS4_Lb0ENS7_6detail15normal_iteratorINS7_10device_ptrIjEEEESH_NSE_INSF_ISA_EEEESJ_NS0_19identity_decomposerEEE10hipError_tT1_T2_T3_T4_jRjT5_jjP12ihipStream_tbEUlT_E_NS1_11comp_targetILNS1_3genE10ELNS1_11target_archE1201ELNS1_3gpuE5ELNS1_3repE0EEENS1_44radix_sort_block_sort_config_static_selectorELNS0_4arch9wavefront6targetE0EEEvSM_
; %bb.0:
	s_clause 0x1
	s_load_b32 s2, s[0:1], 0x20
	s_load_b256 s[12:19], s[0:1], 0x0
	v_and_b32_e32 v16, 0x3ff, v0
	v_mbcnt_lo_u32_b32 v18, -1, 0
	s_mov_b32 s21, 0
	s_delay_alu instid0(VALU_DEP_2) | instskip(NEXT) | instid1(VALU_DEP_2)
	v_lshlrev_b32_e32 v29, 2, v16
	v_lshlrev_b32_e32 v17, 2, v18
	;; [unrolled: 1-line block ×3, first 2 shown]
	s_delay_alu instid0(VALU_DEP_3) | instskip(NEXT) | instid1(VALU_DEP_1)
	v_and_b32_e32 v3, 0x380, v29
	v_lshlrev_b32_e32 v1, 2, v3
	v_lshlrev_b32_e32 v19, 3, v3
	s_wait_kmcnt 0x0
	s_lshr_b32 s3, s2, 10
	s_delay_alu instid0(SALU_CYCLE_1) | instskip(SKIP_2) | instid1(SALU_CYCLE_1)
	s_cmp_lg_u32 ttmp9, s3
	s_cselect_b32 s26, -1, 0
	s_lshl_b32 s20, ttmp9, 10
	s_lshl_b64 s[22:23], s[20:21], 2
	s_cmp_eq_u32 ttmp9, s3
	s_add_nc_u64 s[4:5], s[12:13], s[22:23]
	s_mov_b32 s3, -1
	v_add_co_u32 v2, s4, s4, v17
	s_wait_alu 0xf1ff
	v_add_co_ci_u32_e64 v4, null, s5, 0, s4
	s_delay_alu instid0(VALU_DEP_2) | instskip(NEXT) | instid1(VALU_DEP_1)
	v_add_co_u32 v1, vcc_lo, v2, v1
	v_add_co_ci_u32_e64 v2, null, 0, v4, vcc_lo
	s_cbranch_scc1 .LBB12_2
; %bb.1:
	s_lshl_b64 s[4:5], s[20:21], 3
	s_wait_alu 0xfffe
	s_add_nc_u64 s[4:5], s[16:17], s[4:5]
	s_wait_alu 0xfffe
	v_add_co_u32 v4, s3, s4, v20
	s_delay_alu instid0(VALU_DEP_1)
	v_add_co_ci_u32_e64 v5, null, s5, 0, s3
	s_mov_b32 s3, s21
	v_add_co_u32 v14, vcc_lo, v4, v19
	s_wait_alu 0xfffd
	v_add_co_ci_u32_e64 v15, null, 0, v5, vcc_lo
	s_clause 0x3
	global_load_b32 v4, v[1:2], off
	global_load_b32 v5, v[1:2], off offset:128
	global_load_b32 v6, v[1:2], off offset:256
	;; [unrolled: 1-line block ×3, first 2 shown]
	s_clause 0x3
	global_load_b64 v[8:9], v[14:15], off
	global_load_b64 v[10:11], v[14:15], off offset:256
	global_load_b64 v[12:13], v[14:15], off offset:512
	;; [unrolled: 1-line block ×3, first 2 shown]
	s_load_b64 s[24:25], s[0:1], 0x28
	s_and_not1_b32 vcc_lo, exec_lo, s3
	s_sub_co_i32 s27, s2, s20
	s_wait_alu 0xfffe
	s_cbranch_vccz .LBB12_3
	s_branch .LBB12_20
.LBB12_2:
                                        ; implicit-def: $vgpr4_vgpr5_vgpr6_vgpr7
                                        ; implicit-def: $vgpr8
                                        ; implicit-def: $vgpr12
	s_load_b64 s[24:25], s[0:1], 0x28
	s_and_not1_b32 vcc_lo, exec_lo, s3
	s_sub_co_i32 s27, s2, s20
	s_wait_alu 0xfffe
	s_cbranch_vccnz .LBB12_20
.LBB12_3:
	s_wait_loadcnt 0x3
	v_or_b32_e32 v8, v18, v3
	v_mov_b32_e32 v4, -1
	s_delay_alu instid0(VALU_DEP_2) | instskip(NEXT) | instid1(VALU_DEP_2)
	v_cmp_gt_u32_e32 vcc_lo, s27, v8
	v_dual_mov_b32 v5, v4 :: v_dual_mov_b32 v6, v4
	v_mov_b32_e32 v7, v4
	s_and_saveexec_b32 s2, vcc_lo
	s_cbranch_execz .LBB12_5
; %bb.4:
	global_load_b32 v9, v[1:2], off
	s_wait_loadcnt 0x3
	v_dual_mov_b32 v10, v4 :: v_dual_mov_b32 v11, v4
	s_wait_loadcnt 0x2
	v_mov_b32_e32 v12, v4
	s_wait_loadcnt 0x0
	s_delay_alu instid0(VALU_DEP_2) | instskip(NEXT) | instid1(VALU_DEP_2)
	v_dual_mov_b32 v4, v9 :: v_dual_mov_b32 v5, v10
	v_dual_mov_b32 v6, v11 :: v_dual_mov_b32 v7, v12
.LBB12_5:
	s_wait_alu 0xfffe
	s_or_b32 exec_lo, exec_lo, s2
	v_or_b32_e32 v9, 32, v8
	s_delay_alu instid0(VALU_DEP_1)
	v_cmp_gt_u32_e64 s4, s27, v9
	s_and_saveexec_b32 s2, s4
	s_cbranch_execz .LBB12_7
; %bb.6:
	global_load_b32 v5, v[1:2], off offset:128
.LBB12_7:
	s_wait_alu 0xfffe
	s_or_b32 exec_lo, exec_lo, s2
	v_or_b32_e32 v9, 64, v8
	s_delay_alu instid0(VALU_DEP_1)
	v_cmp_gt_u32_e64 s3, s27, v9
	s_and_saveexec_b32 s2, s3
	s_cbranch_execz .LBB12_9
; %bb.8:
	global_load_b32 v6, v[1:2], off offset:256
.LBB12_9:
	;; [unrolled: 10-line block ×3, first 2 shown]
	s_wait_alu 0xfffe
	s_or_b32 exec_lo, exec_lo, s5
	s_lshl_b64 s[6:7], s[20:21], 3
	s_wait_loadcnt 0x2
	v_dual_mov_b32 v11, 0 :: v_dual_mov_b32 v8, 0
	s_add_nc_u64 s[6:7], s[16:17], s[6:7]
	v_mov_b32_e32 v9, 0
	v_add_co_u32 v1, s5, s6, v20
	s_wait_alu 0xf1ff
	v_add_co_ci_u32_e64 v2, null, s7, 0, s5
	s_delay_alu instid0(VALU_DEP_2) | instskip(SKIP_1) | instid1(VALU_DEP_2)
	v_add_co_u32 v1, s5, v1, v19
	s_wait_alu 0xf1ff
	v_add_co_ci_u32_e64 v2, null, 0, v2, s5
	s_and_saveexec_b32 s5, vcc_lo
	s_cbranch_execz .LBB12_13
; %bb.12:
	global_load_b64 v[8:9], v[1:2], off
.LBB12_13:
	s_wait_alu 0xfffe
	s_or_b32 exec_lo, exec_lo, s5
	v_mov_b32_e32 v10, 0
	s_and_saveexec_b32 s5, s4
	s_cbranch_execz .LBB12_15
; %bb.14:
	global_load_b64 v[10:11], v[1:2], off offset:256
.LBB12_15:
	s_wait_alu 0xfffe
	s_or_b32 exec_lo, exec_lo, s5
	s_wait_loadcnt 0x0
	v_dual_mov_b32 v14, 0 :: v_dual_mov_b32 v13, 0
	v_mov_b32_e32 v12, 0
	s_and_saveexec_b32 s4, s3
	s_cbranch_execz .LBB12_17
; %bb.16:
	global_load_b64 v[12:13], v[1:2], off offset:512
.LBB12_17:
	s_wait_alu 0xfffe
	s_or_b32 exec_lo, exec_lo, s4
	v_mov_b32_e32 v15, 0
	s_and_saveexec_b32 s3, s2
	s_cbranch_execz .LBB12_19
; %bb.18:
	global_load_b64 v[14:15], v[1:2], off offset:768
.LBB12_19:
	s_wait_alu 0xfffe
	s_or_b32 exec_lo, exec_lo, s3
.LBB12_20:
	s_load_b32 s9, s[0:1], 0x3c
	v_bfe_u32 v1, v0, 10, 10
	v_bfe_u32 v0, v0, 20, 10
	s_getpc_b64 s[4:5]
	s_wait_alu 0xfffe
	s_sext_i32_i16 s5, s5
	s_add_co_u32 s4, s4, _ZN7rocprim17ROCPRIM_400000_NS16block_radix_sortIjLj256ELj4EN6thrust23THRUST_200600_302600_NS5tupleIffNS3_9null_typeES5_S5_S5_S5_S5_S5_S5_EELj1ELj1ELj0ELNS0_26block_radix_rank_algorithmE1ELNS0_18block_padding_hintE2ELNS0_4arch9wavefront6targetE0EE19radix_bits_per_passE@rel32@lo+12
	s_wait_alu 0xfffe
	s_add_co_ci_u32 s5, s5, _ZN7rocprim17ROCPRIM_400000_NS16block_radix_sortIjLj256ELj4EN6thrust23THRUST_200600_302600_NS5tupleIffNS3_9null_typeES5_S5_S5_S5_S5_S5_S5_EELj1ELj1ELj0ELNS0_26block_radix_rank_algorithmE1ELNS0_18block_padding_hintE2ELNS0_4arch9wavefront6targetE0EE19radix_bits_per_passE@rel32@hi+24
	v_sub_co_u32 v22, s2, v18, 1
	s_mov_b32 s28, 0
	v_and_b32_e32 v20, 16, v18
	s_load_b32 s16, s[4:5], 0x0
	v_cmp_gt_i32_e32 vcc_lo, 0, v22
	v_and_b32_e32 v21, 0x3e0, v16
	s_mov_b32 s30, s28
	s_mov_b32 s31, s28
	v_and_b32_e32 v2, 15, v18
	v_lshrrev_b32_e32 v23, 3, v16
	v_cmp_eq_u32_e64 s8, 0, v20
	v_add3_u32 v37, v17, v17, v19
	v_mov_b32_e32 v19, s30
	v_cmp_eq_u32_e64 s4, 0, v2
	v_cmp_lt_u32_e64 s5, 1, v2
	s_wait_kmcnt 0x0
	s_lshr_b32 s7, s9, 16
	s_and_b32 s9, s9, 0xffff
	s_wait_alu 0xfffe
	v_mad_u32_u24 v0, v0, s7, v1
	v_cmp_lt_u32_e64 s6, 3, v2
	v_cmp_lt_u32_e64 s7, 7, v2
	s_wait_alu 0xfffd
	v_cndmask_b32_e32 v2, v22, v18, vcc_lo
	v_mul_i32_i24_e32 v24, 0xffffffe4, v16
	v_mad_co_u64_u32 v[0:1], null, v0, s9, v[16:17]
	v_min_u32_e32 v1, 0xe0, v21
	v_dual_mov_b32 v20, s31 :: v_dual_and_b32 v31, 0x7c, v23
	s_mov_b32 s29, s28
	v_lshlrev_b32_e32 v30, 5, v16
	v_and_b32_e32 v25, 7, v18
	v_or_b32_e32 v1, 31, v1
	v_lshrrev_b32_e32 v0, 3, v0
	v_lshl_add_u32 v36, v3, 2, v17
	v_mov_b32_e32 v17, s28
	v_cmp_gt_u32_e64 s0, 8, v16
	v_cmp_lt_u32_e64 s1, 31, v16
	v_cmp_eq_u32_e64 s3, 0, v16
	v_lshlrev_b32_e32 v33, 2, v2
	v_add_nc_u32_e32 v34, -4, v31
	v_cmp_eq_u32_e64 s12, v16, v1
	v_dual_mov_b32 v18, s29 :: v_dual_and_b32 v35, 0x1ffffffc, v0
	v_cmp_eq_u32_e64 s9, 0, v25
	v_cmp_lt_u32_e64 s10, 1, v25
	v_cmp_lt_u32_e64 s11, 3, v25
	v_add_nc_u32_e32 v32, v30, v24
	s_add_co_i32 s17, s25, s24
	s_branch .LBB12_22
.LBB12_21:                              ;   in Loop: Header=BB12_22 Depth=1
	s_wait_alu 0xfffe
	s_and_not1_b32 vcc_lo, exec_lo, s13
	s_wait_alu 0xfffe
	s_cbranch_vccz .LBB12_38
.LBB12_22:                              ; =>This Inner Loop Header: Depth=1
	s_wait_loadcnt 0x4
	v_dual_mov_b32 v0, v4 :: v_dual_mov_b32 v1, v5
	s_min_u32 s13, s16, s25
	v_dual_mov_b32 v2, v6 :: v_dual_mov_b32 v3, v7
	s_delay_alu instid0(VALU_DEP_2)
	v_lshrrev_b32_e32 v4, s24, v0
	s_wait_alu 0xfffe
	s_lshl_b32 s13, -1, s13
	ds_store_2addr_b64 v30, v[17:18], v[19:20] offset0:4 offset1:5
	ds_store_2addr_b64 v30, v[17:18], v[19:20] offset0:6 offset1:7
	s_wait_alu 0xfffe
	s_not_b32 s28, s13
	s_wait_loadcnt_dscnt 0x0
	s_wait_alu 0xfffe
	v_and_b32_e32 v5, s28, v4
	s_barrier_signal -1
	s_barrier_wait -1
	global_inv scope:SCOPE_SE
	v_and_b32_e32 v4, 1, v5
	v_lshlrev_b32_e32 v6, 30, v5
	v_lshlrev_b32_e32 v7, 29, v5
	v_dual_mov_b32 v28, v13 :: v_dual_lshlrev_b32 v21, 28, v5
	s_delay_alu instid0(VALU_DEP_4)
	v_add_co_u32 v4, s13, v4, -1
	s_wait_alu 0xf1ff
	v_cndmask_b32_e64 v22, 0, 1, s13
	v_not_b32_e32 v26, v6
	v_cmp_gt_i32_e64 s13, 0, v6
	v_not_b32_e32 v6, v7
	v_lshlrev_b32_e32 v23, 27, v5
	v_cmp_ne_u32_e32 vcc_lo, 0, v22
	v_ashrrev_i32_e32 v26, 31, v26
	v_dual_mov_b32 v27, v12 :: v_dual_lshlrev_b32 v24, 26, v5
	v_ashrrev_i32_e32 v6, 31, v6
	s_wait_alu 0xfffd
	v_xor_b32_e32 v4, vcc_lo, v4
	v_cmp_gt_i32_e32 vcc_lo, 0, v7
	v_not_b32_e32 v7, v21
	s_wait_alu 0xf1ff
	v_xor_b32_e32 v26, s13, v26
	v_cmp_gt_i32_e64 s13, 0, v21
	v_and_b32_e32 v4, exec_lo, v4
	s_wait_alu 0xfffd
	v_xor_b32_e32 v6, vcc_lo, v6
	v_ashrrev_i32_e32 v7, 31, v7
	v_lshlrev_b32_e32 v22, 24, v5
	; wave barrier
	v_and_b32_e32 v4, v4, v26
	v_mov_b32_e32 v26, v15
	v_not_b32_e32 v21, v23
	v_cmp_gt_i32_e32 vcc_lo, 0, v23
	v_not_b32_e32 v23, v24
	s_wait_alu 0xf1ff
	v_xor_b32_e32 v7, s13, v7
	v_and_b32_e32 v4, v4, v6
	v_cmp_gt_i32_e64 s13, 0, v24
	v_ashrrev_i32_e32 v21, 31, v21
	v_ashrrev_i32_e32 v23, 31, v23
	v_mov_b32_e32 v24, v11
	v_and_b32_e32 v4, v4, v7
	v_not_b32_e32 v7, v22
	s_wait_alu 0xfffd
	v_xor_b32_e32 v21, vcc_lo, v21
	s_wait_alu 0xf1ff
	v_xor_b32_e32 v23, s13, v23
	v_cmp_gt_i32_e64 s13, 0, v22
	v_dual_mov_b32 v22, v9 :: v_dual_lshlrev_b32 v25, 25, v5
	v_and_b32_e32 v4, v4, v21
	v_ashrrev_i32_e32 v7, 31, v7
	v_lshlrev_b32_e32 v5, 5, v5
	v_mov_b32_e32 v21, v8
	v_not_b32_e32 v6, v25
	v_cmp_gt_i32_e32 vcc_lo, 0, v25
	v_and_b32_e32 v4, v4, v23
	s_wait_alu 0xf1ff
	v_xor_b32_e32 v7, s13, v7
	v_mov_b32_e32 v23, v10
	v_ashrrev_i32_e32 v6, 31, v6
	v_mov_b32_e32 v25, v14
	v_add_nc_u32_e32 v13, v35, v5
	s_wait_alu 0xfffd
	s_delay_alu instid0(VALU_DEP_3) | instskip(NEXT) | instid1(VALU_DEP_1)
	v_xor_b32_e32 v6, vcc_lo, v6
	v_and_b32_e32 v4, v4, v6
	s_delay_alu instid0(VALU_DEP_1) | instskip(NEXT) | instid1(VALU_DEP_1)
	v_and_b32_e32 v4, v4, v7
	v_mbcnt_lo_u32_b32 v12, v4, 0
	v_cmp_ne_u32_e64 s13, 0, v4
	s_delay_alu instid0(VALU_DEP_2)
	v_cmp_eq_u32_e32 vcc_lo, 0, v12
	s_and_b32 s29, s13, vcc_lo
	s_wait_alu 0xfffe
	s_and_saveexec_b32 s13, s29
; %bb.23:                               ;   in Loop: Header=BB12_22 Depth=1
	v_bcnt_u32_b32 v4, v4, 0
	ds_store_b32 v13, v4 offset:32
; %bb.24:                               ;   in Loop: Header=BB12_22 Depth=1
	s_wait_alu 0xfffe
	s_or_b32 exec_lo, exec_lo, s13
	v_lshrrev_b32_e32 v4, s24, v1
	; wave barrier
	s_delay_alu instid0(VALU_DEP_1) | instskip(NEXT) | instid1(VALU_DEP_1)
	v_and_b32_e32 v4, s28, v4
	v_and_b32_e32 v5, 1, v4
	v_lshlrev_b32_e32 v6, 30, v4
	v_lshlrev_b32_e32 v7, 29, v4
	v_lshlrev_b32_e32 v8, 28, v4
	v_lshlrev_b32_e32 v10, 27, v4
	v_add_co_u32 v5, s13, v5, -1
	s_wait_alu 0xf1ff
	v_cndmask_b32_e64 v9, 0, 1, s13
	v_not_b32_e32 v15, v6
	v_cmp_gt_i32_e64 s13, 0, v6
	v_not_b32_e32 v6, v7
	v_lshlrev_b32_e32 v11, 26, v4
	v_cmp_ne_u32_e32 vcc_lo, 0, v9
	v_ashrrev_i32_e32 v15, 31, v15
	v_lshlrev_b32_e32 v14, 25, v4
	v_ashrrev_i32_e32 v6, 31, v6
	v_lshlrev_b32_e32 v9, 24, v4
	s_wait_alu 0xfffd
	v_xor_b32_e32 v5, vcc_lo, v5
	v_cmp_gt_i32_e32 vcc_lo, 0, v7
	v_not_b32_e32 v7, v8
	s_wait_alu 0xf1ff
	v_xor_b32_e32 v15, s13, v15
	v_cmp_gt_i32_e64 s13, 0, v8
	v_and_b32_e32 v5, exec_lo, v5
	v_not_b32_e32 v8, v10
	v_ashrrev_i32_e32 v7, 31, v7
	s_wait_alu 0xfffd
	v_xor_b32_e32 v6, vcc_lo, v6
	v_cmp_gt_i32_e32 vcc_lo, 0, v10
	v_and_b32_e32 v5, v5, v15
	v_not_b32_e32 v10, v11
	v_ashrrev_i32_e32 v8, 31, v8
	s_wait_alu 0xf1ff
	v_xor_b32_e32 v7, s13, v7
	v_cmp_gt_i32_e64 s13, 0, v11
	v_and_b32_e32 v5, v5, v6
	v_not_b32_e32 v6, v14
	v_ashrrev_i32_e32 v10, 31, v10
	s_wait_alu 0xfffd
	v_xor_b32_e32 v8, vcc_lo, v8
	v_cmp_gt_i32_e32 vcc_lo, 0, v14
	v_and_b32_e32 v5, v5, v7
	v_not_b32_e32 v7, v9
	v_ashrrev_i32_e32 v6, 31, v6
	s_wait_alu 0xf1ff
	v_xor_b32_e32 v10, s13, v10
	v_lshlrev_b32_e32 v4, 5, v4
	v_and_b32_e32 v5, v5, v8
	v_cmp_gt_i32_e64 s13, 0, v9
	v_ashrrev_i32_e32 v7, 31, v7
	s_wait_alu 0xfffd
	v_xor_b32_e32 v6, vcc_lo, v6
	v_add_nc_u32_e32 v15, v35, v4
	v_and_b32_e32 v5, v5, v10
	s_wait_alu 0xf1ff
	v_xor_b32_e32 v4, s13, v7
	ds_load_b32 v14, v15 offset:32
	v_and_b32_e32 v5, v5, v6
	; wave barrier
	s_delay_alu instid0(VALU_DEP_1) | instskip(NEXT) | instid1(VALU_DEP_1)
	v_and_b32_e32 v4, v5, v4
	v_mbcnt_lo_u32_b32 v38, v4, 0
	v_cmp_ne_u32_e64 s13, 0, v4
	s_delay_alu instid0(VALU_DEP_2)
	v_cmp_eq_u32_e32 vcc_lo, 0, v38
	s_and_b32 s29, s13, vcc_lo
	s_wait_alu 0xfffe
	s_and_saveexec_b32 s13, s29
	s_cbranch_execz .LBB12_26
; %bb.25:                               ;   in Loop: Header=BB12_22 Depth=1
	s_wait_dscnt 0x0
	v_bcnt_u32_b32 v4, v4, v14
	ds_store_b32 v15, v4 offset:32
.LBB12_26:                              ;   in Loop: Header=BB12_22 Depth=1
	s_wait_alu 0xfffe
	s_or_b32 exec_lo, exec_lo, s13
	v_lshrrev_b32_e32 v4, s24, v2
	; wave barrier
	s_delay_alu instid0(VALU_DEP_1) | instskip(NEXT) | instid1(VALU_DEP_1)
	v_and_b32_e32 v4, s28, v4
	v_and_b32_e32 v5, 1, v4
	v_lshlrev_b32_e32 v6, 30, v4
	v_lshlrev_b32_e32 v7, 29, v4
	;; [unrolled: 1-line block ×4, first 2 shown]
	v_add_co_u32 v5, s13, v5, -1
	s_wait_alu 0xf1ff
	v_cndmask_b32_e64 v9, 0, 1, s13
	v_not_b32_e32 v40, v6
	v_cmp_gt_i32_e64 s13, 0, v6
	v_not_b32_e32 v6, v7
	v_lshlrev_b32_e32 v11, 26, v4
	v_cmp_ne_u32_e32 vcc_lo, 0, v9
	v_ashrrev_i32_e32 v40, 31, v40
	v_lshlrev_b32_e32 v39, 25, v4
	v_ashrrev_i32_e32 v6, 31, v6
	v_lshlrev_b32_e32 v9, 24, v4
	s_wait_alu 0xfffd
	v_xor_b32_e32 v5, vcc_lo, v5
	v_cmp_gt_i32_e32 vcc_lo, 0, v7
	v_not_b32_e32 v7, v8
	s_wait_alu 0xf1ff
	v_xor_b32_e32 v40, s13, v40
	v_cmp_gt_i32_e64 s13, 0, v8
	v_and_b32_e32 v5, exec_lo, v5
	v_not_b32_e32 v8, v10
	v_ashrrev_i32_e32 v7, 31, v7
	s_wait_alu 0xfffd
	v_xor_b32_e32 v6, vcc_lo, v6
	v_cmp_gt_i32_e32 vcc_lo, 0, v10
	v_and_b32_e32 v5, v5, v40
	v_not_b32_e32 v10, v11
	v_ashrrev_i32_e32 v8, 31, v8
	s_wait_alu 0xf1ff
	v_xor_b32_e32 v7, s13, v7
	v_cmp_gt_i32_e64 s13, 0, v11
	v_and_b32_e32 v5, v5, v6
	v_not_b32_e32 v6, v39
	v_ashrrev_i32_e32 v10, 31, v10
	s_wait_alu 0xfffd
	v_xor_b32_e32 v8, vcc_lo, v8
	v_cmp_gt_i32_e32 vcc_lo, 0, v39
	v_and_b32_e32 v5, v5, v7
	v_not_b32_e32 v7, v9
	v_ashrrev_i32_e32 v6, 31, v6
	s_wait_alu 0xf1ff
	v_xor_b32_e32 v10, s13, v10
	v_lshlrev_b32_e32 v4, 5, v4
	v_and_b32_e32 v5, v5, v8
	v_cmp_gt_i32_e64 s13, 0, v9
	v_ashrrev_i32_e32 v7, 31, v7
	s_wait_alu 0xfffd
	v_xor_b32_e32 v6, vcc_lo, v6
	v_add_nc_u32_e32 v39, v35, v4
	v_and_b32_e32 v5, v5, v10
	s_wait_alu 0xf1ff
	v_xor_b32_e32 v4, s13, v7
	ds_load_b32 v40, v39 offset:32
	v_and_b32_e32 v5, v5, v6
	; wave barrier
	s_delay_alu instid0(VALU_DEP_1) | instskip(NEXT) | instid1(VALU_DEP_1)
	v_and_b32_e32 v4, v5, v4
	v_mbcnt_lo_u32_b32 v41, v4, 0
	v_cmp_ne_u32_e64 s13, 0, v4
	s_delay_alu instid0(VALU_DEP_2)
	v_cmp_eq_u32_e32 vcc_lo, 0, v41
	s_and_b32 s29, s13, vcc_lo
	s_wait_alu 0xfffe
	s_and_saveexec_b32 s13, s29
	s_cbranch_execz .LBB12_28
; %bb.27:                               ;   in Loop: Header=BB12_22 Depth=1
	s_wait_dscnt 0x0
	v_bcnt_u32_b32 v4, v4, v40
	ds_store_b32 v39, v4 offset:32
.LBB12_28:                              ;   in Loop: Header=BB12_22 Depth=1
	s_wait_alu 0xfffe
	s_or_b32 exec_lo, exec_lo, s13
	v_lshrrev_b32_e32 v4, s24, v3
	; wave barrier
	s_delay_alu instid0(VALU_DEP_1) | instskip(NEXT) | instid1(VALU_DEP_1)
	v_and_b32_e32 v4, s28, v4
	v_and_b32_e32 v5, 1, v4
	v_lshlrev_b32_e32 v6, 30, v4
	v_lshlrev_b32_e32 v7, 29, v4
	;; [unrolled: 1-line block ×4, first 2 shown]
	v_add_co_u32 v5, s13, v5, -1
	s_wait_alu 0xf1ff
	v_cndmask_b32_e64 v9, 0, 1, s13
	v_not_b32_e32 v43, v6
	v_cmp_gt_i32_e64 s13, 0, v6
	v_not_b32_e32 v6, v7
	v_lshlrev_b32_e32 v11, 26, v4
	v_cmp_ne_u32_e32 vcc_lo, 0, v9
	v_ashrrev_i32_e32 v43, 31, v43
	v_lshlrev_b32_e32 v42, 25, v4
	v_ashrrev_i32_e32 v6, 31, v6
	v_lshlrev_b32_e32 v9, 24, v4
	s_wait_alu 0xfffd
	v_xor_b32_e32 v5, vcc_lo, v5
	v_cmp_gt_i32_e32 vcc_lo, 0, v7
	v_not_b32_e32 v7, v8
	s_wait_alu 0xf1ff
	v_xor_b32_e32 v43, s13, v43
	v_cmp_gt_i32_e64 s13, 0, v8
	v_and_b32_e32 v5, exec_lo, v5
	v_not_b32_e32 v8, v10
	v_ashrrev_i32_e32 v7, 31, v7
	s_wait_alu 0xfffd
	v_xor_b32_e32 v6, vcc_lo, v6
	v_cmp_gt_i32_e32 vcc_lo, 0, v10
	v_and_b32_e32 v5, v5, v43
	v_not_b32_e32 v10, v11
	v_ashrrev_i32_e32 v8, 31, v8
	s_wait_alu 0xf1ff
	v_xor_b32_e32 v7, s13, v7
	v_cmp_gt_i32_e64 s13, 0, v11
	v_and_b32_e32 v5, v5, v6
	v_not_b32_e32 v6, v42
	v_ashrrev_i32_e32 v10, 31, v10
	s_wait_alu 0xfffd
	v_xor_b32_e32 v8, vcc_lo, v8
	v_cmp_gt_i32_e32 vcc_lo, 0, v42
	v_and_b32_e32 v5, v5, v7
	v_not_b32_e32 v7, v9
	v_ashrrev_i32_e32 v6, 31, v6
	s_wait_alu 0xf1ff
	v_xor_b32_e32 v10, s13, v10
	v_lshlrev_b32_e32 v4, 5, v4
	v_and_b32_e32 v5, v5, v8
	v_cmp_gt_i32_e64 s13, 0, v9
	v_ashrrev_i32_e32 v7, 31, v7
	s_wait_alu 0xfffd
	v_xor_b32_e32 v6, vcc_lo, v6
	v_add_nc_u32_e32 v42, v35, v4
	v_and_b32_e32 v5, v5, v10
	s_wait_alu 0xf1ff
	v_xor_b32_e32 v4, s13, v7
	ds_load_b32 v44, v42 offset:32
	v_and_b32_e32 v5, v5, v6
	; wave barrier
	s_delay_alu instid0(VALU_DEP_1) | instskip(NEXT) | instid1(VALU_DEP_1)
	v_and_b32_e32 v4, v5, v4
	v_mbcnt_lo_u32_b32 v45, v4, 0
	v_cmp_ne_u32_e64 s13, 0, v4
	s_delay_alu instid0(VALU_DEP_2)
	v_cmp_eq_u32_e32 vcc_lo, 0, v45
	s_and_b32 s28, s13, vcc_lo
	s_wait_alu 0xfffe
	s_and_saveexec_b32 s13, s28
	s_cbranch_execz .LBB12_30
; %bb.29:                               ;   in Loop: Header=BB12_22 Depth=1
	s_wait_dscnt 0x0
	v_bcnt_u32_b32 v4, v4, v44
	ds_store_b32 v42, v4 offset:32
.LBB12_30:                              ;   in Loop: Header=BB12_22 Depth=1
	s_wait_alu 0xfffe
	s_or_b32 exec_lo, exec_lo, s13
	; wave barrier
	s_wait_loadcnt_dscnt 0x0
	s_barrier_signal -1
	s_barrier_wait -1
	global_inv scope:SCOPE_SE
	ds_load_2addr_b64 v[8:11], v30 offset0:4 offset1:5
	ds_load_2addr_b64 v[4:7], v30 offset0:6 offset1:7
	s_wait_dscnt 0x1
	v_add_nc_u32_e32 v43, v9, v8
	s_delay_alu instid0(VALU_DEP_1) | instskip(SKIP_1) | instid1(VALU_DEP_1)
	v_add3_u32 v43, v43, v10, v11
	s_wait_dscnt 0x0
	v_add3_u32 v43, v43, v4, v5
	s_delay_alu instid0(VALU_DEP_1) | instskip(NEXT) | instid1(VALU_DEP_1)
	v_add3_u32 v7, v43, v6, v7
	v_mov_b32_dpp v43, v7 row_shr:1 row_mask:0xf bank_mask:0xf
	s_delay_alu instid0(VALU_DEP_1) | instskip(NEXT) | instid1(VALU_DEP_1)
	v_cndmask_b32_e64 v43, v43, 0, s4
	v_add_nc_u32_e32 v7, v43, v7
	s_delay_alu instid0(VALU_DEP_1) | instskip(NEXT) | instid1(VALU_DEP_1)
	v_mov_b32_dpp v43, v7 row_shr:2 row_mask:0xf bank_mask:0xf
	v_cndmask_b32_e64 v43, 0, v43, s5
	s_delay_alu instid0(VALU_DEP_1) | instskip(NEXT) | instid1(VALU_DEP_1)
	v_add_nc_u32_e32 v7, v7, v43
	v_mov_b32_dpp v43, v7 row_shr:4 row_mask:0xf bank_mask:0xf
	s_delay_alu instid0(VALU_DEP_1) | instskip(NEXT) | instid1(VALU_DEP_1)
	v_cndmask_b32_e64 v43, 0, v43, s6
	v_add_nc_u32_e32 v7, v7, v43
	s_delay_alu instid0(VALU_DEP_1) | instskip(NEXT) | instid1(VALU_DEP_1)
	v_mov_b32_dpp v43, v7 row_shr:8 row_mask:0xf bank_mask:0xf
	v_cndmask_b32_e64 v43, 0, v43, s7
	s_delay_alu instid0(VALU_DEP_1) | instskip(SKIP_3) | instid1(VALU_DEP_1)
	v_add_nc_u32_e32 v7, v7, v43
	ds_swizzle_b32 v43, v7 offset:swizzle(BROADCAST,32,15)
	s_wait_dscnt 0x0
	v_cndmask_b32_e64 v43, v43, 0, s8
	v_add_nc_u32_e32 v7, v7, v43
	s_and_saveexec_b32 s13, s12
; %bb.31:                               ;   in Loop: Header=BB12_22 Depth=1
	ds_store_b32 v31, v7
; %bb.32:                               ;   in Loop: Header=BB12_22 Depth=1
	s_wait_alu 0xfffe
	s_or_b32 exec_lo, exec_lo, s13
	s_wait_loadcnt_dscnt 0x0
	s_barrier_signal -1
	s_barrier_wait -1
	global_inv scope:SCOPE_SE
	s_and_saveexec_b32 s13, s0
	s_cbranch_execz .LBB12_34
; %bb.33:                               ;   in Loop: Header=BB12_22 Depth=1
	ds_load_b32 v43, v32
	s_wait_dscnt 0x0
	v_mov_b32_dpp v46, v43 row_shr:1 row_mask:0xf bank_mask:0xf
	s_delay_alu instid0(VALU_DEP_1) | instskip(NEXT) | instid1(VALU_DEP_1)
	v_cndmask_b32_e64 v46, v46, 0, s9
	v_add_nc_u32_e32 v43, v46, v43
	s_delay_alu instid0(VALU_DEP_1) | instskip(NEXT) | instid1(VALU_DEP_1)
	v_mov_b32_dpp v46, v43 row_shr:2 row_mask:0xf bank_mask:0xf
	v_cndmask_b32_e64 v46, 0, v46, s10
	s_delay_alu instid0(VALU_DEP_1) | instskip(NEXT) | instid1(VALU_DEP_1)
	v_add_nc_u32_e32 v43, v43, v46
	v_mov_b32_dpp v46, v43 row_shr:4 row_mask:0xf bank_mask:0xf
	s_delay_alu instid0(VALU_DEP_1) | instskip(NEXT) | instid1(VALU_DEP_1)
	v_cndmask_b32_e64 v46, 0, v46, s11
	v_add_nc_u32_e32 v43, v43, v46
	ds_store_b32 v32, v43
.LBB12_34:                              ;   in Loop: Header=BB12_22 Depth=1
	s_wait_alu 0xfffe
	s_or_b32 exec_lo, exec_lo, s13
	v_mov_b32_e32 v43, 0
	s_wait_loadcnt_dscnt 0x0
	s_barrier_signal -1
	s_barrier_wait -1
	global_inv scope:SCOPE_SE
	s_and_saveexec_b32 s13, s1
; %bb.35:                               ;   in Loop: Header=BB12_22 Depth=1
	ds_load_b32 v43, v34
; %bb.36:                               ;   in Loop: Header=BB12_22 Depth=1
	s_wait_alu 0xfffe
	s_or_b32 exec_lo, exec_lo, s13
	s_wait_dscnt 0x0
	v_add_nc_u32_e32 v7, v43, v7
	s_add_co_i32 s24, s24, 8
	s_mov_b32 s13, -1
	s_wait_alu 0xfffe
	s_cmp_ge_u32 s24, s17
	ds_bpermute_b32 v7, v33, v7
	s_wait_dscnt 0x0
	v_cndmask_b32_e64 v7, v7, v43, s2
	s_delay_alu instid0(VALU_DEP_1) | instskip(NEXT) | instid1(VALU_DEP_1)
	v_cndmask_b32_e64 v7, v7, 0, s3
	v_add_nc_u32_e32 v8, v7, v8
	s_delay_alu instid0(VALU_DEP_1) | instskip(NEXT) | instid1(VALU_DEP_1)
	v_add_nc_u32_e32 v9, v8, v9
	v_add_nc_u32_e32 v10, v9, v10
	s_delay_alu instid0(VALU_DEP_1) | instskip(NEXT) | instid1(VALU_DEP_1)
	v_add_nc_u32_e32 v46, v10, v11
	;; [unrolled: 3-line block ×3, first 2 shown]
	v_add_nc_u32_e32 v5, v4, v6
	ds_store_2addr_b64 v30, v[7:8], v[9:10] offset0:4 offset1:5
	ds_store_2addr_b64 v30, v[46:47], v[4:5] offset0:6 offset1:7
	s_wait_loadcnt_dscnt 0x0
	s_barrier_signal -1
	s_barrier_wait -1
	global_inv scope:SCOPE_SE
	ds_load_b32 v4, v13 offset:32
	ds_load_b32 v5, v15 offset:32
	;; [unrolled: 1-line block ×4, first 2 shown]
                                        ; implicit-def: $vgpr8
	s_wait_loadcnt_dscnt 0x0
	v_add_nc_u32_e32 v43, v4, v12
	v_add3_u32 v42, v38, v14, v5
	v_add3_u32 v39, v41, v40, v6
	;; [unrolled: 1-line block ×3, first 2 shown]
                                        ; implicit-def: $vgpr4_vgpr5_vgpr6_vgpr7
                                        ; implicit-def: $vgpr12
	s_delay_alu instid0(VALU_DEP_4) | instskip(NEXT) | instid1(VALU_DEP_4)
	v_lshlrev_b32_e32 v45, 2, v43
	v_lshlrev_b32_e32 v44, 2, v42
	s_delay_alu instid0(VALU_DEP_4) | instskip(NEXT) | instid1(VALU_DEP_4)
	v_lshlrev_b32_e32 v41, 2, v39
	v_lshlrev_b32_e32 v40, 2, v38
	s_cbranch_scc1 .LBB12_21
; %bb.37:                               ;   in Loop: Header=BB12_22 Depth=1
	v_lshl_add_u32 v8, v43, 2, v45
	v_lshl_add_u32 v9, v42, 2, v44
	;; [unrolled: 1-line block ×4, first 2 shown]
	s_barrier_signal -1
	s_barrier_wait -1
	global_inv scope:SCOPE_SE
	ds_store_b32 v45, v0
	ds_store_b32 v44, v1
	;; [unrolled: 1-line block ×4, first 2 shown]
	s_wait_loadcnt_dscnt 0x0
	s_barrier_signal -1
	s_barrier_wait -1
	global_inv scope:SCOPE_SE
	ds_load_2addr_b32 v[4:5], v36 offset1:32
	ds_load_2addr_b32 v[6:7], v36 offset0:64 offset1:96
	s_wait_loadcnt_dscnt 0x0
	s_barrier_signal -1
	s_barrier_wait -1
	global_inv scope:SCOPE_SE
	ds_store_b64 v8, v[21:22]
	ds_store_b64 v9, v[23:24]
	;; [unrolled: 1-line block ×4, first 2 shown]
	s_wait_loadcnt_dscnt 0x0
	s_barrier_signal -1
	s_barrier_wait -1
	global_inv scope:SCOPE_SE
	ds_load_2addr_b64 v[8:11], v37 offset1:32
	ds_load_2addr_b64 v[12:15], v37 offset0:64 offset1:96
	s_add_co_i32 s25, s25, -8
	s_mov_b32 s13, 0
	s_wait_loadcnt_dscnt 0x0
	s_barrier_signal -1
	s_barrier_wait -1
	global_inv scope:SCOPE_SE
	s_branch .LBB12_21
.LBB12_38:
	s_barrier_signal -1
	s_barrier_wait -1
	s_wait_loadcnt 0x0
	global_inv scope:SCOPE_SE
	ds_store_b32 v45, v0
	ds_store_b32 v44, v1
	;; [unrolled: 1-line block ×4, first 2 shown]
	v_lshl_add_u32 v0, v43, 2, v45
	v_lshlrev_b32_e32 v14, 3, v16
	v_lshl_add_u32 v1, v42, 2, v44
	v_lshl_add_u32 v2, v39, 2, v41
	;; [unrolled: 1-line block ×3, first 2 shown]
	s_wait_loadcnt_dscnt 0x0
	s_barrier_signal -1
	s_barrier_wait -1
	global_inv scope:SCOPE_SE
	ds_load_2addr_stride64_b32 v[10:11], v32 offset1:4
	ds_load_2addr_stride64_b32 v[8:9], v32 offset0:8 offset1:12
	s_wait_loadcnt_dscnt 0x0
	s_barrier_signal -1
	s_barrier_wait -1
	global_inv scope:SCOPE_SE
	ds_store_b64 v0, v[21:22]
	ds_store_b64 v1, v[23:24]
	;; [unrolled: 1-line block ×4, first 2 shown]
	s_wait_loadcnt_dscnt 0x0
	s_barrier_signal -1
	s_barrier_wait -1
	global_inv scope:SCOPE_SE
	ds_load_2addr_stride64_b64 v[4:7], v14 offset1:4
	ds_load_2addr_stride64_b64 v[0:3], v14 offset0:8 offset1:12
	s_add_nc_u64 s[0:1], s[14:15], s[22:23]
	s_and_not1_b32 vcc_lo, exec_lo, s26
	v_add_co_u32 v12, s0, s0, v29
	s_wait_alu 0xf1ff
	v_add_co_ci_u32_e64 v13, null, s1, 0, s0
	s_mov_b32 s0, -1
	s_wait_alu 0xfffe
	s_cbranch_vccnz .LBB12_40
; %bb.39:
	s_lshl_b64 s[0:1], s[20:21], 3
	s_clause 0x3
	global_store_b32 v[12:13], v10, off
	global_store_b32 v[12:13], v11, off offset:1024
	global_store_b32 v[12:13], v8, off offset:2048
	;; [unrolled: 1-line block ×3, first 2 shown]
	s_wait_alu 0xfffe
	s_add_nc_u64 s[2:3], s[18:19], s[0:1]
	s_mov_b32 s0, 0
	s_wait_dscnt 0x1
	s_clause 0x1
	global_store_b64 v14, v[4:5], s[2:3]
	global_store_b64 v14, v[6:7], s[2:3] offset:2048
	s_wait_dscnt 0x0
	s_clause 0x1
	global_store_b64 v14, v[0:1], s[2:3] offset:4096
	global_store_b64 v14, v[2:3], s[2:3] offset:6144
.LBB12_40:
	s_wait_alu 0xfffe
	s_and_not1_b32 vcc_lo, exec_lo, s0
	s_wait_alu 0xfffe
	s_cbranch_vccnz .LBB12_54
; %bb.41:
	v_cmp_gt_u32_e32 vcc_lo, s27, v16
	s_and_saveexec_b32 s0, vcc_lo
	s_cbranch_execz .LBB12_43
; %bb.42:
	global_store_b32 v[12:13], v10, off
.LBB12_43:
	s_wait_alu 0xfffe
	s_or_b32 exec_lo, exec_lo, s0
	v_add_nc_u32_e32 v10, 0x100, v16
	s_delay_alu instid0(VALU_DEP_1)
	v_cmp_gt_u32_e64 s0, s27, v10
	s_and_saveexec_b32 s1, s0
	s_cbranch_execz .LBB12_45
; %bb.44:
	global_store_b32 v[12:13], v11, off offset:1024
.LBB12_45:
	s_wait_alu 0xfffe
	s_or_b32 exec_lo, exec_lo, s1
	v_add_nc_u32_e32 v10, 0x200, v16
	s_delay_alu instid0(VALU_DEP_1)
	v_cmp_gt_u32_e64 s1, s27, v10
	s_and_saveexec_b32 s2, s1
	s_cbranch_execz .LBB12_47
; %bb.46:
	global_store_b32 v[12:13], v8, off offset:2048
.LBB12_47:
	;; [unrolled: 10-line block ×3, first 2 shown]
	s_wait_alu 0xfffe
	s_or_b32 exec_lo, exec_lo, s3
	s_lshl_b64 s[4:5], s[20:21], 3
	s_wait_alu 0xfffe
	s_add_nc_u64 s[4:5], s[18:19], s[4:5]
	s_wait_alu 0xfffe
	v_add_co_u32 v8, s3, s4, v14
	s_wait_alu 0xf1ff
	v_add_co_ci_u32_e64 v9, null, s5, 0, s3
	s_and_saveexec_b32 s3, vcc_lo
	s_cbranch_execnz .LBB12_55
; %bb.50:
	s_wait_alu 0xfffe
	s_or_b32 exec_lo, exec_lo, s3
	s_and_saveexec_b32 s3, s0
	s_cbranch_execnz .LBB12_56
.LBB12_51:
	s_wait_alu 0xfffe
	s_or_b32 exec_lo, exec_lo, s3
	s_and_saveexec_b32 s0, s1
	s_cbranch_execnz .LBB12_57
.LBB12_52:
	s_wait_alu 0xfffe
	s_or_b32 exec_lo, exec_lo, s0
	s_and_saveexec_b32 s0, s2
	s_cbranch_execz .LBB12_54
.LBB12_53:
	s_wait_dscnt 0x0
	global_store_b64 v[8:9], v[2:3], off offset:6144
.LBB12_54:
	s_endpgm
.LBB12_55:
	s_wait_dscnt 0x1
	global_store_b64 v[8:9], v[4:5], off
	s_wait_alu 0xfffe
	s_or_b32 exec_lo, exec_lo, s3
	s_and_saveexec_b32 s3, s0
	s_cbranch_execz .LBB12_51
.LBB12_56:
	s_wait_dscnt 0x1
	global_store_b64 v[8:9], v[6:7], off offset:2048
	s_wait_alu 0xfffe
	s_or_b32 exec_lo, exec_lo, s3
	s_and_saveexec_b32 s0, s1
	s_cbranch_execz .LBB12_52
.LBB12_57:
	s_wait_dscnt 0x0
	global_store_b64 v[8:9], v[0:1], off offset:4096
	s_wait_alu 0xfffe
	s_or_b32 exec_lo, exec_lo, s0
	s_and_saveexec_b32 s0, s2
	s_cbranch_execnz .LBB12_53
	s_branch .LBB12_54
	.section	.rodata,"a",@progbits
	.p2align	6, 0x0
	.amdhsa_kernel _ZN7rocprim17ROCPRIM_400000_NS6detail17trampoline_kernelINS0_13kernel_configILj256ELj4ELj4294967295EEENS1_37radix_sort_block_sort_config_selectorIjN6thrust23THRUST_200600_302600_NS5tupleIffNS7_9null_typeES9_S9_S9_S9_S9_S9_S9_EEEEZNS1_21radix_sort_block_sortIS4_Lb0ENS7_6detail15normal_iteratorINS7_10device_ptrIjEEEESH_NSE_INSF_ISA_EEEESJ_NS0_19identity_decomposerEEE10hipError_tT1_T2_T3_T4_jRjT5_jjP12ihipStream_tbEUlT_E_NS1_11comp_targetILNS1_3genE10ELNS1_11target_archE1201ELNS1_3gpuE5ELNS1_3repE0EEENS1_44radix_sort_block_sort_config_static_selectorELNS0_4arch9wavefront6targetE0EEEvSM_
		.amdhsa_group_segment_fixed_size 8224
		.amdhsa_private_segment_fixed_size 0
		.amdhsa_kernarg_size 304
		.amdhsa_user_sgpr_count 2
		.amdhsa_user_sgpr_dispatch_ptr 0
		.amdhsa_user_sgpr_queue_ptr 0
		.amdhsa_user_sgpr_kernarg_segment_ptr 1
		.amdhsa_user_sgpr_dispatch_id 0
		.amdhsa_user_sgpr_private_segment_size 0
		.amdhsa_wavefront_size32 1
		.amdhsa_uses_dynamic_stack 0
		.amdhsa_enable_private_segment 0
		.amdhsa_system_sgpr_workgroup_id_x 1
		.amdhsa_system_sgpr_workgroup_id_y 0
		.amdhsa_system_sgpr_workgroup_id_z 0
		.amdhsa_system_sgpr_workgroup_info 0
		.amdhsa_system_vgpr_workitem_id 2
		.amdhsa_next_free_vgpr 48
		.amdhsa_next_free_sgpr 32
		.amdhsa_reserve_vcc 1
		.amdhsa_float_round_mode_32 0
		.amdhsa_float_round_mode_16_64 0
		.amdhsa_float_denorm_mode_32 3
		.amdhsa_float_denorm_mode_16_64 3
		.amdhsa_fp16_overflow 0
		.amdhsa_workgroup_processor_mode 1
		.amdhsa_memory_ordered 1
		.amdhsa_forward_progress 1
		.amdhsa_inst_pref_size 35
		.amdhsa_round_robin_scheduling 0
		.amdhsa_exception_fp_ieee_invalid_op 0
		.amdhsa_exception_fp_denorm_src 0
		.amdhsa_exception_fp_ieee_div_zero 0
		.amdhsa_exception_fp_ieee_overflow 0
		.amdhsa_exception_fp_ieee_underflow 0
		.amdhsa_exception_fp_ieee_inexact 0
		.amdhsa_exception_int_div_zero 0
	.end_amdhsa_kernel
	.section	.text._ZN7rocprim17ROCPRIM_400000_NS6detail17trampoline_kernelINS0_13kernel_configILj256ELj4ELj4294967295EEENS1_37radix_sort_block_sort_config_selectorIjN6thrust23THRUST_200600_302600_NS5tupleIffNS7_9null_typeES9_S9_S9_S9_S9_S9_S9_EEEEZNS1_21radix_sort_block_sortIS4_Lb0ENS7_6detail15normal_iteratorINS7_10device_ptrIjEEEESH_NSE_INSF_ISA_EEEESJ_NS0_19identity_decomposerEEE10hipError_tT1_T2_T3_T4_jRjT5_jjP12ihipStream_tbEUlT_E_NS1_11comp_targetILNS1_3genE10ELNS1_11target_archE1201ELNS1_3gpuE5ELNS1_3repE0EEENS1_44radix_sort_block_sort_config_static_selectorELNS0_4arch9wavefront6targetE0EEEvSM_,"axG",@progbits,_ZN7rocprim17ROCPRIM_400000_NS6detail17trampoline_kernelINS0_13kernel_configILj256ELj4ELj4294967295EEENS1_37radix_sort_block_sort_config_selectorIjN6thrust23THRUST_200600_302600_NS5tupleIffNS7_9null_typeES9_S9_S9_S9_S9_S9_S9_EEEEZNS1_21radix_sort_block_sortIS4_Lb0ENS7_6detail15normal_iteratorINS7_10device_ptrIjEEEESH_NSE_INSF_ISA_EEEESJ_NS0_19identity_decomposerEEE10hipError_tT1_T2_T3_T4_jRjT5_jjP12ihipStream_tbEUlT_E_NS1_11comp_targetILNS1_3genE10ELNS1_11target_archE1201ELNS1_3gpuE5ELNS1_3repE0EEENS1_44radix_sort_block_sort_config_static_selectorELNS0_4arch9wavefront6targetE0EEEvSM_,comdat
.Lfunc_end12:
	.size	_ZN7rocprim17ROCPRIM_400000_NS6detail17trampoline_kernelINS0_13kernel_configILj256ELj4ELj4294967295EEENS1_37radix_sort_block_sort_config_selectorIjN6thrust23THRUST_200600_302600_NS5tupleIffNS7_9null_typeES9_S9_S9_S9_S9_S9_S9_EEEEZNS1_21radix_sort_block_sortIS4_Lb0ENS7_6detail15normal_iteratorINS7_10device_ptrIjEEEESH_NSE_INSF_ISA_EEEESJ_NS0_19identity_decomposerEEE10hipError_tT1_T2_T3_T4_jRjT5_jjP12ihipStream_tbEUlT_E_NS1_11comp_targetILNS1_3genE10ELNS1_11target_archE1201ELNS1_3gpuE5ELNS1_3repE0EEENS1_44radix_sort_block_sort_config_static_selectorELNS0_4arch9wavefront6targetE0EEEvSM_, .Lfunc_end12-_ZN7rocprim17ROCPRIM_400000_NS6detail17trampoline_kernelINS0_13kernel_configILj256ELj4ELj4294967295EEENS1_37radix_sort_block_sort_config_selectorIjN6thrust23THRUST_200600_302600_NS5tupleIffNS7_9null_typeES9_S9_S9_S9_S9_S9_S9_EEEEZNS1_21radix_sort_block_sortIS4_Lb0ENS7_6detail15normal_iteratorINS7_10device_ptrIjEEEESH_NSE_INSF_ISA_EEEESJ_NS0_19identity_decomposerEEE10hipError_tT1_T2_T3_T4_jRjT5_jjP12ihipStream_tbEUlT_E_NS1_11comp_targetILNS1_3genE10ELNS1_11target_archE1201ELNS1_3gpuE5ELNS1_3repE0EEENS1_44radix_sort_block_sort_config_static_selectorELNS0_4arch9wavefront6targetE0EEEvSM_
                                        ; -- End function
	.set _ZN7rocprim17ROCPRIM_400000_NS6detail17trampoline_kernelINS0_13kernel_configILj256ELj4ELj4294967295EEENS1_37radix_sort_block_sort_config_selectorIjN6thrust23THRUST_200600_302600_NS5tupleIffNS7_9null_typeES9_S9_S9_S9_S9_S9_S9_EEEEZNS1_21radix_sort_block_sortIS4_Lb0ENS7_6detail15normal_iteratorINS7_10device_ptrIjEEEESH_NSE_INSF_ISA_EEEESJ_NS0_19identity_decomposerEEE10hipError_tT1_T2_T3_T4_jRjT5_jjP12ihipStream_tbEUlT_E_NS1_11comp_targetILNS1_3genE10ELNS1_11target_archE1201ELNS1_3gpuE5ELNS1_3repE0EEENS1_44radix_sort_block_sort_config_static_selectorELNS0_4arch9wavefront6targetE0EEEvSM_.num_vgpr, 48
	.set _ZN7rocprim17ROCPRIM_400000_NS6detail17trampoline_kernelINS0_13kernel_configILj256ELj4ELj4294967295EEENS1_37radix_sort_block_sort_config_selectorIjN6thrust23THRUST_200600_302600_NS5tupleIffNS7_9null_typeES9_S9_S9_S9_S9_S9_S9_EEEEZNS1_21radix_sort_block_sortIS4_Lb0ENS7_6detail15normal_iteratorINS7_10device_ptrIjEEEESH_NSE_INSF_ISA_EEEESJ_NS0_19identity_decomposerEEE10hipError_tT1_T2_T3_T4_jRjT5_jjP12ihipStream_tbEUlT_E_NS1_11comp_targetILNS1_3genE10ELNS1_11target_archE1201ELNS1_3gpuE5ELNS1_3repE0EEENS1_44radix_sort_block_sort_config_static_selectorELNS0_4arch9wavefront6targetE0EEEvSM_.num_agpr, 0
	.set _ZN7rocprim17ROCPRIM_400000_NS6detail17trampoline_kernelINS0_13kernel_configILj256ELj4ELj4294967295EEENS1_37radix_sort_block_sort_config_selectorIjN6thrust23THRUST_200600_302600_NS5tupleIffNS7_9null_typeES9_S9_S9_S9_S9_S9_S9_EEEEZNS1_21radix_sort_block_sortIS4_Lb0ENS7_6detail15normal_iteratorINS7_10device_ptrIjEEEESH_NSE_INSF_ISA_EEEESJ_NS0_19identity_decomposerEEE10hipError_tT1_T2_T3_T4_jRjT5_jjP12ihipStream_tbEUlT_E_NS1_11comp_targetILNS1_3genE10ELNS1_11target_archE1201ELNS1_3gpuE5ELNS1_3repE0EEENS1_44radix_sort_block_sort_config_static_selectorELNS0_4arch9wavefront6targetE0EEEvSM_.numbered_sgpr, 32
	.set _ZN7rocprim17ROCPRIM_400000_NS6detail17trampoline_kernelINS0_13kernel_configILj256ELj4ELj4294967295EEENS1_37radix_sort_block_sort_config_selectorIjN6thrust23THRUST_200600_302600_NS5tupleIffNS7_9null_typeES9_S9_S9_S9_S9_S9_S9_EEEEZNS1_21radix_sort_block_sortIS4_Lb0ENS7_6detail15normal_iteratorINS7_10device_ptrIjEEEESH_NSE_INSF_ISA_EEEESJ_NS0_19identity_decomposerEEE10hipError_tT1_T2_T3_T4_jRjT5_jjP12ihipStream_tbEUlT_E_NS1_11comp_targetILNS1_3genE10ELNS1_11target_archE1201ELNS1_3gpuE5ELNS1_3repE0EEENS1_44radix_sort_block_sort_config_static_selectorELNS0_4arch9wavefront6targetE0EEEvSM_.num_named_barrier, 0
	.set _ZN7rocprim17ROCPRIM_400000_NS6detail17trampoline_kernelINS0_13kernel_configILj256ELj4ELj4294967295EEENS1_37radix_sort_block_sort_config_selectorIjN6thrust23THRUST_200600_302600_NS5tupleIffNS7_9null_typeES9_S9_S9_S9_S9_S9_S9_EEEEZNS1_21radix_sort_block_sortIS4_Lb0ENS7_6detail15normal_iteratorINS7_10device_ptrIjEEEESH_NSE_INSF_ISA_EEEESJ_NS0_19identity_decomposerEEE10hipError_tT1_T2_T3_T4_jRjT5_jjP12ihipStream_tbEUlT_E_NS1_11comp_targetILNS1_3genE10ELNS1_11target_archE1201ELNS1_3gpuE5ELNS1_3repE0EEENS1_44radix_sort_block_sort_config_static_selectorELNS0_4arch9wavefront6targetE0EEEvSM_.private_seg_size, 0
	.set _ZN7rocprim17ROCPRIM_400000_NS6detail17trampoline_kernelINS0_13kernel_configILj256ELj4ELj4294967295EEENS1_37radix_sort_block_sort_config_selectorIjN6thrust23THRUST_200600_302600_NS5tupleIffNS7_9null_typeES9_S9_S9_S9_S9_S9_S9_EEEEZNS1_21radix_sort_block_sortIS4_Lb0ENS7_6detail15normal_iteratorINS7_10device_ptrIjEEEESH_NSE_INSF_ISA_EEEESJ_NS0_19identity_decomposerEEE10hipError_tT1_T2_T3_T4_jRjT5_jjP12ihipStream_tbEUlT_E_NS1_11comp_targetILNS1_3genE10ELNS1_11target_archE1201ELNS1_3gpuE5ELNS1_3repE0EEENS1_44radix_sort_block_sort_config_static_selectorELNS0_4arch9wavefront6targetE0EEEvSM_.uses_vcc, 1
	.set _ZN7rocprim17ROCPRIM_400000_NS6detail17trampoline_kernelINS0_13kernel_configILj256ELj4ELj4294967295EEENS1_37radix_sort_block_sort_config_selectorIjN6thrust23THRUST_200600_302600_NS5tupleIffNS7_9null_typeES9_S9_S9_S9_S9_S9_S9_EEEEZNS1_21radix_sort_block_sortIS4_Lb0ENS7_6detail15normal_iteratorINS7_10device_ptrIjEEEESH_NSE_INSF_ISA_EEEESJ_NS0_19identity_decomposerEEE10hipError_tT1_T2_T3_T4_jRjT5_jjP12ihipStream_tbEUlT_E_NS1_11comp_targetILNS1_3genE10ELNS1_11target_archE1201ELNS1_3gpuE5ELNS1_3repE0EEENS1_44radix_sort_block_sort_config_static_selectorELNS0_4arch9wavefront6targetE0EEEvSM_.uses_flat_scratch, 0
	.set _ZN7rocprim17ROCPRIM_400000_NS6detail17trampoline_kernelINS0_13kernel_configILj256ELj4ELj4294967295EEENS1_37radix_sort_block_sort_config_selectorIjN6thrust23THRUST_200600_302600_NS5tupleIffNS7_9null_typeES9_S9_S9_S9_S9_S9_S9_EEEEZNS1_21radix_sort_block_sortIS4_Lb0ENS7_6detail15normal_iteratorINS7_10device_ptrIjEEEESH_NSE_INSF_ISA_EEEESJ_NS0_19identity_decomposerEEE10hipError_tT1_T2_T3_T4_jRjT5_jjP12ihipStream_tbEUlT_E_NS1_11comp_targetILNS1_3genE10ELNS1_11target_archE1201ELNS1_3gpuE5ELNS1_3repE0EEENS1_44radix_sort_block_sort_config_static_selectorELNS0_4arch9wavefront6targetE0EEEvSM_.has_dyn_sized_stack, 0
	.set _ZN7rocprim17ROCPRIM_400000_NS6detail17trampoline_kernelINS0_13kernel_configILj256ELj4ELj4294967295EEENS1_37radix_sort_block_sort_config_selectorIjN6thrust23THRUST_200600_302600_NS5tupleIffNS7_9null_typeES9_S9_S9_S9_S9_S9_S9_EEEEZNS1_21radix_sort_block_sortIS4_Lb0ENS7_6detail15normal_iteratorINS7_10device_ptrIjEEEESH_NSE_INSF_ISA_EEEESJ_NS0_19identity_decomposerEEE10hipError_tT1_T2_T3_T4_jRjT5_jjP12ihipStream_tbEUlT_E_NS1_11comp_targetILNS1_3genE10ELNS1_11target_archE1201ELNS1_3gpuE5ELNS1_3repE0EEENS1_44radix_sort_block_sort_config_static_selectorELNS0_4arch9wavefront6targetE0EEEvSM_.has_recursion, 0
	.set _ZN7rocprim17ROCPRIM_400000_NS6detail17trampoline_kernelINS0_13kernel_configILj256ELj4ELj4294967295EEENS1_37radix_sort_block_sort_config_selectorIjN6thrust23THRUST_200600_302600_NS5tupleIffNS7_9null_typeES9_S9_S9_S9_S9_S9_S9_EEEEZNS1_21radix_sort_block_sortIS4_Lb0ENS7_6detail15normal_iteratorINS7_10device_ptrIjEEEESH_NSE_INSF_ISA_EEEESJ_NS0_19identity_decomposerEEE10hipError_tT1_T2_T3_T4_jRjT5_jjP12ihipStream_tbEUlT_E_NS1_11comp_targetILNS1_3genE10ELNS1_11target_archE1201ELNS1_3gpuE5ELNS1_3repE0EEENS1_44radix_sort_block_sort_config_static_selectorELNS0_4arch9wavefront6targetE0EEEvSM_.has_indirect_call, 0
	.section	.AMDGPU.csdata,"",@progbits
; Kernel info:
; codeLenInByte = 4408
; TotalNumSgprs: 34
; NumVgprs: 48
; ScratchSize: 0
; MemoryBound: 0
; FloatMode: 240
; IeeeMode: 1
; LDSByteSize: 8224 bytes/workgroup (compile time only)
; SGPRBlocks: 0
; VGPRBlocks: 5
; NumSGPRsForWavesPerEU: 34
; NumVGPRsForWavesPerEU: 48
; Occupancy: 16
; WaveLimiterHint : 1
; COMPUTE_PGM_RSRC2:SCRATCH_EN: 0
; COMPUTE_PGM_RSRC2:USER_SGPR: 2
; COMPUTE_PGM_RSRC2:TRAP_HANDLER: 0
; COMPUTE_PGM_RSRC2:TGID_X_EN: 1
; COMPUTE_PGM_RSRC2:TGID_Y_EN: 0
; COMPUTE_PGM_RSRC2:TGID_Z_EN: 0
; COMPUTE_PGM_RSRC2:TIDIG_COMP_CNT: 2
	.section	.text._ZN7rocprim17ROCPRIM_400000_NS6detail17trampoline_kernelINS0_13kernel_configILj256ELj4ELj4294967295EEENS1_37radix_sort_block_sort_config_selectorIjN6thrust23THRUST_200600_302600_NS5tupleIffNS7_9null_typeES9_S9_S9_S9_S9_S9_S9_EEEEZNS1_21radix_sort_block_sortIS4_Lb0ENS7_6detail15normal_iteratorINS7_10device_ptrIjEEEESH_NSE_INSF_ISA_EEEESJ_NS0_19identity_decomposerEEE10hipError_tT1_T2_T3_T4_jRjT5_jjP12ihipStream_tbEUlT_E_NS1_11comp_targetILNS1_3genE10ELNS1_11target_archE1200ELNS1_3gpuE4ELNS1_3repE0EEENS1_44radix_sort_block_sort_config_static_selectorELNS0_4arch9wavefront6targetE0EEEvSM_,"axG",@progbits,_ZN7rocprim17ROCPRIM_400000_NS6detail17trampoline_kernelINS0_13kernel_configILj256ELj4ELj4294967295EEENS1_37radix_sort_block_sort_config_selectorIjN6thrust23THRUST_200600_302600_NS5tupleIffNS7_9null_typeES9_S9_S9_S9_S9_S9_S9_EEEEZNS1_21radix_sort_block_sortIS4_Lb0ENS7_6detail15normal_iteratorINS7_10device_ptrIjEEEESH_NSE_INSF_ISA_EEEESJ_NS0_19identity_decomposerEEE10hipError_tT1_T2_T3_T4_jRjT5_jjP12ihipStream_tbEUlT_E_NS1_11comp_targetILNS1_3genE10ELNS1_11target_archE1200ELNS1_3gpuE4ELNS1_3repE0EEENS1_44radix_sort_block_sort_config_static_selectorELNS0_4arch9wavefront6targetE0EEEvSM_,comdat
	.protected	_ZN7rocprim17ROCPRIM_400000_NS6detail17trampoline_kernelINS0_13kernel_configILj256ELj4ELj4294967295EEENS1_37radix_sort_block_sort_config_selectorIjN6thrust23THRUST_200600_302600_NS5tupleIffNS7_9null_typeES9_S9_S9_S9_S9_S9_S9_EEEEZNS1_21radix_sort_block_sortIS4_Lb0ENS7_6detail15normal_iteratorINS7_10device_ptrIjEEEESH_NSE_INSF_ISA_EEEESJ_NS0_19identity_decomposerEEE10hipError_tT1_T2_T3_T4_jRjT5_jjP12ihipStream_tbEUlT_E_NS1_11comp_targetILNS1_3genE10ELNS1_11target_archE1200ELNS1_3gpuE4ELNS1_3repE0EEENS1_44radix_sort_block_sort_config_static_selectorELNS0_4arch9wavefront6targetE0EEEvSM_ ; -- Begin function _ZN7rocprim17ROCPRIM_400000_NS6detail17trampoline_kernelINS0_13kernel_configILj256ELj4ELj4294967295EEENS1_37radix_sort_block_sort_config_selectorIjN6thrust23THRUST_200600_302600_NS5tupleIffNS7_9null_typeES9_S9_S9_S9_S9_S9_S9_EEEEZNS1_21radix_sort_block_sortIS4_Lb0ENS7_6detail15normal_iteratorINS7_10device_ptrIjEEEESH_NSE_INSF_ISA_EEEESJ_NS0_19identity_decomposerEEE10hipError_tT1_T2_T3_T4_jRjT5_jjP12ihipStream_tbEUlT_E_NS1_11comp_targetILNS1_3genE10ELNS1_11target_archE1200ELNS1_3gpuE4ELNS1_3repE0EEENS1_44radix_sort_block_sort_config_static_selectorELNS0_4arch9wavefront6targetE0EEEvSM_
	.globl	_ZN7rocprim17ROCPRIM_400000_NS6detail17trampoline_kernelINS0_13kernel_configILj256ELj4ELj4294967295EEENS1_37radix_sort_block_sort_config_selectorIjN6thrust23THRUST_200600_302600_NS5tupleIffNS7_9null_typeES9_S9_S9_S9_S9_S9_S9_EEEEZNS1_21radix_sort_block_sortIS4_Lb0ENS7_6detail15normal_iteratorINS7_10device_ptrIjEEEESH_NSE_INSF_ISA_EEEESJ_NS0_19identity_decomposerEEE10hipError_tT1_T2_T3_T4_jRjT5_jjP12ihipStream_tbEUlT_E_NS1_11comp_targetILNS1_3genE10ELNS1_11target_archE1200ELNS1_3gpuE4ELNS1_3repE0EEENS1_44radix_sort_block_sort_config_static_selectorELNS0_4arch9wavefront6targetE0EEEvSM_
	.p2align	8
	.type	_ZN7rocprim17ROCPRIM_400000_NS6detail17trampoline_kernelINS0_13kernel_configILj256ELj4ELj4294967295EEENS1_37radix_sort_block_sort_config_selectorIjN6thrust23THRUST_200600_302600_NS5tupleIffNS7_9null_typeES9_S9_S9_S9_S9_S9_S9_EEEEZNS1_21radix_sort_block_sortIS4_Lb0ENS7_6detail15normal_iteratorINS7_10device_ptrIjEEEESH_NSE_INSF_ISA_EEEESJ_NS0_19identity_decomposerEEE10hipError_tT1_T2_T3_T4_jRjT5_jjP12ihipStream_tbEUlT_E_NS1_11comp_targetILNS1_3genE10ELNS1_11target_archE1200ELNS1_3gpuE4ELNS1_3repE0EEENS1_44radix_sort_block_sort_config_static_selectorELNS0_4arch9wavefront6targetE0EEEvSM_,@function
_ZN7rocprim17ROCPRIM_400000_NS6detail17trampoline_kernelINS0_13kernel_configILj256ELj4ELj4294967295EEENS1_37radix_sort_block_sort_config_selectorIjN6thrust23THRUST_200600_302600_NS5tupleIffNS7_9null_typeES9_S9_S9_S9_S9_S9_S9_EEEEZNS1_21radix_sort_block_sortIS4_Lb0ENS7_6detail15normal_iteratorINS7_10device_ptrIjEEEESH_NSE_INSF_ISA_EEEESJ_NS0_19identity_decomposerEEE10hipError_tT1_T2_T3_T4_jRjT5_jjP12ihipStream_tbEUlT_E_NS1_11comp_targetILNS1_3genE10ELNS1_11target_archE1200ELNS1_3gpuE4ELNS1_3repE0EEENS1_44radix_sort_block_sort_config_static_selectorELNS0_4arch9wavefront6targetE0EEEvSM_: ; @_ZN7rocprim17ROCPRIM_400000_NS6detail17trampoline_kernelINS0_13kernel_configILj256ELj4ELj4294967295EEENS1_37radix_sort_block_sort_config_selectorIjN6thrust23THRUST_200600_302600_NS5tupleIffNS7_9null_typeES9_S9_S9_S9_S9_S9_S9_EEEEZNS1_21radix_sort_block_sortIS4_Lb0ENS7_6detail15normal_iteratorINS7_10device_ptrIjEEEESH_NSE_INSF_ISA_EEEESJ_NS0_19identity_decomposerEEE10hipError_tT1_T2_T3_T4_jRjT5_jjP12ihipStream_tbEUlT_E_NS1_11comp_targetILNS1_3genE10ELNS1_11target_archE1200ELNS1_3gpuE4ELNS1_3repE0EEENS1_44radix_sort_block_sort_config_static_selectorELNS0_4arch9wavefront6targetE0EEEvSM_
; %bb.0:
	.section	.rodata,"a",@progbits
	.p2align	6, 0x0
	.amdhsa_kernel _ZN7rocprim17ROCPRIM_400000_NS6detail17trampoline_kernelINS0_13kernel_configILj256ELj4ELj4294967295EEENS1_37radix_sort_block_sort_config_selectorIjN6thrust23THRUST_200600_302600_NS5tupleIffNS7_9null_typeES9_S9_S9_S9_S9_S9_S9_EEEEZNS1_21radix_sort_block_sortIS4_Lb0ENS7_6detail15normal_iteratorINS7_10device_ptrIjEEEESH_NSE_INSF_ISA_EEEESJ_NS0_19identity_decomposerEEE10hipError_tT1_T2_T3_T4_jRjT5_jjP12ihipStream_tbEUlT_E_NS1_11comp_targetILNS1_3genE10ELNS1_11target_archE1200ELNS1_3gpuE4ELNS1_3repE0EEENS1_44radix_sort_block_sort_config_static_selectorELNS0_4arch9wavefront6targetE0EEEvSM_
		.amdhsa_group_segment_fixed_size 0
		.amdhsa_private_segment_fixed_size 0
		.amdhsa_kernarg_size 48
		.amdhsa_user_sgpr_count 2
		.amdhsa_user_sgpr_dispatch_ptr 0
		.amdhsa_user_sgpr_queue_ptr 0
		.amdhsa_user_sgpr_kernarg_segment_ptr 1
		.amdhsa_user_sgpr_dispatch_id 0
		.amdhsa_user_sgpr_private_segment_size 0
		.amdhsa_wavefront_size32 1
		.amdhsa_uses_dynamic_stack 0
		.amdhsa_enable_private_segment 0
		.amdhsa_system_sgpr_workgroup_id_x 1
		.amdhsa_system_sgpr_workgroup_id_y 0
		.amdhsa_system_sgpr_workgroup_id_z 0
		.amdhsa_system_sgpr_workgroup_info 0
		.amdhsa_system_vgpr_workitem_id 0
		.amdhsa_next_free_vgpr 1
		.amdhsa_next_free_sgpr 1
		.amdhsa_reserve_vcc 0
		.amdhsa_float_round_mode_32 0
		.amdhsa_float_round_mode_16_64 0
		.amdhsa_float_denorm_mode_32 3
		.amdhsa_float_denorm_mode_16_64 3
		.amdhsa_fp16_overflow 0
		.amdhsa_workgroup_processor_mode 1
		.amdhsa_memory_ordered 1
		.amdhsa_forward_progress 1
		.amdhsa_inst_pref_size 0
		.amdhsa_round_robin_scheduling 0
		.amdhsa_exception_fp_ieee_invalid_op 0
		.amdhsa_exception_fp_denorm_src 0
		.amdhsa_exception_fp_ieee_div_zero 0
		.amdhsa_exception_fp_ieee_overflow 0
		.amdhsa_exception_fp_ieee_underflow 0
		.amdhsa_exception_fp_ieee_inexact 0
		.amdhsa_exception_int_div_zero 0
	.end_amdhsa_kernel
	.section	.text._ZN7rocprim17ROCPRIM_400000_NS6detail17trampoline_kernelINS0_13kernel_configILj256ELj4ELj4294967295EEENS1_37radix_sort_block_sort_config_selectorIjN6thrust23THRUST_200600_302600_NS5tupleIffNS7_9null_typeES9_S9_S9_S9_S9_S9_S9_EEEEZNS1_21radix_sort_block_sortIS4_Lb0ENS7_6detail15normal_iteratorINS7_10device_ptrIjEEEESH_NSE_INSF_ISA_EEEESJ_NS0_19identity_decomposerEEE10hipError_tT1_T2_T3_T4_jRjT5_jjP12ihipStream_tbEUlT_E_NS1_11comp_targetILNS1_3genE10ELNS1_11target_archE1200ELNS1_3gpuE4ELNS1_3repE0EEENS1_44radix_sort_block_sort_config_static_selectorELNS0_4arch9wavefront6targetE0EEEvSM_,"axG",@progbits,_ZN7rocprim17ROCPRIM_400000_NS6detail17trampoline_kernelINS0_13kernel_configILj256ELj4ELj4294967295EEENS1_37radix_sort_block_sort_config_selectorIjN6thrust23THRUST_200600_302600_NS5tupleIffNS7_9null_typeES9_S9_S9_S9_S9_S9_S9_EEEEZNS1_21radix_sort_block_sortIS4_Lb0ENS7_6detail15normal_iteratorINS7_10device_ptrIjEEEESH_NSE_INSF_ISA_EEEESJ_NS0_19identity_decomposerEEE10hipError_tT1_T2_T3_T4_jRjT5_jjP12ihipStream_tbEUlT_E_NS1_11comp_targetILNS1_3genE10ELNS1_11target_archE1200ELNS1_3gpuE4ELNS1_3repE0EEENS1_44radix_sort_block_sort_config_static_selectorELNS0_4arch9wavefront6targetE0EEEvSM_,comdat
.Lfunc_end13:
	.size	_ZN7rocprim17ROCPRIM_400000_NS6detail17trampoline_kernelINS0_13kernel_configILj256ELj4ELj4294967295EEENS1_37radix_sort_block_sort_config_selectorIjN6thrust23THRUST_200600_302600_NS5tupleIffNS7_9null_typeES9_S9_S9_S9_S9_S9_S9_EEEEZNS1_21radix_sort_block_sortIS4_Lb0ENS7_6detail15normal_iteratorINS7_10device_ptrIjEEEESH_NSE_INSF_ISA_EEEESJ_NS0_19identity_decomposerEEE10hipError_tT1_T2_T3_T4_jRjT5_jjP12ihipStream_tbEUlT_E_NS1_11comp_targetILNS1_3genE10ELNS1_11target_archE1200ELNS1_3gpuE4ELNS1_3repE0EEENS1_44radix_sort_block_sort_config_static_selectorELNS0_4arch9wavefront6targetE0EEEvSM_, .Lfunc_end13-_ZN7rocprim17ROCPRIM_400000_NS6detail17trampoline_kernelINS0_13kernel_configILj256ELj4ELj4294967295EEENS1_37radix_sort_block_sort_config_selectorIjN6thrust23THRUST_200600_302600_NS5tupleIffNS7_9null_typeES9_S9_S9_S9_S9_S9_S9_EEEEZNS1_21radix_sort_block_sortIS4_Lb0ENS7_6detail15normal_iteratorINS7_10device_ptrIjEEEESH_NSE_INSF_ISA_EEEESJ_NS0_19identity_decomposerEEE10hipError_tT1_T2_T3_T4_jRjT5_jjP12ihipStream_tbEUlT_E_NS1_11comp_targetILNS1_3genE10ELNS1_11target_archE1200ELNS1_3gpuE4ELNS1_3repE0EEENS1_44radix_sort_block_sort_config_static_selectorELNS0_4arch9wavefront6targetE0EEEvSM_
                                        ; -- End function
	.set _ZN7rocprim17ROCPRIM_400000_NS6detail17trampoline_kernelINS0_13kernel_configILj256ELj4ELj4294967295EEENS1_37radix_sort_block_sort_config_selectorIjN6thrust23THRUST_200600_302600_NS5tupleIffNS7_9null_typeES9_S9_S9_S9_S9_S9_S9_EEEEZNS1_21radix_sort_block_sortIS4_Lb0ENS7_6detail15normal_iteratorINS7_10device_ptrIjEEEESH_NSE_INSF_ISA_EEEESJ_NS0_19identity_decomposerEEE10hipError_tT1_T2_T3_T4_jRjT5_jjP12ihipStream_tbEUlT_E_NS1_11comp_targetILNS1_3genE10ELNS1_11target_archE1200ELNS1_3gpuE4ELNS1_3repE0EEENS1_44radix_sort_block_sort_config_static_selectorELNS0_4arch9wavefront6targetE0EEEvSM_.num_vgpr, 0
	.set _ZN7rocprim17ROCPRIM_400000_NS6detail17trampoline_kernelINS0_13kernel_configILj256ELj4ELj4294967295EEENS1_37radix_sort_block_sort_config_selectorIjN6thrust23THRUST_200600_302600_NS5tupleIffNS7_9null_typeES9_S9_S9_S9_S9_S9_S9_EEEEZNS1_21radix_sort_block_sortIS4_Lb0ENS7_6detail15normal_iteratorINS7_10device_ptrIjEEEESH_NSE_INSF_ISA_EEEESJ_NS0_19identity_decomposerEEE10hipError_tT1_T2_T3_T4_jRjT5_jjP12ihipStream_tbEUlT_E_NS1_11comp_targetILNS1_3genE10ELNS1_11target_archE1200ELNS1_3gpuE4ELNS1_3repE0EEENS1_44radix_sort_block_sort_config_static_selectorELNS0_4arch9wavefront6targetE0EEEvSM_.num_agpr, 0
	.set _ZN7rocprim17ROCPRIM_400000_NS6detail17trampoline_kernelINS0_13kernel_configILj256ELj4ELj4294967295EEENS1_37radix_sort_block_sort_config_selectorIjN6thrust23THRUST_200600_302600_NS5tupleIffNS7_9null_typeES9_S9_S9_S9_S9_S9_S9_EEEEZNS1_21radix_sort_block_sortIS4_Lb0ENS7_6detail15normal_iteratorINS7_10device_ptrIjEEEESH_NSE_INSF_ISA_EEEESJ_NS0_19identity_decomposerEEE10hipError_tT1_T2_T3_T4_jRjT5_jjP12ihipStream_tbEUlT_E_NS1_11comp_targetILNS1_3genE10ELNS1_11target_archE1200ELNS1_3gpuE4ELNS1_3repE0EEENS1_44radix_sort_block_sort_config_static_selectorELNS0_4arch9wavefront6targetE0EEEvSM_.numbered_sgpr, 0
	.set _ZN7rocprim17ROCPRIM_400000_NS6detail17trampoline_kernelINS0_13kernel_configILj256ELj4ELj4294967295EEENS1_37radix_sort_block_sort_config_selectorIjN6thrust23THRUST_200600_302600_NS5tupleIffNS7_9null_typeES9_S9_S9_S9_S9_S9_S9_EEEEZNS1_21radix_sort_block_sortIS4_Lb0ENS7_6detail15normal_iteratorINS7_10device_ptrIjEEEESH_NSE_INSF_ISA_EEEESJ_NS0_19identity_decomposerEEE10hipError_tT1_T2_T3_T4_jRjT5_jjP12ihipStream_tbEUlT_E_NS1_11comp_targetILNS1_3genE10ELNS1_11target_archE1200ELNS1_3gpuE4ELNS1_3repE0EEENS1_44radix_sort_block_sort_config_static_selectorELNS0_4arch9wavefront6targetE0EEEvSM_.num_named_barrier, 0
	.set _ZN7rocprim17ROCPRIM_400000_NS6detail17trampoline_kernelINS0_13kernel_configILj256ELj4ELj4294967295EEENS1_37radix_sort_block_sort_config_selectorIjN6thrust23THRUST_200600_302600_NS5tupleIffNS7_9null_typeES9_S9_S9_S9_S9_S9_S9_EEEEZNS1_21radix_sort_block_sortIS4_Lb0ENS7_6detail15normal_iteratorINS7_10device_ptrIjEEEESH_NSE_INSF_ISA_EEEESJ_NS0_19identity_decomposerEEE10hipError_tT1_T2_T3_T4_jRjT5_jjP12ihipStream_tbEUlT_E_NS1_11comp_targetILNS1_3genE10ELNS1_11target_archE1200ELNS1_3gpuE4ELNS1_3repE0EEENS1_44radix_sort_block_sort_config_static_selectorELNS0_4arch9wavefront6targetE0EEEvSM_.private_seg_size, 0
	.set _ZN7rocprim17ROCPRIM_400000_NS6detail17trampoline_kernelINS0_13kernel_configILj256ELj4ELj4294967295EEENS1_37radix_sort_block_sort_config_selectorIjN6thrust23THRUST_200600_302600_NS5tupleIffNS7_9null_typeES9_S9_S9_S9_S9_S9_S9_EEEEZNS1_21radix_sort_block_sortIS4_Lb0ENS7_6detail15normal_iteratorINS7_10device_ptrIjEEEESH_NSE_INSF_ISA_EEEESJ_NS0_19identity_decomposerEEE10hipError_tT1_T2_T3_T4_jRjT5_jjP12ihipStream_tbEUlT_E_NS1_11comp_targetILNS1_3genE10ELNS1_11target_archE1200ELNS1_3gpuE4ELNS1_3repE0EEENS1_44radix_sort_block_sort_config_static_selectorELNS0_4arch9wavefront6targetE0EEEvSM_.uses_vcc, 0
	.set _ZN7rocprim17ROCPRIM_400000_NS6detail17trampoline_kernelINS0_13kernel_configILj256ELj4ELj4294967295EEENS1_37radix_sort_block_sort_config_selectorIjN6thrust23THRUST_200600_302600_NS5tupleIffNS7_9null_typeES9_S9_S9_S9_S9_S9_S9_EEEEZNS1_21radix_sort_block_sortIS4_Lb0ENS7_6detail15normal_iteratorINS7_10device_ptrIjEEEESH_NSE_INSF_ISA_EEEESJ_NS0_19identity_decomposerEEE10hipError_tT1_T2_T3_T4_jRjT5_jjP12ihipStream_tbEUlT_E_NS1_11comp_targetILNS1_3genE10ELNS1_11target_archE1200ELNS1_3gpuE4ELNS1_3repE0EEENS1_44radix_sort_block_sort_config_static_selectorELNS0_4arch9wavefront6targetE0EEEvSM_.uses_flat_scratch, 0
	.set _ZN7rocprim17ROCPRIM_400000_NS6detail17trampoline_kernelINS0_13kernel_configILj256ELj4ELj4294967295EEENS1_37radix_sort_block_sort_config_selectorIjN6thrust23THRUST_200600_302600_NS5tupleIffNS7_9null_typeES9_S9_S9_S9_S9_S9_S9_EEEEZNS1_21radix_sort_block_sortIS4_Lb0ENS7_6detail15normal_iteratorINS7_10device_ptrIjEEEESH_NSE_INSF_ISA_EEEESJ_NS0_19identity_decomposerEEE10hipError_tT1_T2_T3_T4_jRjT5_jjP12ihipStream_tbEUlT_E_NS1_11comp_targetILNS1_3genE10ELNS1_11target_archE1200ELNS1_3gpuE4ELNS1_3repE0EEENS1_44radix_sort_block_sort_config_static_selectorELNS0_4arch9wavefront6targetE0EEEvSM_.has_dyn_sized_stack, 0
	.set _ZN7rocprim17ROCPRIM_400000_NS6detail17trampoline_kernelINS0_13kernel_configILj256ELj4ELj4294967295EEENS1_37radix_sort_block_sort_config_selectorIjN6thrust23THRUST_200600_302600_NS5tupleIffNS7_9null_typeES9_S9_S9_S9_S9_S9_S9_EEEEZNS1_21radix_sort_block_sortIS4_Lb0ENS7_6detail15normal_iteratorINS7_10device_ptrIjEEEESH_NSE_INSF_ISA_EEEESJ_NS0_19identity_decomposerEEE10hipError_tT1_T2_T3_T4_jRjT5_jjP12ihipStream_tbEUlT_E_NS1_11comp_targetILNS1_3genE10ELNS1_11target_archE1200ELNS1_3gpuE4ELNS1_3repE0EEENS1_44radix_sort_block_sort_config_static_selectorELNS0_4arch9wavefront6targetE0EEEvSM_.has_recursion, 0
	.set _ZN7rocprim17ROCPRIM_400000_NS6detail17trampoline_kernelINS0_13kernel_configILj256ELj4ELj4294967295EEENS1_37radix_sort_block_sort_config_selectorIjN6thrust23THRUST_200600_302600_NS5tupleIffNS7_9null_typeES9_S9_S9_S9_S9_S9_S9_EEEEZNS1_21radix_sort_block_sortIS4_Lb0ENS7_6detail15normal_iteratorINS7_10device_ptrIjEEEESH_NSE_INSF_ISA_EEEESJ_NS0_19identity_decomposerEEE10hipError_tT1_T2_T3_T4_jRjT5_jjP12ihipStream_tbEUlT_E_NS1_11comp_targetILNS1_3genE10ELNS1_11target_archE1200ELNS1_3gpuE4ELNS1_3repE0EEENS1_44radix_sort_block_sort_config_static_selectorELNS0_4arch9wavefront6targetE0EEEvSM_.has_indirect_call, 0
	.section	.AMDGPU.csdata,"",@progbits
; Kernel info:
; codeLenInByte = 0
; TotalNumSgprs: 0
; NumVgprs: 0
; ScratchSize: 0
; MemoryBound: 0
; FloatMode: 240
; IeeeMode: 1
; LDSByteSize: 0 bytes/workgroup (compile time only)
; SGPRBlocks: 0
; VGPRBlocks: 0
; NumSGPRsForWavesPerEU: 1
; NumVGPRsForWavesPerEU: 1
; Occupancy: 16
; WaveLimiterHint : 0
; COMPUTE_PGM_RSRC2:SCRATCH_EN: 0
; COMPUTE_PGM_RSRC2:USER_SGPR: 2
; COMPUTE_PGM_RSRC2:TRAP_HANDLER: 0
; COMPUTE_PGM_RSRC2:TGID_X_EN: 1
; COMPUTE_PGM_RSRC2:TGID_Y_EN: 0
; COMPUTE_PGM_RSRC2:TGID_Z_EN: 0
; COMPUTE_PGM_RSRC2:TIDIG_COMP_CNT: 0
	.section	.text._ZN7rocprim17ROCPRIM_400000_NS6detail17trampoline_kernelINS0_13kernel_configILj256ELj4ELj4294967295EEENS1_37radix_sort_block_sort_config_selectorIjN6thrust23THRUST_200600_302600_NS5tupleIffNS7_9null_typeES9_S9_S9_S9_S9_S9_S9_EEEEZNS1_21radix_sort_block_sortIS4_Lb0ENS7_6detail15normal_iteratorINS7_10device_ptrIjEEEESH_NSE_INSF_ISA_EEEESJ_NS0_19identity_decomposerEEE10hipError_tT1_T2_T3_T4_jRjT5_jjP12ihipStream_tbEUlT_E_NS1_11comp_targetILNS1_3genE9ELNS1_11target_archE1100ELNS1_3gpuE3ELNS1_3repE0EEENS1_44radix_sort_block_sort_config_static_selectorELNS0_4arch9wavefront6targetE0EEEvSM_,"axG",@progbits,_ZN7rocprim17ROCPRIM_400000_NS6detail17trampoline_kernelINS0_13kernel_configILj256ELj4ELj4294967295EEENS1_37radix_sort_block_sort_config_selectorIjN6thrust23THRUST_200600_302600_NS5tupleIffNS7_9null_typeES9_S9_S9_S9_S9_S9_S9_EEEEZNS1_21radix_sort_block_sortIS4_Lb0ENS7_6detail15normal_iteratorINS7_10device_ptrIjEEEESH_NSE_INSF_ISA_EEEESJ_NS0_19identity_decomposerEEE10hipError_tT1_T2_T3_T4_jRjT5_jjP12ihipStream_tbEUlT_E_NS1_11comp_targetILNS1_3genE9ELNS1_11target_archE1100ELNS1_3gpuE3ELNS1_3repE0EEENS1_44radix_sort_block_sort_config_static_selectorELNS0_4arch9wavefront6targetE0EEEvSM_,comdat
	.protected	_ZN7rocprim17ROCPRIM_400000_NS6detail17trampoline_kernelINS0_13kernel_configILj256ELj4ELj4294967295EEENS1_37radix_sort_block_sort_config_selectorIjN6thrust23THRUST_200600_302600_NS5tupleIffNS7_9null_typeES9_S9_S9_S9_S9_S9_S9_EEEEZNS1_21radix_sort_block_sortIS4_Lb0ENS7_6detail15normal_iteratorINS7_10device_ptrIjEEEESH_NSE_INSF_ISA_EEEESJ_NS0_19identity_decomposerEEE10hipError_tT1_T2_T3_T4_jRjT5_jjP12ihipStream_tbEUlT_E_NS1_11comp_targetILNS1_3genE9ELNS1_11target_archE1100ELNS1_3gpuE3ELNS1_3repE0EEENS1_44radix_sort_block_sort_config_static_selectorELNS0_4arch9wavefront6targetE0EEEvSM_ ; -- Begin function _ZN7rocprim17ROCPRIM_400000_NS6detail17trampoline_kernelINS0_13kernel_configILj256ELj4ELj4294967295EEENS1_37radix_sort_block_sort_config_selectorIjN6thrust23THRUST_200600_302600_NS5tupleIffNS7_9null_typeES9_S9_S9_S9_S9_S9_S9_EEEEZNS1_21radix_sort_block_sortIS4_Lb0ENS7_6detail15normal_iteratorINS7_10device_ptrIjEEEESH_NSE_INSF_ISA_EEEESJ_NS0_19identity_decomposerEEE10hipError_tT1_T2_T3_T4_jRjT5_jjP12ihipStream_tbEUlT_E_NS1_11comp_targetILNS1_3genE9ELNS1_11target_archE1100ELNS1_3gpuE3ELNS1_3repE0EEENS1_44radix_sort_block_sort_config_static_selectorELNS0_4arch9wavefront6targetE0EEEvSM_
	.globl	_ZN7rocprim17ROCPRIM_400000_NS6detail17trampoline_kernelINS0_13kernel_configILj256ELj4ELj4294967295EEENS1_37radix_sort_block_sort_config_selectorIjN6thrust23THRUST_200600_302600_NS5tupleIffNS7_9null_typeES9_S9_S9_S9_S9_S9_S9_EEEEZNS1_21radix_sort_block_sortIS4_Lb0ENS7_6detail15normal_iteratorINS7_10device_ptrIjEEEESH_NSE_INSF_ISA_EEEESJ_NS0_19identity_decomposerEEE10hipError_tT1_T2_T3_T4_jRjT5_jjP12ihipStream_tbEUlT_E_NS1_11comp_targetILNS1_3genE9ELNS1_11target_archE1100ELNS1_3gpuE3ELNS1_3repE0EEENS1_44radix_sort_block_sort_config_static_selectorELNS0_4arch9wavefront6targetE0EEEvSM_
	.p2align	8
	.type	_ZN7rocprim17ROCPRIM_400000_NS6detail17trampoline_kernelINS0_13kernel_configILj256ELj4ELj4294967295EEENS1_37radix_sort_block_sort_config_selectorIjN6thrust23THRUST_200600_302600_NS5tupleIffNS7_9null_typeES9_S9_S9_S9_S9_S9_S9_EEEEZNS1_21radix_sort_block_sortIS4_Lb0ENS7_6detail15normal_iteratorINS7_10device_ptrIjEEEESH_NSE_INSF_ISA_EEEESJ_NS0_19identity_decomposerEEE10hipError_tT1_T2_T3_T4_jRjT5_jjP12ihipStream_tbEUlT_E_NS1_11comp_targetILNS1_3genE9ELNS1_11target_archE1100ELNS1_3gpuE3ELNS1_3repE0EEENS1_44radix_sort_block_sort_config_static_selectorELNS0_4arch9wavefront6targetE0EEEvSM_,@function
_ZN7rocprim17ROCPRIM_400000_NS6detail17trampoline_kernelINS0_13kernel_configILj256ELj4ELj4294967295EEENS1_37radix_sort_block_sort_config_selectorIjN6thrust23THRUST_200600_302600_NS5tupleIffNS7_9null_typeES9_S9_S9_S9_S9_S9_S9_EEEEZNS1_21radix_sort_block_sortIS4_Lb0ENS7_6detail15normal_iteratorINS7_10device_ptrIjEEEESH_NSE_INSF_ISA_EEEESJ_NS0_19identity_decomposerEEE10hipError_tT1_T2_T3_T4_jRjT5_jjP12ihipStream_tbEUlT_E_NS1_11comp_targetILNS1_3genE9ELNS1_11target_archE1100ELNS1_3gpuE3ELNS1_3repE0EEENS1_44radix_sort_block_sort_config_static_selectorELNS0_4arch9wavefront6targetE0EEEvSM_: ; @_ZN7rocprim17ROCPRIM_400000_NS6detail17trampoline_kernelINS0_13kernel_configILj256ELj4ELj4294967295EEENS1_37radix_sort_block_sort_config_selectorIjN6thrust23THRUST_200600_302600_NS5tupleIffNS7_9null_typeES9_S9_S9_S9_S9_S9_S9_EEEEZNS1_21radix_sort_block_sortIS4_Lb0ENS7_6detail15normal_iteratorINS7_10device_ptrIjEEEESH_NSE_INSF_ISA_EEEESJ_NS0_19identity_decomposerEEE10hipError_tT1_T2_T3_T4_jRjT5_jjP12ihipStream_tbEUlT_E_NS1_11comp_targetILNS1_3genE9ELNS1_11target_archE1100ELNS1_3gpuE3ELNS1_3repE0EEENS1_44radix_sort_block_sort_config_static_selectorELNS0_4arch9wavefront6targetE0EEEvSM_
; %bb.0:
	.section	.rodata,"a",@progbits
	.p2align	6, 0x0
	.amdhsa_kernel _ZN7rocprim17ROCPRIM_400000_NS6detail17trampoline_kernelINS0_13kernel_configILj256ELj4ELj4294967295EEENS1_37radix_sort_block_sort_config_selectorIjN6thrust23THRUST_200600_302600_NS5tupleIffNS7_9null_typeES9_S9_S9_S9_S9_S9_S9_EEEEZNS1_21radix_sort_block_sortIS4_Lb0ENS7_6detail15normal_iteratorINS7_10device_ptrIjEEEESH_NSE_INSF_ISA_EEEESJ_NS0_19identity_decomposerEEE10hipError_tT1_T2_T3_T4_jRjT5_jjP12ihipStream_tbEUlT_E_NS1_11comp_targetILNS1_3genE9ELNS1_11target_archE1100ELNS1_3gpuE3ELNS1_3repE0EEENS1_44radix_sort_block_sort_config_static_selectorELNS0_4arch9wavefront6targetE0EEEvSM_
		.amdhsa_group_segment_fixed_size 0
		.amdhsa_private_segment_fixed_size 0
		.amdhsa_kernarg_size 48
		.amdhsa_user_sgpr_count 2
		.amdhsa_user_sgpr_dispatch_ptr 0
		.amdhsa_user_sgpr_queue_ptr 0
		.amdhsa_user_sgpr_kernarg_segment_ptr 1
		.amdhsa_user_sgpr_dispatch_id 0
		.amdhsa_user_sgpr_private_segment_size 0
		.amdhsa_wavefront_size32 1
		.amdhsa_uses_dynamic_stack 0
		.amdhsa_enable_private_segment 0
		.amdhsa_system_sgpr_workgroup_id_x 1
		.amdhsa_system_sgpr_workgroup_id_y 0
		.amdhsa_system_sgpr_workgroup_id_z 0
		.amdhsa_system_sgpr_workgroup_info 0
		.amdhsa_system_vgpr_workitem_id 0
		.amdhsa_next_free_vgpr 1
		.amdhsa_next_free_sgpr 1
		.amdhsa_reserve_vcc 0
		.amdhsa_float_round_mode_32 0
		.amdhsa_float_round_mode_16_64 0
		.amdhsa_float_denorm_mode_32 3
		.amdhsa_float_denorm_mode_16_64 3
		.amdhsa_fp16_overflow 0
		.amdhsa_workgroup_processor_mode 1
		.amdhsa_memory_ordered 1
		.amdhsa_forward_progress 1
		.amdhsa_inst_pref_size 0
		.amdhsa_round_robin_scheduling 0
		.amdhsa_exception_fp_ieee_invalid_op 0
		.amdhsa_exception_fp_denorm_src 0
		.amdhsa_exception_fp_ieee_div_zero 0
		.amdhsa_exception_fp_ieee_overflow 0
		.amdhsa_exception_fp_ieee_underflow 0
		.amdhsa_exception_fp_ieee_inexact 0
		.amdhsa_exception_int_div_zero 0
	.end_amdhsa_kernel
	.section	.text._ZN7rocprim17ROCPRIM_400000_NS6detail17trampoline_kernelINS0_13kernel_configILj256ELj4ELj4294967295EEENS1_37radix_sort_block_sort_config_selectorIjN6thrust23THRUST_200600_302600_NS5tupleIffNS7_9null_typeES9_S9_S9_S9_S9_S9_S9_EEEEZNS1_21radix_sort_block_sortIS4_Lb0ENS7_6detail15normal_iteratorINS7_10device_ptrIjEEEESH_NSE_INSF_ISA_EEEESJ_NS0_19identity_decomposerEEE10hipError_tT1_T2_T3_T4_jRjT5_jjP12ihipStream_tbEUlT_E_NS1_11comp_targetILNS1_3genE9ELNS1_11target_archE1100ELNS1_3gpuE3ELNS1_3repE0EEENS1_44radix_sort_block_sort_config_static_selectorELNS0_4arch9wavefront6targetE0EEEvSM_,"axG",@progbits,_ZN7rocprim17ROCPRIM_400000_NS6detail17trampoline_kernelINS0_13kernel_configILj256ELj4ELj4294967295EEENS1_37radix_sort_block_sort_config_selectorIjN6thrust23THRUST_200600_302600_NS5tupleIffNS7_9null_typeES9_S9_S9_S9_S9_S9_S9_EEEEZNS1_21radix_sort_block_sortIS4_Lb0ENS7_6detail15normal_iteratorINS7_10device_ptrIjEEEESH_NSE_INSF_ISA_EEEESJ_NS0_19identity_decomposerEEE10hipError_tT1_T2_T3_T4_jRjT5_jjP12ihipStream_tbEUlT_E_NS1_11comp_targetILNS1_3genE9ELNS1_11target_archE1100ELNS1_3gpuE3ELNS1_3repE0EEENS1_44radix_sort_block_sort_config_static_selectorELNS0_4arch9wavefront6targetE0EEEvSM_,comdat
.Lfunc_end14:
	.size	_ZN7rocprim17ROCPRIM_400000_NS6detail17trampoline_kernelINS0_13kernel_configILj256ELj4ELj4294967295EEENS1_37radix_sort_block_sort_config_selectorIjN6thrust23THRUST_200600_302600_NS5tupleIffNS7_9null_typeES9_S9_S9_S9_S9_S9_S9_EEEEZNS1_21radix_sort_block_sortIS4_Lb0ENS7_6detail15normal_iteratorINS7_10device_ptrIjEEEESH_NSE_INSF_ISA_EEEESJ_NS0_19identity_decomposerEEE10hipError_tT1_T2_T3_T4_jRjT5_jjP12ihipStream_tbEUlT_E_NS1_11comp_targetILNS1_3genE9ELNS1_11target_archE1100ELNS1_3gpuE3ELNS1_3repE0EEENS1_44radix_sort_block_sort_config_static_selectorELNS0_4arch9wavefront6targetE0EEEvSM_, .Lfunc_end14-_ZN7rocprim17ROCPRIM_400000_NS6detail17trampoline_kernelINS0_13kernel_configILj256ELj4ELj4294967295EEENS1_37radix_sort_block_sort_config_selectorIjN6thrust23THRUST_200600_302600_NS5tupleIffNS7_9null_typeES9_S9_S9_S9_S9_S9_S9_EEEEZNS1_21radix_sort_block_sortIS4_Lb0ENS7_6detail15normal_iteratorINS7_10device_ptrIjEEEESH_NSE_INSF_ISA_EEEESJ_NS0_19identity_decomposerEEE10hipError_tT1_T2_T3_T4_jRjT5_jjP12ihipStream_tbEUlT_E_NS1_11comp_targetILNS1_3genE9ELNS1_11target_archE1100ELNS1_3gpuE3ELNS1_3repE0EEENS1_44radix_sort_block_sort_config_static_selectorELNS0_4arch9wavefront6targetE0EEEvSM_
                                        ; -- End function
	.set _ZN7rocprim17ROCPRIM_400000_NS6detail17trampoline_kernelINS0_13kernel_configILj256ELj4ELj4294967295EEENS1_37radix_sort_block_sort_config_selectorIjN6thrust23THRUST_200600_302600_NS5tupleIffNS7_9null_typeES9_S9_S9_S9_S9_S9_S9_EEEEZNS1_21radix_sort_block_sortIS4_Lb0ENS7_6detail15normal_iteratorINS7_10device_ptrIjEEEESH_NSE_INSF_ISA_EEEESJ_NS0_19identity_decomposerEEE10hipError_tT1_T2_T3_T4_jRjT5_jjP12ihipStream_tbEUlT_E_NS1_11comp_targetILNS1_3genE9ELNS1_11target_archE1100ELNS1_3gpuE3ELNS1_3repE0EEENS1_44radix_sort_block_sort_config_static_selectorELNS0_4arch9wavefront6targetE0EEEvSM_.num_vgpr, 0
	.set _ZN7rocprim17ROCPRIM_400000_NS6detail17trampoline_kernelINS0_13kernel_configILj256ELj4ELj4294967295EEENS1_37radix_sort_block_sort_config_selectorIjN6thrust23THRUST_200600_302600_NS5tupleIffNS7_9null_typeES9_S9_S9_S9_S9_S9_S9_EEEEZNS1_21radix_sort_block_sortIS4_Lb0ENS7_6detail15normal_iteratorINS7_10device_ptrIjEEEESH_NSE_INSF_ISA_EEEESJ_NS0_19identity_decomposerEEE10hipError_tT1_T2_T3_T4_jRjT5_jjP12ihipStream_tbEUlT_E_NS1_11comp_targetILNS1_3genE9ELNS1_11target_archE1100ELNS1_3gpuE3ELNS1_3repE0EEENS1_44radix_sort_block_sort_config_static_selectorELNS0_4arch9wavefront6targetE0EEEvSM_.num_agpr, 0
	.set _ZN7rocprim17ROCPRIM_400000_NS6detail17trampoline_kernelINS0_13kernel_configILj256ELj4ELj4294967295EEENS1_37radix_sort_block_sort_config_selectorIjN6thrust23THRUST_200600_302600_NS5tupleIffNS7_9null_typeES9_S9_S9_S9_S9_S9_S9_EEEEZNS1_21radix_sort_block_sortIS4_Lb0ENS7_6detail15normal_iteratorINS7_10device_ptrIjEEEESH_NSE_INSF_ISA_EEEESJ_NS0_19identity_decomposerEEE10hipError_tT1_T2_T3_T4_jRjT5_jjP12ihipStream_tbEUlT_E_NS1_11comp_targetILNS1_3genE9ELNS1_11target_archE1100ELNS1_3gpuE3ELNS1_3repE0EEENS1_44radix_sort_block_sort_config_static_selectorELNS0_4arch9wavefront6targetE0EEEvSM_.numbered_sgpr, 0
	.set _ZN7rocprim17ROCPRIM_400000_NS6detail17trampoline_kernelINS0_13kernel_configILj256ELj4ELj4294967295EEENS1_37radix_sort_block_sort_config_selectorIjN6thrust23THRUST_200600_302600_NS5tupleIffNS7_9null_typeES9_S9_S9_S9_S9_S9_S9_EEEEZNS1_21radix_sort_block_sortIS4_Lb0ENS7_6detail15normal_iteratorINS7_10device_ptrIjEEEESH_NSE_INSF_ISA_EEEESJ_NS0_19identity_decomposerEEE10hipError_tT1_T2_T3_T4_jRjT5_jjP12ihipStream_tbEUlT_E_NS1_11comp_targetILNS1_3genE9ELNS1_11target_archE1100ELNS1_3gpuE3ELNS1_3repE0EEENS1_44radix_sort_block_sort_config_static_selectorELNS0_4arch9wavefront6targetE0EEEvSM_.num_named_barrier, 0
	.set _ZN7rocprim17ROCPRIM_400000_NS6detail17trampoline_kernelINS0_13kernel_configILj256ELj4ELj4294967295EEENS1_37radix_sort_block_sort_config_selectorIjN6thrust23THRUST_200600_302600_NS5tupleIffNS7_9null_typeES9_S9_S9_S9_S9_S9_S9_EEEEZNS1_21radix_sort_block_sortIS4_Lb0ENS7_6detail15normal_iteratorINS7_10device_ptrIjEEEESH_NSE_INSF_ISA_EEEESJ_NS0_19identity_decomposerEEE10hipError_tT1_T2_T3_T4_jRjT5_jjP12ihipStream_tbEUlT_E_NS1_11comp_targetILNS1_3genE9ELNS1_11target_archE1100ELNS1_3gpuE3ELNS1_3repE0EEENS1_44radix_sort_block_sort_config_static_selectorELNS0_4arch9wavefront6targetE0EEEvSM_.private_seg_size, 0
	.set _ZN7rocprim17ROCPRIM_400000_NS6detail17trampoline_kernelINS0_13kernel_configILj256ELj4ELj4294967295EEENS1_37radix_sort_block_sort_config_selectorIjN6thrust23THRUST_200600_302600_NS5tupleIffNS7_9null_typeES9_S9_S9_S9_S9_S9_S9_EEEEZNS1_21radix_sort_block_sortIS4_Lb0ENS7_6detail15normal_iteratorINS7_10device_ptrIjEEEESH_NSE_INSF_ISA_EEEESJ_NS0_19identity_decomposerEEE10hipError_tT1_T2_T3_T4_jRjT5_jjP12ihipStream_tbEUlT_E_NS1_11comp_targetILNS1_3genE9ELNS1_11target_archE1100ELNS1_3gpuE3ELNS1_3repE0EEENS1_44radix_sort_block_sort_config_static_selectorELNS0_4arch9wavefront6targetE0EEEvSM_.uses_vcc, 0
	.set _ZN7rocprim17ROCPRIM_400000_NS6detail17trampoline_kernelINS0_13kernel_configILj256ELj4ELj4294967295EEENS1_37radix_sort_block_sort_config_selectorIjN6thrust23THRUST_200600_302600_NS5tupleIffNS7_9null_typeES9_S9_S9_S9_S9_S9_S9_EEEEZNS1_21radix_sort_block_sortIS4_Lb0ENS7_6detail15normal_iteratorINS7_10device_ptrIjEEEESH_NSE_INSF_ISA_EEEESJ_NS0_19identity_decomposerEEE10hipError_tT1_T2_T3_T4_jRjT5_jjP12ihipStream_tbEUlT_E_NS1_11comp_targetILNS1_3genE9ELNS1_11target_archE1100ELNS1_3gpuE3ELNS1_3repE0EEENS1_44radix_sort_block_sort_config_static_selectorELNS0_4arch9wavefront6targetE0EEEvSM_.uses_flat_scratch, 0
	.set _ZN7rocprim17ROCPRIM_400000_NS6detail17trampoline_kernelINS0_13kernel_configILj256ELj4ELj4294967295EEENS1_37radix_sort_block_sort_config_selectorIjN6thrust23THRUST_200600_302600_NS5tupleIffNS7_9null_typeES9_S9_S9_S9_S9_S9_S9_EEEEZNS1_21radix_sort_block_sortIS4_Lb0ENS7_6detail15normal_iteratorINS7_10device_ptrIjEEEESH_NSE_INSF_ISA_EEEESJ_NS0_19identity_decomposerEEE10hipError_tT1_T2_T3_T4_jRjT5_jjP12ihipStream_tbEUlT_E_NS1_11comp_targetILNS1_3genE9ELNS1_11target_archE1100ELNS1_3gpuE3ELNS1_3repE0EEENS1_44radix_sort_block_sort_config_static_selectorELNS0_4arch9wavefront6targetE0EEEvSM_.has_dyn_sized_stack, 0
	.set _ZN7rocprim17ROCPRIM_400000_NS6detail17trampoline_kernelINS0_13kernel_configILj256ELj4ELj4294967295EEENS1_37radix_sort_block_sort_config_selectorIjN6thrust23THRUST_200600_302600_NS5tupleIffNS7_9null_typeES9_S9_S9_S9_S9_S9_S9_EEEEZNS1_21radix_sort_block_sortIS4_Lb0ENS7_6detail15normal_iteratorINS7_10device_ptrIjEEEESH_NSE_INSF_ISA_EEEESJ_NS0_19identity_decomposerEEE10hipError_tT1_T2_T3_T4_jRjT5_jjP12ihipStream_tbEUlT_E_NS1_11comp_targetILNS1_3genE9ELNS1_11target_archE1100ELNS1_3gpuE3ELNS1_3repE0EEENS1_44radix_sort_block_sort_config_static_selectorELNS0_4arch9wavefront6targetE0EEEvSM_.has_recursion, 0
	.set _ZN7rocprim17ROCPRIM_400000_NS6detail17trampoline_kernelINS0_13kernel_configILj256ELj4ELj4294967295EEENS1_37radix_sort_block_sort_config_selectorIjN6thrust23THRUST_200600_302600_NS5tupleIffNS7_9null_typeES9_S9_S9_S9_S9_S9_S9_EEEEZNS1_21radix_sort_block_sortIS4_Lb0ENS7_6detail15normal_iteratorINS7_10device_ptrIjEEEESH_NSE_INSF_ISA_EEEESJ_NS0_19identity_decomposerEEE10hipError_tT1_T2_T3_T4_jRjT5_jjP12ihipStream_tbEUlT_E_NS1_11comp_targetILNS1_3genE9ELNS1_11target_archE1100ELNS1_3gpuE3ELNS1_3repE0EEENS1_44radix_sort_block_sort_config_static_selectorELNS0_4arch9wavefront6targetE0EEEvSM_.has_indirect_call, 0
	.section	.AMDGPU.csdata,"",@progbits
; Kernel info:
; codeLenInByte = 0
; TotalNumSgprs: 0
; NumVgprs: 0
; ScratchSize: 0
; MemoryBound: 0
; FloatMode: 240
; IeeeMode: 1
; LDSByteSize: 0 bytes/workgroup (compile time only)
; SGPRBlocks: 0
; VGPRBlocks: 0
; NumSGPRsForWavesPerEU: 1
; NumVGPRsForWavesPerEU: 1
; Occupancy: 16
; WaveLimiterHint : 0
; COMPUTE_PGM_RSRC2:SCRATCH_EN: 0
; COMPUTE_PGM_RSRC2:USER_SGPR: 2
; COMPUTE_PGM_RSRC2:TRAP_HANDLER: 0
; COMPUTE_PGM_RSRC2:TGID_X_EN: 1
; COMPUTE_PGM_RSRC2:TGID_Y_EN: 0
; COMPUTE_PGM_RSRC2:TGID_Z_EN: 0
; COMPUTE_PGM_RSRC2:TIDIG_COMP_CNT: 0
	.section	.text._ZN7rocprim17ROCPRIM_400000_NS6detail17trampoline_kernelINS0_13kernel_configILj256ELj4ELj4294967295EEENS1_37radix_sort_block_sort_config_selectorIjN6thrust23THRUST_200600_302600_NS5tupleIffNS7_9null_typeES9_S9_S9_S9_S9_S9_S9_EEEEZNS1_21radix_sort_block_sortIS4_Lb0ENS7_6detail15normal_iteratorINS7_10device_ptrIjEEEESH_NSE_INSF_ISA_EEEESJ_NS0_19identity_decomposerEEE10hipError_tT1_T2_T3_T4_jRjT5_jjP12ihipStream_tbEUlT_E_NS1_11comp_targetILNS1_3genE8ELNS1_11target_archE1030ELNS1_3gpuE2ELNS1_3repE0EEENS1_44radix_sort_block_sort_config_static_selectorELNS0_4arch9wavefront6targetE0EEEvSM_,"axG",@progbits,_ZN7rocprim17ROCPRIM_400000_NS6detail17trampoline_kernelINS0_13kernel_configILj256ELj4ELj4294967295EEENS1_37radix_sort_block_sort_config_selectorIjN6thrust23THRUST_200600_302600_NS5tupleIffNS7_9null_typeES9_S9_S9_S9_S9_S9_S9_EEEEZNS1_21radix_sort_block_sortIS4_Lb0ENS7_6detail15normal_iteratorINS7_10device_ptrIjEEEESH_NSE_INSF_ISA_EEEESJ_NS0_19identity_decomposerEEE10hipError_tT1_T2_T3_T4_jRjT5_jjP12ihipStream_tbEUlT_E_NS1_11comp_targetILNS1_3genE8ELNS1_11target_archE1030ELNS1_3gpuE2ELNS1_3repE0EEENS1_44radix_sort_block_sort_config_static_selectorELNS0_4arch9wavefront6targetE0EEEvSM_,comdat
	.protected	_ZN7rocprim17ROCPRIM_400000_NS6detail17trampoline_kernelINS0_13kernel_configILj256ELj4ELj4294967295EEENS1_37radix_sort_block_sort_config_selectorIjN6thrust23THRUST_200600_302600_NS5tupleIffNS7_9null_typeES9_S9_S9_S9_S9_S9_S9_EEEEZNS1_21radix_sort_block_sortIS4_Lb0ENS7_6detail15normal_iteratorINS7_10device_ptrIjEEEESH_NSE_INSF_ISA_EEEESJ_NS0_19identity_decomposerEEE10hipError_tT1_T2_T3_T4_jRjT5_jjP12ihipStream_tbEUlT_E_NS1_11comp_targetILNS1_3genE8ELNS1_11target_archE1030ELNS1_3gpuE2ELNS1_3repE0EEENS1_44radix_sort_block_sort_config_static_selectorELNS0_4arch9wavefront6targetE0EEEvSM_ ; -- Begin function _ZN7rocprim17ROCPRIM_400000_NS6detail17trampoline_kernelINS0_13kernel_configILj256ELj4ELj4294967295EEENS1_37radix_sort_block_sort_config_selectorIjN6thrust23THRUST_200600_302600_NS5tupleIffNS7_9null_typeES9_S9_S9_S9_S9_S9_S9_EEEEZNS1_21radix_sort_block_sortIS4_Lb0ENS7_6detail15normal_iteratorINS7_10device_ptrIjEEEESH_NSE_INSF_ISA_EEEESJ_NS0_19identity_decomposerEEE10hipError_tT1_T2_T3_T4_jRjT5_jjP12ihipStream_tbEUlT_E_NS1_11comp_targetILNS1_3genE8ELNS1_11target_archE1030ELNS1_3gpuE2ELNS1_3repE0EEENS1_44radix_sort_block_sort_config_static_selectorELNS0_4arch9wavefront6targetE0EEEvSM_
	.globl	_ZN7rocprim17ROCPRIM_400000_NS6detail17trampoline_kernelINS0_13kernel_configILj256ELj4ELj4294967295EEENS1_37radix_sort_block_sort_config_selectorIjN6thrust23THRUST_200600_302600_NS5tupleIffNS7_9null_typeES9_S9_S9_S9_S9_S9_S9_EEEEZNS1_21radix_sort_block_sortIS4_Lb0ENS7_6detail15normal_iteratorINS7_10device_ptrIjEEEESH_NSE_INSF_ISA_EEEESJ_NS0_19identity_decomposerEEE10hipError_tT1_T2_T3_T4_jRjT5_jjP12ihipStream_tbEUlT_E_NS1_11comp_targetILNS1_3genE8ELNS1_11target_archE1030ELNS1_3gpuE2ELNS1_3repE0EEENS1_44radix_sort_block_sort_config_static_selectorELNS0_4arch9wavefront6targetE0EEEvSM_
	.p2align	8
	.type	_ZN7rocprim17ROCPRIM_400000_NS6detail17trampoline_kernelINS0_13kernel_configILj256ELj4ELj4294967295EEENS1_37radix_sort_block_sort_config_selectorIjN6thrust23THRUST_200600_302600_NS5tupleIffNS7_9null_typeES9_S9_S9_S9_S9_S9_S9_EEEEZNS1_21radix_sort_block_sortIS4_Lb0ENS7_6detail15normal_iteratorINS7_10device_ptrIjEEEESH_NSE_INSF_ISA_EEEESJ_NS0_19identity_decomposerEEE10hipError_tT1_T2_T3_T4_jRjT5_jjP12ihipStream_tbEUlT_E_NS1_11comp_targetILNS1_3genE8ELNS1_11target_archE1030ELNS1_3gpuE2ELNS1_3repE0EEENS1_44radix_sort_block_sort_config_static_selectorELNS0_4arch9wavefront6targetE0EEEvSM_,@function
_ZN7rocprim17ROCPRIM_400000_NS6detail17trampoline_kernelINS0_13kernel_configILj256ELj4ELj4294967295EEENS1_37radix_sort_block_sort_config_selectorIjN6thrust23THRUST_200600_302600_NS5tupleIffNS7_9null_typeES9_S9_S9_S9_S9_S9_S9_EEEEZNS1_21radix_sort_block_sortIS4_Lb0ENS7_6detail15normal_iteratorINS7_10device_ptrIjEEEESH_NSE_INSF_ISA_EEEESJ_NS0_19identity_decomposerEEE10hipError_tT1_T2_T3_T4_jRjT5_jjP12ihipStream_tbEUlT_E_NS1_11comp_targetILNS1_3genE8ELNS1_11target_archE1030ELNS1_3gpuE2ELNS1_3repE0EEENS1_44radix_sort_block_sort_config_static_selectorELNS0_4arch9wavefront6targetE0EEEvSM_: ; @_ZN7rocprim17ROCPRIM_400000_NS6detail17trampoline_kernelINS0_13kernel_configILj256ELj4ELj4294967295EEENS1_37radix_sort_block_sort_config_selectorIjN6thrust23THRUST_200600_302600_NS5tupleIffNS7_9null_typeES9_S9_S9_S9_S9_S9_S9_EEEEZNS1_21radix_sort_block_sortIS4_Lb0ENS7_6detail15normal_iteratorINS7_10device_ptrIjEEEESH_NSE_INSF_ISA_EEEESJ_NS0_19identity_decomposerEEE10hipError_tT1_T2_T3_T4_jRjT5_jjP12ihipStream_tbEUlT_E_NS1_11comp_targetILNS1_3genE8ELNS1_11target_archE1030ELNS1_3gpuE2ELNS1_3repE0EEENS1_44radix_sort_block_sort_config_static_selectorELNS0_4arch9wavefront6targetE0EEEvSM_
; %bb.0:
	.section	.rodata,"a",@progbits
	.p2align	6, 0x0
	.amdhsa_kernel _ZN7rocprim17ROCPRIM_400000_NS6detail17trampoline_kernelINS0_13kernel_configILj256ELj4ELj4294967295EEENS1_37radix_sort_block_sort_config_selectorIjN6thrust23THRUST_200600_302600_NS5tupleIffNS7_9null_typeES9_S9_S9_S9_S9_S9_S9_EEEEZNS1_21radix_sort_block_sortIS4_Lb0ENS7_6detail15normal_iteratorINS7_10device_ptrIjEEEESH_NSE_INSF_ISA_EEEESJ_NS0_19identity_decomposerEEE10hipError_tT1_T2_T3_T4_jRjT5_jjP12ihipStream_tbEUlT_E_NS1_11comp_targetILNS1_3genE8ELNS1_11target_archE1030ELNS1_3gpuE2ELNS1_3repE0EEENS1_44radix_sort_block_sort_config_static_selectorELNS0_4arch9wavefront6targetE0EEEvSM_
		.amdhsa_group_segment_fixed_size 0
		.amdhsa_private_segment_fixed_size 0
		.amdhsa_kernarg_size 48
		.amdhsa_user_sgpr_count 2
		.amdhsa_user_sgpr_dispatch_ptr 0
		.amdhsa_user_sgpr_queue_ptr 0
		.amdhsa_user_sgpr_kernarg_segment_ptr 1
		.amdhsa_user_sgpr_dispatch_id 0
		.amdhsa_user_sgpr_private_segment_size 0
		.amdhsa_wavefront_size32 1
		.amdhsa_uses_dynamic_stack 0
		.amdhsa_enable_private_segment 0
		.amdhsa_system_sgpr_workgroup_id_x 1
		.amdhsa_system_sgpr_workgroup_id_y 0
		.amdhsa_system_sgpr_workgroup_id_z 0
		.amdhsa_system_sgpr_workgroup_info 0
		.amdhsa_system_vgpr_workitem_id 0
		.amdhsa_next_free_vgpr 1
		.amdhsa_next_free_sgpr 1
		.amdhsa_reserve_vcc 0
		.amdhsa_float_round_mode_32 0
		.amdhsa_float_round_mode_16_64 0
		.amdhsa_float_denorm_mode_32 3
		.amdhsa_float_denorm_mode_16_64 3
		.amdhsa_fp16_overflow 0
		.amdhsa_workgroup_processor_mode 1
		.amdhsa_memory_ordered 1
		.amdhsa_forward_progress 1
		.amdhsa_inst_pref_size 0
		.amdhsa_round_robin_scheduling 0
		.amdhsa_exception_fp_ieee_invalid_op 0
		.amdhsa_exception_fp_denorm_src 0
		.amdhsa_exception_fp_ieee_div_zero 0
		.amdhsa_exception_fp_ieee_overflow 0
		.amdhsa_exception_fp_ieee_underflow 0
		.amdhsa_exception_fp_ieee_inexact 0
		.amdhsa_exception_int_div_zero 0
	.end_amdhsa_kernel
	.section	.text._ZN7rocprim17ROCPRIM_400000_NS6detail17trampoline_kernelINS0_13kernel_configILj256ELj4ELj4294967295EEENS1_37radix_sort_block_sort_config_selectorIjN6thrust23THRUST_200600_302600_NS5tupleIffNS7_9null_typeES9_S9_S9_S9_S9_S9_S9_EEEEZNS1_21radix_sort_block_sortIS4_Lb0ENS7_6detail15normal_iteratorINS7_10device_ptrIjEEEESH_NSE_INSF_ISA_EEEESJ_NS0_19identity_decomposerEEE10hipError_tT1_T2_T3_T4_jRjT5_jjP12ihipStream_tbEUlT_E_NS1_11comp_targetILNS1_3genE8ELNS1_11target_archE1030ELNS1_3gpuE2ELNS1_3repE0EEENS1_44radix_sort_block_sort_config_static_selectorELNS0_4arch9wavefront6targetE0EEEvSM_,"axG",@progbits,_ZN7rocprim17ROCPRIM_400000_NS6detail17trampoline_kernelINS0_13kernel_configILj256ELj4ELj4294967295EEENS1_37radix_sort_block_sort_config_selectorIjN6thrust23THRUST_200600_302600_NS5tupleIffNS7_9null_typeES9_S9_S9_S9_S9_S9_S9_EEEEZNS1_21radix_sort_block_sortIS4_Lb0ENS7_6detail15normal_iteratorINS7_10device_ptrIjEEEESH_NSE_INSF_ISA_EEEESJ_NS0_19identity_decomposerEEE10hipError_tT1_T2_T3_T4_jRjT5_jjP12ihipStream_tbEUlT_E_NS1_11comp_targetILNS1_3genE8ELNS1_11target_archE1030ELNS1_3gpuE2ELNS1_3repE0EEENS1_44radix_sort_block_sort_config_static_selectorELNS0_4arch9wavefront6targetE0EEEvSM_,comdat
.Lfunc_end15:
	.size	_ZN7rocprim17ROCPRIM_400000_NS6detail17trampoline_kernelINS0_13kernel_configILj256ELj4ELj4294967295EEENS1_37radix_sort_block_sort_config_selectorIjN6thrust23THRUST_200600_302600_NS5tupleIffNS7_9null_typeES9_S9_S9_S9_S9_S9_S9_EEEEZNS1_21radix_sort_block_sortIS4_Lb0ENS7_6detail15normal_iteratorINS7_10device_ptrIjEEEESH_NSE_INSF_ISA_EEEESJ_NS0_19identity_decomposerEEE10hipError_tT1_T2_T3_T4_jRjT5_jjP12ihipStream_tbEUlT_E_NS1_11comp_targetILNS1_3genE8ELNS1_11target_archE1030ELNS1_3gpuE2ELNS1_3repE0EEENS1_44radix_sort_block_sort_config_static_selectorELNS0_4arch9wavefront6targetE0EEEvSM_, .Lfunc_end15-_ZN7rocprim17ROCPRIM_400000_NS6detail17trampoline_kernelINS0_13kernel_configILj256ELj4ELj4294967295EEENS1_37radix_sort_block_sort_config_selectorIjN6thrust23THRUST_200600_302600_NS5tupleIffNS7_9null_typeES9_S9_S9_S9_S9_S9_S9_EEEEZNS1_21radix_sort_block_sortIS4_Lb0ENS7_6detail15normal_iteratorINS7_10device_ptrIjEEEESH_NSE_INSF_ISA_EEEESJ_NS0_19identity_decomposerEEE10hipError_tT1_T2_T3_T4_jRjT5_jjP12ihipStream_tbEUlT_E_NS1_11comp_targetILNS1_3genE8ELNS1_11target_archE1030ELNS1_3gpuE2ELNS1_3repE0EEENS1_44radix_sort_block_sort_config_static_selectorELNS0_4arch9wavefront6targetE0EEEvSM_
                                        ; -- End function
	.set _ZN7rocprim17ROCPRIM_400000_NS6detail17trampoline_kernelINS0_13kernel_configILj256ELj4ELj4294967295EEENS1_37radix_sort_block_sort_config_selectorIjN6thrust23THRUST_200600_302600_NS5tupleIffNS7_9null_typeES9_S9_S9_S9_S9_S9_S9_EEEEZNS1_21radix_sort_block_sortIS4_Lb0ENS7_6detail15normal_iteratorINS7_10device_ptrIjEEEESH_NSE_INSF_ISA_EEEESJ_NS0_19identity_decomposerEEE10hipError_tT1_T2_T3_T4_jRjT5_jjP12ihipStream_tbEUlT_E_NS1_11comp_targetILNS1_3genE8ELNS1_11target_archE1030ELNS1_3gpuE2ELNS1_3repE0EEENS1_44radix_sort_block_sort_config_static_selectorELNS0_4arch9wavefront6targetE0EEEvSM_.num_vgpr, 0
	.set _ZN7rocprim17ROCPRIM_400000_NS6detail17trampoline_kernelINS0_13kernel_configILj256ELj4ELj4294967295EEENS1_37radix_sort_block_sort_config_selectorIjN6thrust23THRUST_200600_302600_NS5tupleIffNS7_9null_typeES9_S9_S9_S9_S9_S9_S9_EEEEZNS1_21radix_sort_block_sortIS4_Lb0ENS7_6detail15normal_iteratorINS7_10device_ptrIjEEEESH_NSE_INSF_ISA_EEEESJ_NS0_19identity_decomposerEEE10hipError_tT1_T2_T3_T4_jRjT5_jjP12ihipStream_tbEUlT_E_NS1_11comp_targetILNS1_3genE8ELNS1_11target_archE1030ELNS1_3gpuE2ELNS1_3repE0EEENS1_44radix_sort_block_sort_config_static_selectorELNS0_4arch9wavefront6targetE0EEEvSM_.num_agpr, 0
	.set _ZN7rocprim17ROCPRIM_400000_NS6detail17trampoline_kernelINS0_13kernel_configILj256ELj4ELj4294967295EEENS1_37radix_sort_block_sort_config_selectorIjN6thrust23THRUST_200600_302600_NS5tupleIffNS7_9null_typeES9_S9_S9_S9_S9_S9_S9_EEEEZNS1_21radix_sort_block_sortIS4_Lb0ENS7_6detail15normal_iteratorINS7_10device_ptrIjEEEESH_NSE_INSF_ISA_EEEESJ_NS0_19identity_decomposerEEE10hipError_tT1_T2_T3_T4_jRjT5_jjP12ihipStream_tbEUlT_E_NS1_11comp_targetILNS1_3genE8ELNS1_11target_archE1030ELNS1_3gpuE2ELNS1_3repE0EEENS1_44radix_sort_block_sort_config_static_selectorELNS0_4arch9wavefront6targetE0EEEvSM_.numbered_sgpr, 0
	.set _ZN7rocprim17ROCPRIM_400000_NS6detail17trampoline_kernelINS0_13kernel_configILj256ELj4ELj4294967295EEENS1_37radix_sort_block_sort_config_selectorIjN6thrust23THRUST_200600_302600_NS5tupleIffNS7_9null_typeES9_S9_S9_S9_S9_S9_S9_EEEEZNS1_21radix_sort_block_sortIS4_Lb0ENS7_6detail15normal_iteratorINS7_10device_ptrIjEEEESH_NSE_INSF_ISA_EEEESJ_NS0_19identity_decomposerEEE10hipError_tT1_T2_T3_T4_jRjT5_jjP12ihipStream_tbEUlT_E_NS1_11comp_targetILNS1_3genE8ELNS1_11target_archE1030ELNS1_3gpuE2ELNS1_3repE0EEENS1_44radix_sort_block_sort_config_static_selectorELNS0_4arch9wavefront6targetE0EEEvSM_.num_named_barrier, 0
	.set _ZN7rocprim17ROCPRIM_400000_NS6detail17trampoline_kernelINS0_13kernel_configILj256ELj4ELj4294967295EEENS1_37radix_sort_block_sort_config_selectorIjN6thrust23THRUST_200600_302600_NS5tupleIffNS7_9null_typeES9_S9_S9_S9_S9_S9_S9_EEEEZNS1_21radix_sort_block_sortIS4_Lb0ENS7_6detail15normal_iteratorINS7_10device_ptrIjEEEESH_NSE_INSF_ISA_EEEESJ_NS0_19identity_decomposerEEE10hipError_tT1_T2_T3_T4_jRjT5_jjP12ihipStream_tbEUlT_E_NS1_11comp_targetILNS1_3genE8ELNS1_11target_archE1030ELNS1_3gpuE2ELNS1_3repE0EEENS1_44radix_sort_block_sort_config_static_selectorELNS0_4arch9wavefront6targetE0EEEvSM_.private_seg_size, 0
	.set _ZN7rocprim17ROCPRIM_400000_NS6detail17trampoline_kernelINS0_13kernel_configILj256ELj4ELj4294967295EEENS1_37radix_sort_block_sort_config_selectorIjN6thrust23THRUST_200600_302600_NS5tupleIffNS7_9null_typeES9_S9_S9_S9_S9_S9_S9_EEEEZNS1_21radix_sort_block_sortIS4_Lb0ENS7_6detail15normal_iteratorINS7_10device_ptrIjEEEESH_NSE_INSF_ISA_EEEESJ_NS0_19identity_decomposerEEE10hipError_tT1_T2_T3_T4_jRjT5_jjP12ihipStream_tbEUlT_E_NS1_11comp_targetILNS1_3genE8ELNS1_11target_archE1030ELNS1_3gpuE2ELNS1_3repE0EEENS1_44radix_sort_block_sort_config_static_selectorELNS0_4arch9wavefront6targetE0EEEvSM_.uses_vcc, 0
	.set _ZN7rocprim17ROCPRIM_400000_NS6detail17trampoline_kernelINS0_13kernel_configILj256ELj4ELj4294967295EEENS1_37radix_sort_block_sort_config_selectorIjN6thrust23THRUST_200600_302600_NS5tupleIffNS7_9null_typeES9_S9_S9_S9_S9_S9_S9_EEEEZNS1_21radix_sort_block_sortIS4_Lb0ENS7_6detail15normal_iteratorINS7_10device_ptrIjEEEESH_NSE_INSF_ISA_EEEESJ_NS0_19identity_decomposerEEE10hipError_tT1_T2_T3_T4_jRjT5_jjP12ihipStream_tbEUlT_E_NS1_11comp_targetILNS1_3genE8ELNS1_11target_archE1030ELNS1_3gpuE2ELNS1_3repE0EEENS1_44radix_sort_block_sort_config_static_selectorELNS0_4arch9wavefront6targetE0EEEvSM_.uses_flat_scratch, 0
	.set _ZN7rocprim17ROCPRIM_400000_NS6detail17trampoline_kernelINS0_13kernel_configILj256ELj4ELj4294967295EEENS1_37radix_sort_block_sort_config_selectorIjN6thrust23THRUST_200600_302600_NS5tupleIffNS7_9null_typeES9_S9_S9_S9_S9_S9_S9_EEEEZNS1_21radix_sort_block_sortIS4_Lb0ENS7_6detail15normal_iteratorINS7_10device_ptrIjEEEESH_NSE_INSF_ISA_EEEESJ_NS0_19identity_decomposerEEE10hipError_tT1_T2_T3_T4_jRjT5_jjP12ihipStream_tbEUlT_E_NS1_11comp_targetILNS1_3genE8ELNS1_11target_archE1030ELNS1_3gpuE2ELNS1_3repE0EEENS1_44radix_sort_block_sort_config_static_selectorELNS0_4arch9wavefront6targetE0EEEvSM_.has_dyn_sized_stack, 0
	.set _ZN7rocprim17ROCPRIM_400000_NS6detail17trampoline_kernelINS0_13kernel_configILj256ELj4ELj4294967295EEENS1_37radix_sort_block_sort_config_selectorIjN6thrust23THRUST_200600_302600_NS5tupleIffNS7_9null_typeES9_S9_S9_S9_S9_S9_S9_EEEEZNS1_21radix_sort_block_sortIS4_Lb0ENS7_6detail15normal_iteratorINS7_10device_ptrIjEEEESH_NSE_INSF_ISA_EEEESJ_NS0_19identity_decomposerEEE10hipError_tT1_T2_T3_T4_jRjT5_jjP12ihipStream_tbEUlT_E_NS1_11comp_targetILNS1_3genE8ELNS1_11target_archE1030ELNS1_3gpuE2ELNS1_3repE0EEENS1_44radix_sort_block_sort_config_static_selectorELNS0_4arch9wavefront6targetE0EEEvSM_.has_recursion, 0
	.set _ZN7rocprim17ROCPRIM_400000_NS6detail17trampoline_kernelINS0_13kernel_configILj256ELj4ELj4294967295EEENS1_37radix_sort_block_sort_config_selectorIjN6thrust23THRUST_200600_302600_NS5tupleIffNS7_9null_typeES9_S9_S9_S9_S9_S9_S9_EEEEZNS1_21radix_sort_block_sortIS4_Lb0ENS7_6detail15normal_iteratorINS7_10device_ptrIjEEEESH_NSE_INSF_ISA_EEEESJ_NS0_19identity_decomposerEEE10hipError_tT1_T2_T3_T4_jRjT5_jjP12ihipStream_tbEUlT_E_NS1_11comp_targetILNS1_3genE8ELNS1_11target_archE1030ELNS1_3gpuE2ELNS1_3repE0EEENS1_44radix_sort_block_sort_config_static_selectorELNS0_4arch9wavefront6targetE0EEEvSM_.has_indirect_call, 0
	.section	.AMDGPU.csdata,"",@progbits
; Kernel info:
; codeLenInByte = 0
; TotalNumSgprs: 0
; NumVgprs: 0
; ScratchSize: 0
; MemoryBound: 0
; FloatMode: 240
; IeeeMode: 1
; LDSByteSize: 0 bytes/workgroup (compile time only)
; SGPRBlocks: 0
; VGPRBlocks: 0
; NumSGPRsForWavesPerEU: 1
; NumVGPRsForWavesPerEU: 1
; Occupancy: 16
; WaveLimiterHint : 0
; COMPUTE_PGM_RSRC2:SCRATCH_EN: 0
; COMPUTE_PGM_RSRC2:USER_SGPR: 2
; COMPUTE_PGM_RSRC2:TRAP_HANDLER: 0
; COMPUTE_PGM_RSRC2:TGID_X_EN: 1
; COMPUTE_PGM_RSRC2:TGID_Y_EN: 0
; COMPUTE_PGM_RSRC2:TGID_Z_EN: 0
; COMPUTE_PGM_RSRC2:TIDIG_COMP_CNT: 0
	.section	.text._ZN7rocprim17ROCPRIM_400000_NS6detail44device_merge_sort_compile_time_verifier_archINS1_11comp_targetILNS1_3genE0ELNS1_11target_archE4294967295ELNS1_3gpuE0ELNS1_3repE0EEES8_NS1_28merge_sort_block_sort_configILj256ELj4ELNS0_20block_sort_algorithmE0EEENS0_14default_configENS1_37merge_sort_block_sort_config_selectorIjN6thrust23THRUST_200600_302600_NS5tupleIffNSF_9null_typeESH_SH_SH_SH_SH_SH_SH_EEEENS1_38merge_sort_block_merge_config_selectorIjSI_EEEEvv,"axG",@progbits,_ZN7rocprim17ROCPRIM_400000_NS6detail44device_merge_sort_compile_time_verifier_archINS1_11comp_targetILNS1_3genE0ELNS1_11target_archE4294967295ELNS1_3gpuE0ELNS1_3repE0EEES8_NS1_28merge_sort_block_sort_configILj256ELj4ELNS0_20block_sort_algorithmE0EEENS0_14default_configENS1_37merge_sort_block_sort_config_selectorIjN6thrust23THRUST_200600_302600_NS5tupleIffNSF_9null_typeESH_SH_SH_SH_SH_SH_SH_EEEENS1_38merge_sort_block_merge_config_selectorIjSI_EEEEvv,comdat
	.protected	_ZN7rocprim17ROCPRIM_400000_NS6detail44device_merge_sort_compile_time_verifier_archINS1_11comp_targetILNS1_3genE0ELNS1_11target_archE4294967295ELNS1_3gpuE0ELNS1_3repE0EEES8_NS1_28merge_sort_block_sort_configILj256ELj4ELNS0_20block_sort_algorithmE0EEENS0_14default_configENS1_37merge_sort_block_sort_config_selectorIjN6thrust23THRUST_200600_302600_NS5tupleIffNSF_9null_typeESH_SH_SH_SH_SH_SH_SH_EEEENS1_38merge_sort_block_merge_config_selectorIjSI_EEEEvv ; -- Begin function _ZN7rocprim17ROCPRIM_400000_NS6detail44device_merge_sort_compile_time_verifier_archINS1_11comp_targetILNS1_3genE0ELNS1_11target_archE4294967295ELNS1_3gpuE0ELNS1_3repE0EEES8_NS1_28merge_sort_block_sort_configILj256ELj4ELNS0_20block_sort_algorithmE0EEENS0_14default_configENS1_37merge_sort_block_sort_config_selectorIjN6thrust23THRUST_200600_302600_NS5tupleIffNSF_9null_typeESH_SH_SH_SH_SH_SH_SH_EEEENS1_38merge_sort_block_merge_config_selectorIjSI_EEEEvv
	.globl	_ZN7rocprim17ROCPRIM_400000_NS6detail44device_merge_sort_compile_time_verifier_archINS1_11comp_targetILNS1_3genE0ELNS1_11target_archE4294967295ELNS1_3gpuE0ELNS1_3repE0EEES8_NS1_28merge_sort_block_sort_configILj256ELj4ELNS0_20block_sort_algorithmE0EEENS0_14default_configENS1_37merge_sort_block_sort_config_selectorIjN6thrust23THRUST_200600_302600_NS5tupleIffNSF_9null_typeESH_SH_SH_SH_SH_SH_SH_EEEENS1_38merge_sort_block_merge_config_selectorIjSI_EEEEvv
	.p2align	8
	.type	_ZN7rocprim17ROCPRIM_400000_NS6detail44device_merge_sort_compile_time_verifier_archINS1_11comp_targetILNS1_3genE0ELNS1_11target_archE4294967295ELNS1_3gpuE0ELNS1_3repE0EEES8_NS1_28merge_sort_block_sort_configILj256ELj4ELNS0_20block_sort_algorithmE0EEENS0_14default_configENS1_37merge_sort_block_sort_config_selectorIjN6thrust23THRUST_200600_302600_NS5tupleIffNSF_9null_typeESH_SH_SH_SH_SH_SH_SH_EEEENS1_38merge_sort_block_merge_config_selectorIjSI_EEEEvv,@function
_ZN7rocprim17ROCPRIM_400000_NS6detail44device_merge_sort_compile_time_verifier_archINS1_11comp_targetILNS1_3genE0ELNS1_11target_archE4294967295ELNS1_3gpuE0ELNS1_3repE0EEES8_NS1_28merge_sort_block_sort_configILj256ELj4ELNS0_20block_sort_algorithmE0EEENS0_14default_configENS1_37merge_sort_block_sort_config_selectorIjN6thrust23THRUST_200600_302600_NS5tupleIffNSF_9null_typeESH_SH_SH_SH_SH_SH_SH_EEEENS1_38merge_sort_block_merge_config_selectorIjSI_EEEEvv: ; @_ZN7rocprim17ROCPRIM_400000_NS6detail44device_merge_sort_compile_time_verifier_archINS1_11comp_targetILNS1_3genE0ELNS1_11target_archE4294967295ELNS1_3gpuE0ELNS1_3repE0EEES8_NS1_28merge_sort_block_sort_configILj256ELj4ELNS0_20block_sort_algorithmE0EEENS0_14default_configENS1_37merge_sort_block_sort_config_selectorIjN6thrust23THRUST_200600_302600_NS5tupleIffNSF_9null_typeESH_SH_SH_SH_SH_SH_SH_EEEENS1_38merge_sort_block_merge_config_selectorIjSI_EEEEvv
; %bb.0:
	s_endpgm
	.section	.rodata,"a",@progbits
	.p2align	6, 0x0
	.amdhsa_kernel _ZN7rocprim17ROCPRIM_400000_NS6detail44device_merge_sort_compile_time_verifier_archINS1_11comp_targetILNS1_3genE0ELNS1_11target_archE4294967295ELNS1_3gpuE0ELNS1_3repE0EEES8_NS1_28merge_sort_block_sort_configILj256ELj4ELNS0_20block_sort_algorithmE0EEENS0_14default_configENS1_37merge_sort_block_sort_config_selectorIjN6thrust23THRUST_200600_302600_NS5tupleIffNSF_9null_typeESH_SH_SH_SH_SH_SH_SH_EEEENS1_38merge_sort_block_merge_config_selectorIjSI_EEEEvv
		.amdhsa_group_segment_fixed_size 0
		.amdhsa_private_segment_fixed_size 0
		.amdhsa_kernarg_size 0
		.amdhsa_user_sgpr_count 0
		.amdhsa_user_sgpr_dispatch_ptr 0
		.amdhsa_user_sgpr_queue_ptr 0
		.amdhsa_user_sgpr_kernarg_segment_ptr 0
		.amdhsa_user_sgpr_dispatch_id 0
		.amdhsa_user_sgpr_private_segment_size 0
		.amdhsa_wavefront_size32 1
		.amdhsa_uses_dynamic_stack 0
		.amdhsa_enable_private_segment 0
		.amdhsa_system_sgpr_workgroup_id_x 1
		.amdhsa_system_sgpr_workgroup_id_y 0
		.amdhsa_system_sgpr_workgroup_id_z 0
		.amdhsa_system_sgpr_workgroup_info 0
		.amdhsa_system_vgpr_workitem_id 0
		.amdhsa_next_free_vgpr 1
		.amdhsa_next_free_sgpr 1
		.amdhsa_reserve_vcc 0
		.amdhsa_float_round_mode_32 0
		.amdhsa_float_round_mode_16_64 0
		.amdhsa_float_denorm_mode_32 3
		.amdhsa_float_denorm_mode_16_64 3
		.amdhsa_fp16_overflow 0
		.amdhsa_workgroup_processor_mode 1
		.amdhsa_memory_ordered 1
		.amdhsa_forward_progress 1
		.amdhsa_inst_pref_size 1
		.amdhsa_round_robin_scheduling 0
		.amdhsa_exception_fp_ieee_invalid_op 0
		.amdhsa_exception_fp_denorm_src 0
		.amdhsa_exception_fp_ieee_div_zero 0
		.amdhsa_exception_fp_ieee_overflow 0
		.amdhsa_exception_fp_ieee_underflow 0
		.amdhsa_exception_fp_ieee_inexact 0
		.amdhsa_exception_int_div_zero 0
	.end_amdhsa_kernel
	.section	.text._ZN7rocprim17ROCPRIM_400000_NS6detail44device_merge_sort_compile_time_verifier_archINS1_11comp_targetILNS1_3genE0ELNS1_11target_archE4294967295ELNS1_3gpuE0ELNS1_3repE0EEES8_NS1_28merge_sort_block_sort_configILj256ELj4ELNS0_20block_sort_algorithmE0EEENS0_14default_configENS1_37merge_sort_block_sort_config_selectorIjN6thrust23THRUST_200600_302600_NS5tupleIffNSF_9null_typeESH_SH_SH_SH_SH_SH_SH_EEEENS1_38merge_sort_block_merge_config_selectorIjSI_EEEEvv,"axG",@progbits,_ZN7rocprim17ROCPRIM_400000_NS6detail44device_merge_sort_compile_time_verifier_archINS1_11comp_targetILNS1_3genE0ELNS1_11target_archE4294967295ELNS1_3gpuE0ELNS1_3repE0EEES8_NS1_28merge_sort_block_sort_configILj256ELj4ELNS0_20block_sort_algorithmE0EEENS0_14default_configENS1_37merge_sort_block_sort_config_selectorIjN6thrust23THRUST_200600_302600_NS5tupleIffNSF_9null_typeESH_SH_SH_SH_SH_SH_SH_EEEENS1_38merge_sort_block_merge_config_selectorIjSI_EEEEvv,comdat
.Lfunc_end16:
	.size	_ZN7rocprim17ROCPRIM_400000_NS6detail44device_merge_sort_compile_time_verifier_archINS1_11comp_targetILNS1_3genE0ELNS1_11target_archE4294967295ELNS1_3gpuE0ELNS1_3repE0EEES8_NS1_28merge_sort_block_sort_configILj256ELj4ELNS0_20block_sort_algorithmE0EEENS0_14default_configENS1_37merge_sort_block_sort_config_selectorIjN6thrust23THRUST_200600_302600_NS5tupleIffNSF_9null_typeESH_SH_SH_SH_SH_SH_SH_EEEENS1_38merge_sort_block_merge_config_selectorIjSI_EEEEvv, .Lfunc_end16-_ZN7rocprim17ROCPRIM_400000_NS6detail44device_merge_sort_compile_time_verifier_archINS1_11comp_targetILNS1_3genE0ELNS1_11target_archE4294967295ELNS1_3gpuE0ELNS1_3repE0EEES8_NS1_28merge_sort_block_sort_configILj256ELj4ELNS0_20block_sort_algorithmE0EEENS0_14default_configENS1_37merge_sort_block_sort_config_selectorIjN6thrust23THRUST_200600_302600_NS5tupleIffNSF_9null_typeESH_SH_SH_SH_SH_SH_SH_EEEENS1_38merge_sort_block_merge_config_selectorIjSI_EEEEvv
                                        ; -- End function
	.set _ZN7rocprim17ROCPRIM_400000_NS6detail44device_merge_sort_compile_time_verifier_archINS1_11comp_targetILNS1_3genE0ELNS1_11target_archE4294967295ELNS1_3gpuE0ELNS1_3repE0EEES8_NS1_28merge_sort_block_sort_configILj256ELj4ELNS0_20block_sort_algorithmE0EEENS0_14default_configENS1_37merge_sort_block_sort_config_selectorIjN6thrust23THRUST_200600_302600_NS5tupleIffNSF_9null_typeESH_SH_SH_SH_SH_SH_SH_EEEENS1_38merge_sort_block_merge_config_selectorIjSI_EEEEvv.num_vgpr, 0
	.set _ZN7rocprim17ROCPRIM_400000_NS6detail44device_merge_sort_compile_time_verifier_archINS1_11comp_targetILNS1_3genE0ELNS1_11target_archE4294967295ELNS1_3gpuE0ELNS1_3repE0EEES8_NS1_28merge_sort_block_sort_configILj256ELj4ELNS0_20block_sort_algorithmE0EEENS0_14default_configENS1_37merge_sort_block_sort_config_selectorIjN6thrust23THRUST_200600_302600_NS5tupleIffNSF_9null_typeESH_SH_SH_SH_SH_SH_SH_EEEENS1_38merge_sort_block_merge_config_selectorIjSI_EEEEvv.num_agpr, 0
	.set _ZN7rocprim17ROCPRIM_400000_NS6detail44device_merge_sort_compile_time_verifier_archINS1_11comp_targetILNS1_3genE0ELNS1_11target_archE4294967295ELNS1_3gpuE0ELNS1_3repE0EEES8_NS1_28merge_sort_block_sort_configILj256ELj4ELNS0_20block_sort_algorithmE0EEENS0_14default_configENS1_37merge_sort_block_sort_config_selectorIjN6thrust23THRUST_200600_302600_NS5tupleIffNSF_9null_typeESH_SH_SH_SH_SH_SH_SH_EEEENS1_38merge_sort_block_merge_config_selectorIjSI_EEEEvv.numbered_sgpr, 0
	.set _ZN7rocprim17ROCPRIM_400000_NS6detail44device_merge_sort_compile_time_verifier_archINS1_11comp_targetILNS1_3genE0ELNS1_11target_archE4294967295ELNS1_3gpuE0ELNS1_3repE0EEES8_NS1_28merge_sort_block_sort_configILj256ELj4ELNS0_20block_sort_algorithmE0EEENS0_14default_configENS1_37merge_sort_block_sort_config_selectorIjN6thrust23THRUST_200600_302600_NS5tupleIffNSF_9null_typeESH_SH_SH_SH_SH_SH_SH_EEEENS1_38merge_sort_block_merge_config_selectorIjSI_EEEEvv.num_named_barrier, 0
	.set _ZN7rocprim17ROCPRIM_400000_NS6detail44device_merge_sort_compile_time_verifier_archINS1_11comp_targetILNS1_3genE0ELNS1_11target_archE4294967295ELNS1_3gpuE0ELNS1_3repE0EEES8_NS1_28merge_sort_block_sort_configILj256ELj4ELNS0_20block_sort_algorithmE0EEENS0_14default_configENS1_37merge_sort_block_sort_config_selectorIjN6thrust23THRUST_200600_302600_NS5tupleIffNSF_9null_typeESH_SH_SH_SH_SH_SH_SH_EEEENS1_38merge_sort_block_merge_config_selectorIjSI_EEEEvv.private_seg_size, 0
	.set _ZN7rocprim17ROCPRIM_400000_NS6detail44device_merge_sort_compile_time_verifier_archINS1_11comp_targetILNS1_3genE0ELNS1_11target_archE4294967295ELNS1_3gpuE0ELNS1_3repE0EEES8_NS1_28merge_sort_block_sort_configILj256ELj4ELNS0_20block_sort_algorithmE0EEENS0_14default_configENS1_37merge_sort_block_sort_config_selectorIjN6thrust23THRUST_200600_302600_NS5tupleIffNSF_9null_typeESH_SH_SH_SH_SH_SH_SH_EEEENS1_38merge_sort_block_merge_config_selectorIjSI_EEEEvv.uses_vcc, 0
	.set _ZN7rocprim17ROCPRIM_400000_NS6detail44device_merge_sort_compile_time_verifier_archINS1_11comp_targetILNS1_3genE0ELNS1_11target_archE4294967295ELNS1_3gpuE0ELNS1_3repE0EEES8_NS1_28merge_sort_block_sort_configILj256ELj4ELNS0_20block_sort_algorithmE0EEENS0_14default_configENS1_37merge_sort_block_sort_config_selectorIjN6thrust23THRUST_200600_302600_NS5tupleIffNSF_9null_typeESH_SH_SH_SH_SH_SH_SH_EEEENS1_38merge_sort_block_merge_config_selectorIjSI_EEEEvv.uses_flat_scratch, 0
	.set _ZN7rocprim17ROCPRIM_400000_NS6detail44device_merge_sort_compile_time_verifier_archINS1_11comp_targetILNS1_3genE0ELNS1_11target_archE4294967295ELNS1_3gpuE0ELNS1_3repE0EEES8_NS1_28merge_sort_block_sort_configILj256ELj4ELNS0_20block_sort_algorithmE0EEENS0_14default_configENS1_37merge_sort_block_sort_config_selectorIjN6thrust23THRUST_200600_302600_NS5tupleIffNSF_9null_typeESH_SH_SH_SH_SH_SH_SH_EEEENS1_38merge_sort_block_merge_config_selectorIjSI_EEEEvv.has_dyn_sized_stack, 0
	.set _ZN7rocprim17ROCPRIM_400000_NS6detail44device_merge_sort_compile_time_verifier_archINS1_11comp_targetILNS1_3genE0ELNS1_11target_archE4294967295ELNS1_3gpuE0ELNS1_3repE0EEES8_NS1_28merge_sort_block_sort_configILj256ELj4ELNS0_20block_sort_algorithmE0EEENS0_14default_configENS1_37merge_sort_block_sort_config_selectorIjN6thrust23THRUST_200600_302600_NS5tupleIffNSF_9null_typeESH_SH_SH_SH_SH_SH_SH_EEEENS1_38merge_sort_block_merge_config_selectorIjSI_EEEEvv.has_recursion, 0
	.set _ZN7rocprim17ROCPRIM_400000_NS6detail44device_merge_sort_compile_time_verifier_archINS1_11comp_targetILNS1_3genE0ELNS1_11target_archE4294967295ELNS1_3gpuE0ELNS1_3repE0EEES8_NS1_28merge_sort_block_sort_configILj256ELj4ELNS0_20block_sort_algorithmE0EEENS0_14default_configENS1_37merge_sort_block_sort_config_selectorIjN6thrust23THRUST_200600_302600_NS5tupleIffNSF_9null_typeESH_SH_SH_SH_SH_SH_SH_EEEENS1_38merge_sort_block_merge_config_selectorIjSI_EEEEvv.has_indirect_call, 0
	.section	.AMDGPU.csdata,"",@progbits
; Kernel info:
; codeLenInByte = 4
; TotalNumSgprs: 0
; NumVgprs: 0
; ScratchSize: 0
; MemoryBound: 0
; FloatMode: 240
; IeeeMode: 1
; LDSByteSize: 0 bytes/workgroup (compile time only)
; SGPRBlocks: 0
; VGPRBlocks: 0
; NumSGPRsForWavesPerEU: 1
; NumVGPRsForWavesPerEU: 1
; Occupancy: 16
; WaveLimiterHint : 0
; COMPUTE_PGM_RSRC2:SCRATCH_EN: 0
; COMPUTE_PGM_RSRC2:USER_SGPR: 0
; COMPUTE_PGM_RSRC2:TRAP_HANDLER: 0
; COMPUTE_PGM_RSRC2:TGID_X_EN: 1
; COMPUTE_PGM_RSRC2:TGID_Y_EN: 0
; COMPUTE_PGM_RSRC2:TGID_Z_EN: 0
; COMPUTE_PGM_RSRC2:TIDIG_COMP_CNT: 0
	.section	.text._ZN7rocprim17ROCPRIM_400000_NS6detail44device_merge_sort_compile_time_verifier_archINS1_11comp_targetILNS1_3genE5ELNS1_11target_archE942ELNS1_3gpuE9ELNS1_3repE0EEES8_NS1_28merge_sort_block_sort_configILj256ELj4ELNS0_20block_sort_algorithmE0EEENS0_14default_configENS1_37merge_sort_block_sort_config_selectorIjN6thrust23THRUST_200600_302600_NS5tupleIffNSF_9null_typeESH_SH_SH_SH_SH_SH_SH_EEEENS1_38merge_sort_block_merge_config_selectorIjSI_EEEEvv,"axG",@progbits,_ZN7rocprim17ROCPRIM_400000_NS6detail44device_merge_sort_compile_time_verifier_archINS1_11comp_targetILNS1_3genE5ELNS1_11target_archE942ELNS1_3gpuE9ELNS1_3repE0EEES8_NS1_28merge_sort_block_sort_configILj256ELj4ELNS0_20block_sort_algorithmE0EEENS0_14default_configENS1_37merge_sort_block_sort_config_selectorIjN6thrust23THRUST_200600_302600_NS5tupleIffNSF_9null_typeESH_SH_SH_SH_SH_SH_SH_EEEENS1_38merge_sort_block_merge_config_selectorIjSI_EEEEvv,comdat
	.protected	_ZN7rocprim17ROCPRIM_400000_NS6detail44device_merge_sort_compile_time_verifier_archINS1_11comp_targetILNS1_3genE5ELNS1_11target_archE942ELNS1_3gpuE9ELNS1_3repE0EEES8_NS1_28merge_sort_block_sort_configILj256ELj4ELNS0_20block_sort_algorithmE0EEENS0_14default_configENS1_37merge_sort_block_sort_config_selectorIjN6thrust23THRUST_200600_302600_NS5tupleIffNSF_9null_typeESH_SH_SH_SH_SH_SH_SH_EEEENS1_38merge_sort_block_merge_config_selectorIjSI_EEEEvv ; -- Begin function _ZN7rocprim17ROCPRIM_400000_NS6detail44device_merge_sort_compile_time_verifier_archINS1_11comp_targetILNS1_3genE5ELNS1_11target_archE942ELNS1_3gpuE9ELNS1_3repE0EEES8_NS1_28merge_sort_block_sort_configILj256ELj4ELNS0_20block_sort_algorithmE0EEENS0_14default_configENS1_37merge_sort_block_sort_config_selectorIjN6thrust23THRUST_200600_302600_NS5tupleIffNSF_9null_typeESH_SH_SH_SH_SH_SH_SH_EEEENS1_38merge_sort_block_merge_config_selectorIjSI_EEEEvv
	.globl	_ZN7rocprim17ROCPRIM_400000_NS6detail44device_merge_sort_compile_time_verifier_archINS1_11comp_targetILNS1_3genE5ELNS1_11target_archE942ELNS1_3gpuE9ELNS1_3repE0EEES8_NS1_28merge_sort_block_sort_configILj256ELj4ELNS0_20block_sort_algorithmE0EEENS0_14default_configENS1_37merge_sort_block_sort_config_selectorIjN6thrust23THRUST_200600_302600_NS5tupleIffNSF_9null_typeESH_SH_SH_SH_SH_SH_SH_EEEENS1_38merge_sort_block_merge_config_selectorIjSI_EEEEvv
	.p2align	8
	.type	_ZN7rocprim17ROCPRIM_400000_NS6detail44device_merge_sort_compile_time_verifier_archINS1_11comp_targetILNS1_3genE5ELNS1_11target_archE942ELNS1_3gpuE9ELNS1_3repE0EEES8_NS1_28merge_sort_block_sort_configILj256ELj4ELNS0_20block_sort_algorithmE0EEENS0_14default_configENS1_37merge_sort_block_sort_config_selectorIjN6thrust23THRUST_200600_302600_NS5tupleIffNSF_9null_typeESH_SH_SH_SH_SH_SH_SH_EEEENS1_38merge_sort_block_merge_config_selectorIjSI_EEEEvv,@function
_ZN7rocprim17ROCPRIM_400000_NS6detail44device_merge_sort_compile_time_verifier_archINS1_11comp_targetILNS1_3genE5ELNS1_11target_archE942ELNS1_3gpuE9ELNS1_3repE0EEES8_NS1_28merge_sort_block_sort_configILj256ELj4ELNS0_20block_sort_algorithmE0EEENS0_14default_configENS1_37merge_sort_block_sort_config_selectorIjN6thrust23THRUST_200600_302600_NS5tupleIffNSF_9null_typeESH_SH_SH_SH_SH_SH_SH_EEEENS1_38merge_sort_block_merge_config_selectorIjSI_EEEEvv: ; @_ZN7rocprim17ROCPRIM_400000_NS6detail44device_merge_sort_compile_time_verifier_archINS1_11comp_targetILNS1_3genE5ELNS1_11target_archE942ELNS1_3gpuE9ELNS1_3repE0EEES8_NS1_28merge_sort_block_sort_configILj256ELj4ELNS0_20block_sort_algorithmE0EEENS0_14default_configENS1_37merge_sort_block_sort_config_selectorIjN6thrust23THRUST_200600_302600_NS5tupleIffNSF_9null_typeESH_SH_SH_SH_SH_SH_SH_EEEENS1_38merge_sort_block_merge_config_selectorIjSI_EEEEvv
; %bb.0:
	s_endpgm
	.section	.rodata,"a",@progbits
	.p2align	6, 0x0
	.amdhsa_kernel _ZN7rocprim17ROCPRIM_400000_NS6detail44device_merge_sort_compile_time_verifier_archINS1_11comp_targetILNS1_3genE5ELNS1_11target_archE942ELNS1_3gpuE9ELNS1_3repE0EEES8_NS1_28merge_sort_block_sort_configILj256ELj4ELNS0_20block_sort_algorithmE0EEENS0_14default_configENS1_37merge_sort_block_sort_config_selectorIjN6thrust23THRUST_200600_302600_NS5tupleIffNSF_9null_typeESH_SH_SH_SH_SH_SH_SH_EEEENS1_38merge_sort_block_merge_config_selectorIjSI_EEEEvv
		.amdhsa_group_segment_fixed_size 0
		.amdhsa_private_segment_fixed_size 0
		.amdhsa_kernarg_size 0
		.amdhsa_user_sgpr_count 0
		.amdhsa_user_sgpr_dispatch_ptr 0
		.amdhsa_user_sgpr_queue_ptr 0
		.amdhsa_user_sgpr_kernarg_segment_ptr 0
		.amdhsa_user_sgpr_dispatch_id 0
		.amdhsa_user_sgpr_private_segment_size 0
		.amdhsa_wavefront_size32 1
		.amdhsa_uses_dynamic_stack 0
		.amdhsa_enable_private_segment 0
		.amdhsa_system_sgpr_workgroup_id_x 1
		.amdhsa_system_sgpr_workgroup_id_y 0
		.amdhsa_system_sgpr_workgroup_id_z 0
		.amdhsa_system_sgpr_workgroup_info 0
		.amdhsa_system_vgpr_workitem_id 0
		.amdhsa_next_free_vgpr 1
		.amdhsa_next_free_sgpr 1
		.amdhsa_reserve_vcc 0
		.amdhsa_float_round_mode_32 0
		.amdhsa_float_round_mode_16_64 0
		.amdhsa_float_denorm_mode_32 3
		.amdhsa_float_denorm_mode_16_64 3
		.amdhsa_fp16_overflow 0
		.amdhsa_workgroup_processor_mode 1
		.amdhsa_memory_ordered 1
		.amdhsa_forward_progress 1
		.amdhsa_inst_pref_size 1
		.amdhsa_round_robin_scheduling 0
		.amdhsa_exception_fp_ieee_invalid_op 0
		.amdhsa_exception_fp_denorm_src 0
		.amdhsa_exception_fp_ieee_div_zero 0
		.amdhsa_exception_fp_ieee_overflow 0
		.amdhsa_exception_fp_ieee_underflow 0
		.amdhsa_exception_fp_ieee_inexact 0
		.amdhsa_exception_int_div_zero 0
	.end_amdhsa_kernel
	.section	.text._ZN7rocprim17ROCPRIM_400000_NS6detail44device_merge_sort_compile_time_verifier_archINS1_11comp_targetILNS1_3genE5ELNS1_11target_archE942ELNS1_3gpuE9ELNS1_3repE0EEES8_NS1_28merge_sort_block_sort_configILj256ELj4ELNS0_20block_sort_algorithmE0EEENS0_14default_configENS1_37merge_sort_block_sort_config_selectorIjN6thrust23THRUST_200600_302600_NS5tupleIffNSF_9null_typeESH_SH_SH_SH_SH_SH_SH_EEEENS1_38merge_sort_block_merge_config_selectorIjSI_EEEEvv,"axG",@progbits,_ZN7rocprim17ROCPRIM_400000_NS6detail44device_merge_sort_compile_time_verifier_archINS1_11comp_targetILNS1_3genE5ELNS1_11target_archE942ELNS1_3gpuE9ELNS1_3repE0EEES8_NS1_28merge_sort_block_sort_configILj256ELj4ELNS0_20block_sort_algorithmE0EEENS0_14default_configENS1_37merge_sort_block_sort_config_selectorIjN6thrust23THRUST_200600_302600_NS5tupleIffNSF_9null_typeESH_SH_SH_SH_SH_SH_SH_EEEENS1_38merge_sort_block_merge_config_selectorIjSI_EEEEvv,comdat
.Lfunc_end17:
	.size	_ZN7rocprim17ROCPRIM_400000_NS6detail44device_merge_sort_compile_time_verifier_archINS1_11comp_targetILNS1_3genE5ELNS1_11target_archE942ELNS1_3gpuE9ELNS1_3repE0EEES8_NS1_28merge_sort_block_sort_configILj256ELj4ELNS0_20block_sort_algorithmE0EEENS0_14default_configENS1_37merge_sort_block_sort_config_selectorIjN6thrust23THRUST_200600_302600_NS5tupleIffNSF_9null_typeESH_SH_SH_SH_SH_SH_SH_EEEENS1_38merge_sort_block_merge_config_selectorIjSI_EEEEvv, .Lfunc_end17-_ZN7rocprim17ROCPRIM_400000_NS6detail44device_merge_sort_compile_time_verifier_archINS1_11comp_targetILNS1_3genE5ELNS1_11target_archE942ELNS1_3gpuE9ELNS1_3repE0EEES8_NS1_28merge_sort_block_sort_configILj256ELj4ELNS0_20block_sort_algorithmE0EEENS0_14default_configENS1_37merge_sort_block_sort_config_selectorIjN6thrust23THRUST_200600_302600_NS5tupleIffNSF_9null_typeESH_SH_SH_SH_SH_SH_SH_EEEENS1_38merge_sort_block_merge_config_selectorIjSI_EEEEvv
                                        ; -- End function
	.set _ZN7rocprim17ROCPRIM_400000_NS6detail44device_merge_sort_compile_time_verifier_archINS1_11comp_targetILNS1_3genE5ELNS1_11target_archE942ELNS1_3gpuE9ELNS1_3repE0EEES8_NS1_28merge_sort_block_sort_configILj256ELj4ELNS0_20block_sort_algorithmE0EEENS0_14default_configENS1_37merge_sort_block_sort_config_selectorIjN6thrust23THRUST_200600_302600_NS5tupleIffNSF_9null_typeESH_SH_SH_SH_SH_SH_SH_EEEENS1_38merge_sort_block_merge_config_selectorIjSI_EEEEvv.num_vgpr, 0
	.set _ZN7rocprim17ROCPRIM_400000_NS6detail44device_merge_sort_compile_time_verifier_archINS1_11comp_targetILNS1_3genE5ELNS1_11target_archE942ELNS1_3gpuE9ELNS1_3repE0EEES8_NS1_28merge_sort_block_sort_configILj256ELj4ELNS0_20block_sort_algorithmE0EEENS0_14default_configENS1_37merge_sort_block_sort_config_selectorIjN6thrust23THRUST_200600_302600_NS5tupleIffNSF_9null_typeESH_SH_SH_SH_SH_SH_SH_EEEENS1_38merge_sort_block_merge_config_selectorIjSI_EEEEvv.num_agpr, 0
	.set _ZN7rocprim17ROCPRIM_400000_NS6detail44device_merge_sort_compile_time_verifier_archINS1_11comp_targetILNS1_3genE5ELNS1_11target_archE942ELNS1_3gpuE9ELNS1_3repE0EEES8_NS1_28merge_sort_block_sort_configILj256ELj4ELNS0_20block_sort_algorithmE0EEENS0_14default_configENS1_37merge_sort_block_sort_config_selectorIjN6thrust23THRUST_200600_302600_NS5tupleIffNSF_9null_typeESH_SH_SH_SH_SH_SH_SH_EEEENS1_38merge_sort_block_merge_config_selectorIjSI_EEEEvv.numbered_sgpr, 0
	.set _ZN7rocprim17ROCPRIM_400000_NS6detail44device_merge_sort_compile_time_verifier_archINS1_11comp_targetILNS1_3genE5ELNS1_11target_archE942ELNS1_3gpuE9ELNS1_3repE0EEES8_NS1_28merge_sort_block_sort_configILj256ELj4ELNS0_20block_sort_algorithmE0EEENS0_14default_configENS1_37merge_sort_block_sort_config_selectorIjN6thrust23THRUST_200600_302600_NS5tupleIffNSF_9null_typeESH_SH_SH_SH_SH_SH_SH_EEEENS1_38merge_sort_block_merge_config_selectorIjSI_EEEEvv.num_named_barrier, 0
	.set _ZN7rocprim17ROCPRIM_400000_NS6detail44device_merge_sort_compile_time_verifier_archINS1_11comp_targetILNS1_3genE5ELNS1_11target_archE942ELNS1_3gpuE9ELNS1_3repE0EEES8_NS1_28merge_sort_block_sort_configILj256ELj4ELNS0_20block_sort_algorithmE0EEENS0_14default_configENS1_37merge_sort_block_sort_config_selectorIjN6thrust23THRUST_200600_302600_NS5tupleIffNSF_9null_typeESH_SH_SH_SH_SH_SH_SH_EEEENS1_38merge_sort_block_merge_config_selectorIjSI_EEEEvv.private_seg_size, 0
	.set _ZN7rocprim17ROCPRIM_400000_NS6detail44device_merge_sort_compile_time_verifier_archINS1_11comp_targetILNS1_3genE5ELNS1_11target_archE942ELNS1_3gpuE9ELNS1_3repE0EEES8_NS1_28merge_sort_block_sort_configILj256ELj4ELNS0_20block_sort_algorithmE0EEENS0_14default_configENS1_37merge_sort_block_sort_config_selectorIjN6thrust23THRUST_200600_302600_NS5tupleIffNSF_9null_typeESH_SH_SH_SH_SH_SH_SH_EEEENS1_38merge_sort_block_merge_config_selectorIjSI_EEEEvv.uses_vcc, 0
	.set _ZN7rocprim17ROCPRIM_400000_NS6detail44device_merge_sort_compile_time_verifier_archINS1_11comp_targetILNS1_3genE5ELNS1_11target_archE942ELNS1_3gpuE9ELNS1_3repE0EEES8_NS1_28merge_sort_block_sort_configILj256ELj4ELNS0_20block_sort_algorithmE0EEENS0_14default_configENS1_37merge_sort_block_sort_config_selectorIjN6thrust23THRUST_200600_302600_NS5tupleIffNSF_9null_typeESH_SH_SH_SH_SH_SH_SH_EEEENS1_38merge_sort_block_merge_config_selectorIjSI_EEEEvv.uses_flat_scratch, 0
	.set _ZN7rocprim17ROCPRIM_400000_NS6detail44device_merge_sort_compile_time_verifier_archINS1_11comp_targetILNS1_3genE5ELNS1_11target_archE942ELNS1_3gpuE9ELNS1_3repE0EEES8_NS1_28merge_sort_block_sort_configILj256ELj4ELNS0_20block_sort_algorithmE0EEENS0_14default_configENS1_37merge_sort_block_sort_config_selectorIjN6thrust23THRUST_200600_302600_NS5tupleIffNSF_9null_typeESH_SH_SH_SH_SH_SH_SH_EEEENS1_38merge_sort_block_merge_config_selectorIjSI_EEEEvv.has_dyn_sized_stack, 0
	.set _ZN7rocprim17ROCPRIM_400000_NS6detail44device_merge_sort_compile_time_verifier_archINS1_11comp_targetILNS1_3genE5ELNS1_11target_archE942ELNS1_3gpuE9ELNS1_3repE0EEES8_NS1_28merge_sort_block_sort_configILj256ELj4ELNS0_20block_sort_algorithmE0EEENS0_14default_configENS1_37merge_sort_block_sort_config_selectorIjN6thrust23THRUST_200600_302600_NS5tupleIffNSF_9null_typeESH_SH_SH_SH_SH_SH_SH_EEEENS1_38merge_sort_block_merge_config_selectorIjSI_EEEEvv.has_recursion, 0
	.set _ZN7rocprim17ROCPRIM_400000_NS6detail44device_merge_sort_compile_time_verifier_archINS1_11comp_targetILNS1_3genE5ELNS1_11target_archE942ELNS1_3gpuE9ELNS1_3repE0EEES8_NS1_28merge_sort_block_sort_configILj256ELj4ELNS0_20block_sort_algorithmE0EEENS0_14default_configENS1_37merge_sort_block_sort_config_selectorIjN6thrust23THRUST_200600_302600_NS5tupleIffNSF_9null_typeESH_SH_SH_SH_SH_SH_SH_EEEENS1_38merge_sort_block_merge_config_selectorIjSI_EEEEvv.has_indirect_call, 0
	.section	.AMDGPU.csdata,"",@progbits
; Kernel info:
; codeLenInByte = 4
; TotalNumSgprs: 0
; NumVgprs: 0
; ScratchSize: 0
; MemoryBound: 0
; FloatMode: 240
; IeeeMode: 1
; LDSByteSize: 0 bytes/workgroup (compile time only)
; SGPRBlocks: 0
; VGPRBlocks: 0
; NumSGPRsForWavesPerEU: 1
; NumVGPRsForWavesPerEU: 1
; Occupancy: 16
; WaveLimiterHint : 0
; COMPUTE_PGM_RSRC2:SCRATCH_EN: 0
; COMPUTE_PGM_RSRC2:USER_SGPR: 0
; COMPUTE_PGM_RSRC2:TRAP_HANDLER: 0
; COMPUTE_PGM_RSRC2:TGID_X_EN: 1
; COMPUTE_PGM_RSRC2:TGID_Y_EN: 0
; COMPUTE_PGM_RSRC2:TGID_Z_EN: 0
; COMPUTE_PGM_RSRC2:TIDIG_COMP_CNT: 0
	.section	.text._ZN7rocprim17ROCPRIM_400000_NS6detail44device_merge_sort_compile_time_verifier_archINS1_11comp_targetILNS1_3genE4ELNS1_11target_archE910ELNS1_3gpuE8ELNS1_3repE0EEES8_NS1_28merge_sort_block_sort_configILj256ELj4ELNS0_20block_sort_algorithmE0EEENS0_14default_configENS1_37merge_sort_block_sort_config_selectorIjN6thrust23THRUST_200600_302600_NS5tupleIffNSF_9null_typeESH_SH_SH_SH_SH_SH_SH_EEEENS1_38merge_sort_block_merge_config_selectorIjSI_EEEEvv,"axG",@progbits,_ZN7rocprim17ROCPRIM_400000_NS6detail44device_merge_sort_compile_time_verifier_archINS1_11comp_targetILNS1_3genE4ELNS1_11target_archE910ELNS1_3gpuE8ELNS1_3repE0EEES8_NS1_28merge_sort_block_sort_configILj256ELj4ELNS0_20block_sort_algorithmE0EEENS0_14default_configENS1_37merge_sort_block_sort_config_selectorIjN6thrust23THRUST_200600_302600_NS5tupleIffNSF_9null_typeESH_SH_SH_SH_SH_SH_SH_EEEENS1_38merge_sort_block_merge_config_selectorIjSI_EEEEvv,comdat
	.protected	_ZN7rocprim17ROCPRIM_400000_NS6detail44device_merge_sort_compile_time_verifier_archINS1_11comp_targetILNS1_3genE4ELNS1_11target_archE910ELNS1_3gpuE8ELNS1_3repE0EEES8_NS1_28merge_sort_block_sort_configILj256ELj4ELNS0_20block_sort_algorithmE0EEENS0_14default_configENS1_37merge_sort_block_sort_config_selectorIjN6thrust23THRUST_200600_302600_NS5tupleIffNSF_9null_typeESH_SH_SH_SH_SH_SH_SH_EEEENS1_38merge_sort_block_merge_config_selectorIjSI_EEEEvv ; -- Begin function _ZN7rocprim17ROCPRIM_400000_NS6detail44device_merge_sort_compile_time_verifier_archINS1_11comp_targetILNS1_3genE4ELNS1_11target_archE910ELNS1_3gpuE8ELNS1_3repE0EEES8_NS1_28merge_sort_block_sort_configILj256ELj4ELNS0_20block_sort_algorithmE0EEENS0_14default_configENS1_37merge_sort_block_sort_config_selectorIjN6thrust23THRUST_200600_302600_NS5tupleIffNSF_9null_typeESH_SH_SH_SH_SH_SH_SH_EEEENS1_38merge_sort_block_merge_config_selectorIjSI_EEEEvv
	.globl	_ZN7rocprim17ROCPRIM_400000_NS6detail44device_merge_sort_compile_time_verifier_archINS1_11comp_targetILNS1_3genE4ELNS1_11target_archE910ELNS1_3gpuE8ELNS1_3repE0EEES8_NS1_28merge_sort_block_sort_configILj256ELj4ELNS0_20block_sort_algorithmE0EEENS0_14default_configENS1_37merge_sort_block_sort_config_selectorIjN6thrust23THRUST_200600_302600_NS5tupleIffNSF_9null_typeESH_SH_SH_SH_SH_SH_SH_EEEENS1_38merge_sort_block_merge_config_selectorIjSI_EEEEvv
	.p2align	8
	.type	_ZN7rocprim17ROCPRIM_400000_NS6detail44device_merge_sort_compile_time_verifier_archINS1_11comp_targetILNS1_3genE4ELNS1_11target_archE910ELNS1_3gpuE8ELNS1_3repE0EEES8_NS1_28merge_sort_block_sort_configILj256ELj4ELNS0_20block_sort_algorithmE0EEENS0_14default_configENS1_37merge_sort_block_sort_config_selectorIjN6thrust23THRUST_200600_302600_NS5tupleIffNSF_9null_typeESH_SH_SH_SH_SH_SH_SH_EEEENS1_38merge_sort_block_merge_config_selectorIjSI_EEEEvv,@function
_ZN7rocprim17ROCPRIM_400000_NS6detail44device_merge_sort_compile_time_verifier_archINS1_11comp_targetILNS1_3genE4ELNS1_11target_archE910ELNS1_3gpuE8ELNS1_3repE0EEES8_NS1_28merge_sort_block_sort_configILj256ELj4ELNS0_20block_sort_algorithmE0EEENS0_14default_configENS1_37merge_sort_block_sort_config_selectorIjN6thrust23THRUST_200600_302600_NS5tupleIffNSF_9null_typeESH_SH_SH_SH_SH_SH_SH_EEEENS1_38merge_sort_block_merge_config_selectorIjSI_EEEEvv: ; @_ZN7rocprim17ROCPRIM_400000_NS6detail44device_merge_sort_compile_time_verifier_archINS1_11comp_targetILNS1_3genE4ELNS1_11target_archE910ELNS1_3gpuE8ELNS1_3repE0EEES8_NS1_28merge_sort_block_sort_configILj256ELj4ELNS0_20block_sort_algorithmE0EEENS0_14default_configENS1_37merge_sort_block_sort_config_selectorIjN6thrust23THRUST_200600_302600_NS5tupleIffNSF_9null_typeESH_SH_SH_SH_SH_SH_SH_EEEENS1_38merge_sort_block_merge_config_selectorIjSI_EEEEvv
; %bb.0:
	s_endpgm
	.section	.rodata,"a",@progbits
	.p2align	6, 0x0
	.amdhsa_kernel _ZN7rocprim17ROCPRIM_400000_NS6detail44device_merge_sort_compile_time_verifier_archINS1_11comp_targetILNS1_3genE4ELNS1_11target_archE910ELNS1_3gpuE8ELNS1_3repE0EEES8_NS1_28merge_sort_block_sort_configILj256ELj4ELNS0_20block_sort_algorithmE0EEENS0_14default_configENS1_37merge_sort_block_sort_config_selectorIjN6thrust23THRUST_200600_302600_NS5tupleIffNSF_9null_typeESH_SH_SH_SH_SH_SH_SH_EEEENS1_38merge_sort_block_merge_config_selectorIjSI_EEEEvv
		.amdhsa_group_segment_fixed_size 0
		.amdhsa_private_segment_fixed_size 0
		.amdhsa_kernarg_size 0
		.amdhsa_user_sgpr_count 0
		.amdhsa_user_sgpr_dispatch_ptr 0
		.amdhsa_user_sgpr_queue_ptr 0
		.amdhsa_user_sgpr_kernarg_segment_ptr 0
		.amdhsa_user_sgpr_dispatch_id 0
		.amdhsa_user_sgpr_private_segment_size 0
		.amdhsa_wavefront_size32 1
		.amdhsa_uses_dynamic_stack 0
		.amdhsa_enable_private_segment 0
		.amdhsa_system_sgpr_workgroup_id_x 1
		.amdhsa_system_sgpr_workgroup_id_y 0
		.amdhsa_system_sgpr_workgroup_id_z 0
		.amdhsa_system_sgpr_workgroup_info 0
		.amdhsa_system_vgpr_workitem_id 0
		.amdhsa_next_free_vgpr 1
		.amdhsa_next_free_sgpr 1
		.amdhsa_reserve_vcc 0
		.amdhsa_float_round_mode_32 0
		.amdhsa_float_round_mode_16_64 0
		.amdhsa_float_denorm_mode_32 3
		.amdhsa_float_denorm_mode_16_64 3
		.amdhsa_fp16_overflow 0
		.amdhsa_workgroup_processor_mode 1
		.amdhsa_memory_ordered 1
		.amdhsa_forward_progress 1
		.amdhsa_inst_pref_size 1
		.amdhsa_round_robin_scheduling 0
		.amdhsa_exception_fp_ieee_invalid_op 0
		.amdhsa_exception_fp_denorm_src 0
		.amdhsa_exception_fp_ieee_div_zero 0
		.amdhsa_exception_fp_ieee_overflow 0
		.amdhsa_exception_fp_ieee_underflow 0
		.amdhsa_exception_fp_ieee_inexact 0
		.amdhsa_exception_int_div_zero 0
	.end_amdhsa_kernel
	.section	.text._ZN7rocprim17ROCPRIM_400000_NS6detail44device_merge_sort_compile_time_verifier_archINS1_11comp_targetILNS1_3genE4ELNS1_11target_archE910ELNS1_3gpuE8ELNS1_3repE0EEES8_NS1_28merge_sort_block_sort_configILj256ELj4ELNS0_20block_sort_algorithmE0EEENS0_14default_configENS1_37merge_sort_block_sort_config_selectorIjN6thrust23THRUST_200600_302600_NS5tupleIffNSF_9null_typeESH_SH_SH_SH_SH_SH_SH_EEEENS1_38merge_sort_block_merge_config_selectorIjSI_EEEEvv,"axG",@progbits,_ZN7rocprim17ROCPRIM_400000_NS6detail44device_merge_sort_compile_time_verifier_archINS1_11comp_targetILNS1_3genE4ELNS1_11target_archE910ELNS1_3gpuE8ELNS1_3repE0EEES8_NS1_28merge_sort_block_sort_configILj256ELj4ELNS0_20block_sort_algorithmE0EEENS0_14default_configENS1_37merge_sort_block_sort_config_selectorIjN6thrust23THRUST_200600_302600_NS5tupleIffNSF_9null_typeESH_SH_SH_SH_SH_SH_SH_EEEENS1_38merge_sort_block_merge_config_selectorIjSI_EEEEvv,comdat
.Lfunc_end18:
	.size	_ZN7rocprim17ROCPRIM_400000_NS6detail44device_merge_sort_compile_time_verifier_archINS1_11comp_targetILNS1_3genE4ELNS1_11target_archE910ELNS1_3gpuE8ELNS1_3repE0EEES8_NS1_28merge_sort_block_sort_configILj256ELj4ELNS0_20block_sort_algorithmE0EEENS0_14default_configENS1_37merge_sort_block_sort_config_selectorIjN6thrust23THRUST_200600_302600_NS5tupleIffNSF_9null_typeESH_SH_SH_SH_SH_SH_SH_EEEENS1_38merge_sort_block_merge_config_selectorIjSI_EEEEvv, .Lfunc_end18-_ZN7rocprim17ROCPRIM_400000_NS6detail44device_merge_sort_compile_time_verifier_archINS1_11comp_targetILNS1_3genE4ELNS1_11target_archE910ELNS1_3gpuE8ELNS1_3repE0EEES8_NS1_28merge_sort_block_sort_configILj256ELj4ELNS0_20block_sort_algorithmE0EEENS0_14default_configENS1_37merge_sort_block_sort_config_selectorIjN6thrust23THRUST_200600_302600_NS5tupleIffNSF_9null_typeESH_SH_SH_SH_SH_SH_SH_EEEENS1_38merge_sort_block_merge_config_selectorIjSI_EEEEvv
                                        ; -- End function
	.set _ZN7rocprim17ROCPRIM_400000_NS6detail44device_merge_sort_compile_time_verifier_archINS1_11comp_targetILNS1_3genE4ELNS1_11target_archE910ELNS1_3gpuE8ELNS1_3repE0EEES8_NS1_28merge_sort_block_sort_configILj256ELj4ELNS0_20block_sort_algorithmE0EEENS0_14default_configENS1_37merge_sort_block_sort_config_selectorIjN6thrust23THRUST_200600_302600_NS5tupleIffNSF_9null_typeESH_SH_SH_SH_SH_SH_SH_EEEENS1_38merge_sort_block_merge_config_selectorIjSI_EEEEvv.num_vgpr, 0
	.set _ZN7rocprim17ROCPRIM_400000_NS6detail44device_merge_sort_compile_time_verifier_archINS1_11comp_targetILNS1_3genE4ELNS1_11target_archE910ELNS1_3gpuE8ELNS1_3repE0EEES8_NS1_28merge_sort_block_sort_configILj256ELj4ELNS0_20block_sort_algorithmE0EEENS0_14default_configENS1_37merge_sort_block_sort_config_selectorIjN6thrust23THRUST_200600_302600_NS5tupleIffNSF_9null_typeESH_SH_SH_SH_SH_SH_SH_EEEENS1_38merge_sort_block_merge_config_selectorIjSI_EEEEvv.num_agpr, 0
	.set _ZN7rocprim17ROCPRIM_400000_NS6detail44device_merge_sort_compile_time_verifier_archINS1_11comp_targetILNS1_3genE4ELNS1_11target_archE910ELNS1_3gpuE8ELNS1_3repE0EEES8_NS1_28merge_sort_block_sort_configILj256ELj4ELNS0_20block_sort_algorithmE0EEENS0_14default_configENS1_37merge_sort_block_sort_config_selectorIjN6thrust23THRUST_200600_302600_NS5tupleIffNSF_9null_typeESH_SH_SH_SH_SH_SH_SH_EEEENS1_38merge_sort_block_merge_config_selectorIjSI_EEEEvv.numbered_sgpr, 0
	.set _ZN7rocprim17ROCPRIM_400000_NS6detail44device_merge_sort_compile_time_verifier_archINS1_11comp_targetILNS1_3genE4ELNS1_11target_archE910ELNS1_3gpuE8ELNS1_3repE0EEES8_NS1_28merge_sort_block_sort_configILj256ELj4ELNS0_20block_sort_algorithmE0EEENS0_14default_configENS1_37merge_sort_block_sort_config_selectorIjN6thrust23THRUST_200600_302600_NS5tupleIffNSF_9null_typeESH_SH_SH_SH_SH_SH_SH_EEEENS1_38merge_sort_block_merge_config_selectorIjSI_EEEEvv.num_named_barrier, 0
	.set _ZN7rocprim17ROCPRIM_400000_NS6detail44device_merge_sort_compile_time_verifier_archINS1_11comp_targetILNS1_3genE4ELNS1_11target_archE910ELNS1_3gpuE8ELNS1_3repE0EEES8_NS1_28merge_sort_block_sort_configILj256ELj4ELNS0_20block_sort_algorithmE0EEENS0_14default_configENS1_37merge_sort_block_sort_config_selectorIjN6thrust23THRUST_200600_302600_NS5tupleIffNSF_9null_typeESH_SH_SH_SH_SH_SH_SH_EEEENS1_38merge_sort_block_merge_config_selectorIjSI_EEEEvv.private_seg_size, 0
	.set _ZN7rocprim17ROCPRIM_400000_NS6detail44device_merge_sort_compile_time_verifier_archINS1_11comp_targetILNS1_3genE4ELNS1_11target_archE910ELNS1_3gpuE8ELNS1_3repE0EEES8_NS1_28merge_sort_block_sort_configILj256ELj4ELNS0_20block_sort_algorithmE0EEENS0_14default_configENS1_37merge_sort_block_sort_config_selectorIjN6thrust23THRUST_200600_302600_NS5tupleIffNSF_9null_typeESH_SH_SH_SH_SH_SH_SH_EEEENS1_38merge_sort_block_merge_config_selectorIjSI_EEEEvv.uses_vcc, 0
	.set _ZN7rocprim17ROCPRIM_400000_NS6detail44device_merge_sort_compile_time_verifier_archINS1_11comp_targetILNS1_3genE4ELNS1_11target_archE910ELNS1_3gpuE8ELNS1_3repE0EEES8_NS1_28merge_sort_block_sort_configILj256ELj4ELNS0_20block_sort_algorithmE0EEENS0_14default_configENS1_37merge_sort_block_sort_config_selectorIjN6thrust23THRUST_200600_302600_NS5tupleIffNSF_9null_typeESH_SH_SH_SH_SH_SH_SH_EEEENS1_38merge_sort_block_merge_config_selectorIjSI_EEEEvv.uses_flat_scratch, 0
	.set _ZN7rocprim17ROCPRIM_400000_NS6detail44device_merge_sort_compile_time_verifier_archINS1_11comp_targetILNS1_3genE4ELNS1_11target_archE910ELNS1_3gpuE8ELNS1_3repE0EEES8_NS1_28merge_sort_block_sort_configILj256ELj4ELNS0_20block_sort_algorithmE0EEENS0_14default_configENS1_37merge_sort_block_sort_config_selectorIjN6thrust23THRUST_200600_302600_NS5tupleIffNSF_9null_typeESH_SH_SH_SH_SH_SH_SH_EEEENS1_38merge_sort_block_merge_config_selectorIjSI_EEEEvv.has_dyn_sized_stack, 0
	.set _ZN7rocprim17ROCPRIM_400000_NS6detail44device_merge_sort_compile_time_verifier_archINS1_11comp_targetILNS1_3genE4ELNS1_11target_archE910ELNS1_3gpuE8ELNS1_3repE0EEES8_NS1_28merge_sort_block_sort_configILj256ELj4ELNS0_20block_sort_algorithmE0EEENS0_14default_configENS1_37merge_sort_block_sort_config_selectorIjN6thrust23THRUST_200600_302600_NS5tupleIffNSF_9null_typeESH_SH_SH_SH_SH_SH_SH_EEEENS1_38merge_sort_block_merge_config_selectorIjSI_EEEEvv.has_recursion, 0
	.set _ZN7rocprim17ROCPRIM_400000_NS6detail44device_merge_sort_compile_time_verifier_archINS1_11comp_targetILNS1_3genE4ELNS1_11target_archE910ELNS1_3gpuE8ELNS1_3repE0EEES8_NS1_28merge_sort_block_sort_configILj256ELj4ELNS0_20block_sort_algorithmE0EEENS0_14default_configENS1_37merge_sort_block_sort_config_selectorIjN6thrust23THRUST_200600_302600_NS5tupleIffNSF_9null_typeESH_SH_SH_SH_SH_SH_SH_EEEENS1_38merge_sort_block_merge_config_selectorIjSI_EEEEvv.has_indirect_call, 0
	.section	.AMDGPU.csdata,"",@progbits
; Kernel info:
; codeLenInByte = 4
; TotalNumSgprs: 0
; NumVgprs: 0
; ScratchSize: 0
; MemoryBound: 0
; FloatMode: 240
; IeeeMode: 1
; LDSByteSize: 0 bytes/workgroup (compile time only)
; SGPRBlocks: 0
; VGPRBlocks: 0
; NumSGPRsForWavesPerEU: 1
; NumVGPRsForWavesPerEU: 1
; Occupancy: 16
; WaveLimiterHint : 0
; COMPUTE_PGM_RSRC2:SCRATCH_EN: 0
; COMPUTE_PGM_RSRC2:USER_SGPR: 0
; COMPUTE_PGM_RSRC2:TRAP_HANDLER: 0
; COMPUTE_PGM_RSRC2:TGID_X_EN: 1
; COMPUTE_PGM_RSRC2:TGID_Y_EN: 0
; COMPUTE_PGM_RSRC2:TGID_Z_EN: 0
; COMPUTE_PGM_RSRC2:TIDIG_COMP_CNT: 0
	.section	.text._ZN7rocprim17ROCPRIM_400000_NS6detail44device_merge_sort_compile_time_verifier_archINS1_11comp_targetILNS1_3genE3ELNS1_11target_archE908ELNS1_3gpuE7ELNS1_3repE0EEES8_NS1_28merge_sort_block_sort_configILj256ELj4ELNS0_20block_sort_algorithmE0EEENS0_14default_configENS1_37merge_sort_block_sort_config_selectorIjN6thrust23THRUST_200600_302600_NS5tupleIffNSF_9null_typeESH_SH_SH_SH_SH_SH_SH_EEEENS1_38merge_sort_block_merge_config_selectorIjSI_EEEEvv,"axG",@progbits,_ZN7rocprim17ROCPRIM_400000_NS6detail44device_merge_sort_compile_time_verifier_archINS1_11comp_targetILNS1_3genE3ELNS1_11target_archE908ELNS1_3gpuE7ELNS1_3repE0EEES8_NS1_28merge_sort_block_sort_configILj256ELj4ELNS0_20block_sort_algorithmE0EEENS0_14default_configENS1_37merge_sort_block_sort_config_selectorIjN6thrust23THRUST_200600_302600_NS5tupleIffNSF_9null_typeESH_SH_SH_SH_SH_SH_SH_EEEENS1_38merge_sort_block_merge_config_selectorIjSI_EEEEvv,comdat
	.protected	_ZN7rocprim17ROCPRIM_400000_NS6detail44device_merge_sort_compile_time_verifier_archINS1_11comp_targetILNS1_3genE3ELNS1_11target_archE908ELNS1_3gpuE7ELNS1_3repE0EEES8_NS1_28merge_sort_block_sort_configILj256ELj4ELNS0_20block_sort_algorithmE0EEENS0_14default_configENS1_37merge_sort_block_sort_config_selectorIjN6thrust23THRUST_200600_302600_NS5tupleIffNSF_9null_typeESH_SH_SH_SH_SH_SH_SH_EEEENS1_38merge_sort_block_merge_config_selectorIjSI_EEEEvv ; -- Begin function _ZN7rocprim17ROCPRIM_400000_NS6detail44device_merge_sort_compile_time_verifier_archINS1_11comp_targetILNS1_3genE3ELNS1_11target_archE908ELNS1_3gpuE7ELNS1_3repE0EEES8_NS1_28merge_sort_block_sort_configILj256ELj4ELNS0_20block_sort_algorithmE0EEENS0_14default_configENS1_37merge_sort_block_sort_config_selectorIjN6thrust23THRUST_200600_302600_NS5tupleIffNSF_9null_typeESH_SH_SH_SH_SH_SH_SH_EEEENS1_38merge_sort_block_merge_config_selectorIjSI_EEEEvv
	.globl	_ZN7rocprim17ROCPRIM_400000_NS6detail44device_merge_sort_compile_time_verifier_archINS1_11comp_targetILNS1_3genE3ELNS1_11target_archE908ELNS1_3gpuE7ELNS1_3repE0EEES8_NS1_28merge_sort_block_sort_configILj256ELj4ELNS0_20block_sort_algorithmE0EEENS0_14default_configENS1_37merge_sort_block_sort_config_selectorIjN6thrust23THRUST_200600_302600_NS5tupleIffNSF_9null_typeESH_SH_SH_SH_SH_SH_SH_EEEENS1_38merge_sort_block_merge_config_selectorIjSI_EEEEvv
	.p2align	8
	.type	_ZN7rocprim17ROCPRIM_400000_NS6detail44device_merge_sort_compile_time_verifier_archINS1_11comp_targetILNS1_3genE3ELNS1_11target_archE908ELNS1_3gpuE7ELNS1_3repE0EEES8_NS1_28merge_sort_block_sort_configILj256ELj4ELNS0_20block_sort_algorithmE0EEENS0_14default_configENS1_37merge_sort_block_sort_config_selectorIjN6thrust23THRUST_200600_302600_NS5tupleIffNSF_9null_typeESH_SH_SH_SH_SH_SH_SH_EEEENS1_38merge_sort_block_merge_config_selectorIjSI_EEEEvv,@function
_ZN7rocprim17ROCPRIM_400000_NS6detail44device_merge_sort_compile_time_verifier_archINS1_11comp_targetILNS1_3genE3ELNS1_11target_archE908ELNS1_3gpuE7ELNS1_3repE0EEES8_NS1_28merge_sort_block_sort_configILj256ELj4ELNS0_20block_sort_algorithmE0EEENS0_14default_configENS1_37merge_sort_block_sort_config_selectorIjN6thrust23THRUST_200600_302600_NS5tupleIffNSF_9null_typeESH_SH_SH_SH_SH_SH_SH_EEEENS1_38merge_sort_block_merge_config_selectorIjSI_EEEEvv: ; @_ZN7rocprim17ROCPRIM_400000_NS6detail44device_merge_sort_compile_time_verifier_archINS1_11comp_targetILNS1_3genE3ELNS1_11target_archE908ELNS1_3gpuE7ELNS1_3repE0EEES8_NS1_28merge_sort_block_sort_configILj256ELj4ELNS0_20block_sort_algorithmE0EEENS0_14default_configENS1_37merge_sort_block_sort_config_selectorIjN6thrust23THRUST_200600_302600_NS5tupleIffNSF_9null_typeESH_SH_SH_SH_SH_SH_SH_EEEENS1_38merge_sort_block_merge_config_selectorIjSI_EEEEvv
; %bb.0:
	s_endpgm
	.section	.rodata,"a",@progbits
	.p2align	6, 0x0
	.amdhsa_kernel _ZN7rocprim17ROCPRIM_400000_NS6detail44device_merge_sort_compile_time_verifier_archINS1_11comp_targetILNS1_3genE3ELNS1_11target_archE908ELNS1_3gpuE7ELNS1_3repE0EEES8_NS1_28merge_sort_block_sort_configILj256ELj4ELNS0_20block_sort_algorithmE0EEENS0_14default_configENS1_37merge_sort_block_sort_config_selectorIjN6thrust23THRUST_200600_302600_NS5tupleIffNSF_9null_typeESH_SH_SH_SH_SH_SH_SH_EEEENS1_38merge_sort_block_merge_config_selectorIjSI_EEEEvv
		.amdhsa_group_segment_fixed_size 0
		.amdhsa_private_segment_fixed_size 0
		.amdhsa_kernarg_size 0
		.amdhsa_user_sgpr_count 0
		.amdhsa_user_sgpr_dispatch_ptr 0
		.amdhsa_user_sgpr_queue_ptr 0
		.amdhsa_user_sgpr_kernarg_segment_ptr 0
		.amdhsa_user_sgpr_dispatch_id 0
		.amdhsa_user_sgpr_private_segment_size 0
		.amdhsa_wavefront_size32 1
		.amdhsa_uses_dynamic_stack 0
		.amdhsa_enable_private_segment 0
		.amdhsa_system_sgpr_workgroup_id_x 1
		.amdhsa_system_sgpr_workgroup_id_y 0
		.amdhsa_system_sgpr_workgroup_id_z 0
		.amdhsa_system_sgpr_workgroup_info 0
		.amdhsa_system_vgpr_workitem_id 0
		.amdhsa_next_free_vgpr 1
		.amdhsa_next_free_sgpr 1
		.amdhsa_reserve_vcc 0
		.amdhsa_float_round_mode_32 0
		.amdhsa_float_round_mode_16_64 0
		.amdhsa_float_denorm_mode_32 3
		.amdhsa_float_denorm_mode_16_64 3
		.amdhsa_fp16_overflow 0
		.amdhsa_workgroup_processor_mode 1
		.amdhsa_memory_ordered 1
		.amdhsa_forward_progress 1
		.amdhsa_inst_pref_size 1
		.amdhsa_round_robin_scheduling 0
		.amdhsa_exception_fp_ieee_invalid_op 0
		.amdhsa_exception_fp_denorm_src 0
		.amdhsa_exception_fp_ieee_div_zero 0
		.amdhsa_exception_fp_ieee_overflow 0
		.amdhsa_exception_fp_ieee_underflow 0
		.amdhsa_exception_fp_ieee_inexact 0
		.amdhsa_exception_int_div_zero 0
	.end_amdhsa_kernel
	.section	.text._ZN7rocprim17ROCPRIM_400000_NS6detail44device_merge_sort_compile_time_verifier_archINS1_11comp_targetILNS1_3genE3ELNS1_11target_archE908ELNS1_3gpuE7ELNS1_3repE0EEES8_NS1_28merge_sort_block_sort_configILj256ELj4ELNS0_20block_sort_algorithmE0EEENS0_14default_configENS1_37merge_sort_block_sort_config_selectorIjN6thrust23THRUST_200600_302600_NS5tupleIffNSF_9null_typeESH_SH_SH_SH_SH_SH_SH_EEEENS1_38merge_sort_block_merge_config_selectorIjSI_EEEEvv,"axG",@progbits,_ZN7rocprim17ROCPRIM_400000_NS6detail44device_merge_sort_compile_time_verifier_archINS1_11comp_targetILNS1_3genE3ELNS1_11target_archE908ELNS1_3gpuE7ELNS1_3repE0EEES8_NS1_28merge_sort_block_sort_configILj256ELj4ELNS0_20block_sort_algorithmE0EEENS0_14default_configENS1_37merge_sort_block_sort_config_selectorIjN6thrust23THRUST_200600_302600_NS5tupleIffNSF_9null_typeESH_SH_SH_SH_SH_SH_SH_EEEENS1_38merge_sort_block_merge_config_selectorIjSI_EEEEvv,comdat
.Lfunc_end19:
	.size	_ZN7rocprim17ROCPRIM_400000_NS6detail44device_merge_sort_compile_time_verifier_archINS1_11comp_targetILNS1_3genE3ELNS1_11target_archE908ELNS1_3gpuE7ELNS1_3repE0EEES8_NS1_28merge_sort_block_sort_configILj256ELj4ELNS0_20block_sort_algorithmE0EEENS0_14default_configENS1_37merge_sort_block_sort_config_selectorIjN6thrust23THRUST_200600_302600_NS5tupleIffNSF_9null_typeESH_SH_SH_SH_SH_SH_SH_EEEENS1_38merge_sort_block_merge_config_selectorIjSI_EEEEvv, .Lfunc_end19-_ZN7rocprim17ROCPRIM_400000_NS6detail44device_merge_sort_compile_time_verifier_archINS1_11comp_targetILNS1_3genE3ELNS1_11target_archE908ELNS1_3gpuE7ELNS1_3repE0EEES8_NS1_28merge_sort_block_sort_configILj256ELj4ELNS0_20block_sort_algorithmE0EEENS0_14default_configENS1_37merge_sort_block_sort_config_selectorIjN6thrust23THRUST_200600_302600_NS5tupleIffNSF_9null_typeESH_SH_SH_SH_SH_SH_SH_EEEENS1_38merge_sort_block_merge_config_selectorIjSI_EEEEvv
                                        ; -- End function
	.set _ZN7rocprim17ROCPRIM_400000_NS6detail44device_merge_sort_compile_time_verifier_archINS1_11comp_targetILNS1_3genE3ELNS1_11target_archE908ELNS1_3gpuE7ELNS1_3repE0EEES8_NS1_28merge_sort_block_sort_configILj256ELj4ELNS0_20block_sort_algorithmE0EEENS0_14default_configENS1_37merge_sort_block_sort_config_selectorIjN6thrust23THRUST_200600_302600_NS5tupleIffNSF_9null_typeESH_SH_SH_SH_SH_SH_SH_EEEENS1_38merge_sort_block_merge_config_selectorIjSI_EEEEvv.num_vgpr, 0
	.set _ZN7rocprim17ROCPRIM_400000_NS6detail44device_merge_sort_compile_time_verifier_archINS1_11comp_targetILNS1_3genE3ELNS1_11target_archE908ELNS1_3gpuE7ELNS1_3repE0EEES8_NS1_28merge_sort_block_sort_configILj256ELj4ELNS0_20block_sort_algorithmE0EEENS0_14default_configENS1_37merge_sort_block_sort_config_selectorIjN6thrust23THRUST_200600_302600_NS5tupleIffNSF_9null_typeESH_SH_SH_SH_SH_SH_SH_EEEENS1_38merge_sort_block_merge_config_selectorIjSI_EEEEvv.num_agpr, 0
	.set _ZN7rocprim17ROCPRIM_400000_NS6detail44device_merge_sort_compile_time_verifier_archINS1_11comp_targetILNS1_3genE3ELNS1_11target_archE908ELNS1_3gpuE7ELNS1_3repE0EEES8_NS1_28merge_sort_block_sort_configILj256ELj4ELNS0_20block_sort_algorithmE0EEENS0_14default_configENS1_37merge_sort_block_sort_config_selectorIjN6thrust23THRUST_200600_302600_NS5tupleIffNSF_9null_typeESH_SH_SH_SH_SH_SH_SH_EEEENS1_38merge_sort_block_merge_config_selectorIjSI_EEEEvv.numbered_sgpr, 0
	.set _ZN7rocprim17ROCPRIM_400000_NS6detail44device_merge_sort_compile_time_verifier_archINS1_11comp_targetILNS1_3genE3ELNS1_11target_archE908ELNS1_3gpuE7ELNS1_3repE0EEES8_NS1_28merge_sort_block_sort_configILj256ELj4ELNS0_20block_sort_algorithmE0EEENS0_14default_configENS1_37merge_sort_block_sort_config_selectorIjN6thrust23THRUST_200600_302600_NS5tupleIffNSF_9null_typeESH_SH_SH_SH_SH_SH_SH_EEEENS1_38merge_sort_block_merge_config_selectorIjSI_EEEEvv.num_named_barrier, 0
	.set _ZN7rocprim17ROCPRIM_400000_NS6detail44device_merge_sort_compile_time_verifier_archINS1_11comp_targetILNS1_3genE3ELNS1_11target_archE908ELNS1_3gpuE7ELNS1_3repE0EEES8_NS1_28merge_sort_block_sort_configILj256ELj4ELNS0_20block_sort_algorithmE0EEENS0_14default_configENS1_37merge_sort_block_sort_config_selectorIjN6thrust23THRUST_200600_302600_NS5tupleIffNSF_9null_typeESH_SH_SH_SH_SH_SH_SH_EEEENS1_38merge_sort_block_merge_config_selectorIjSI_EEEEvv.private_seg_size, 0
	.set _ZN7rocprim17ROCPRIM_400000_NS6detail44device_merge_sort_compile_time_verifier_archINS1_11comp_targetILNS1_3genE3ELNS1_11target_archE908ELNS1_3gpuE7ELNS1_3repE0EEES8_NS1_28merge_sort_block_sort_configILj256ELj4ELNS0_20block_sort_algorithmE0EEENS0_14default_configENS1_37merge_sort_block_sort_config_selectorIjN6thrust23THRUST_200600_302600_NS5tupleIffNSF_9null_typeESH_SH_SH_SH_SH_SH_SH_EEEENS1_38merge_sort_block_merge_config_selectorIjSI_EEEEvv.uses_vcc, 0
	.set _ZN7rocprim17ROCPRIM_400000_NS6detail44device_merge_sort_compile_time_verifier_archINS1_11comp_targetILNS1_3genE3ELNS1_11target_archE908ELNS1_3gpuE7ELNS1_3repE0EEES8_NS1_28merge_sort_block_sort_configILj256ELj4ELNS0_20block_sort_algorithmE0EEENS0_14default_configENS1_37merge_sort_block_sort_config_selectorIjN6thrust23THRUST_200600_302600_NS5tupleIffNSF_9null_typeESH_SH_SH_SH_SH_SH_SH_EEEENS1_38merge_sort_block_merge_config_selectorIjSI_EEEEvv.uses_flat_scratch, 0
	.set _ZN7rocprim17ROCPRIM_400000_NS6detail44device_merge_sort_compile_time_verifier_archINS1_11comp_targetILNS1_3genE3ELNS1_11target_archE908ELNS1_3gpuE7ELNS1_3repE0EEES8_NS1_28merge_sort_block_sort_configILj256ELj4ELNS0_20block_sort_algorithmE0EEENS0_14default_configENS1_37merge_sort_block_sort_config_selectorIjN6thrust23THRUST_200600_302600_NS5tupleIffNSF_9null_typeESH_SH_SH_SH_SH_SH_SH_EEEENS1_38merge_sort_block_merge_config_selectorIjSI_EEEEvv.has_dyn_sized_stack, 0
	.set _ZN7rocprim17ROCPRIM_400000_NS6detail44device_merge_sort_compile_time_verifier_archINS1_11comp_targetILNS1_3genE3ELNS1_11target_archE908ELNS1_3gpuE7ELNS1_3repE0EEES8_NS1_28merge_sort_block_sort_configILj256ELj4ELNS0_20block_sort_algorithmE0EEENS0_14default_configENS1_37merge_sort_block_sort_config_selectorIjN6thrust23THRUST_200600_302600_NS5tupleIffNSF_9null_typeESH_SH_SH_SH_SH_SH_SH_EEEENS1_38merge_sort_block_merge_config_selectorIjSI_EEEEvv.has_recursion, 0
	.set _ZN7rocprim17ROCPRIM_400000_NS6detail44device_merge_sort_compile_time_verifier_archINS1_11comp_targetILNS1_3genE3ELNS1_11target_archE908ELNS1_3gpuE7ELNS1_3repE0EEES8_NS1_28merge_sort_block_sort_configILj256ELj4ELNS0_20block_sort_algorithmE0EEENS0_14default_configENS1_37merge_sort_block_sort_config_selectorIjN6thrust23THRUST_200600_302600_NS5tupleIffNSF_9null_typeESH_SH_SH_SH_SH_SH_SH_EEEENS1_38merge_sort_block_merge_config_selectorIjSI_EEEEvv.has_indirect_call, 0
	.section	.AMDGPU.csdata,"",@progbits
; Kernel info:
; codeLenInByte = 4
; TotalNumSgprs: 0
; NumVgprs: 0
; ScratchSize: 0
; MemoryBound: 0
; FloatMode: 240
; IeeeMode: 1
; LDSByteSize: 0 bytes/workgroup (compile time only)
; SGPRBlocks: 0
; VGPRBlocks: 0
; NumSGPRsForWavesPerEU: 1
; NumVGPRsForWavesPerEU: 1
; Occupancy: 16
; WaveLimiterHint : 0
; COMPUTE_PGM_RSRC2:SCRATCH_EN: 0
; COMPUTE_PGM_RSRC2:USER_SGPR: 0
; COMPUTE_PGM_RSRC2:TRAP_HANDLER: 0
; COMPUTE_PGM_RSRC2:TGID_X_EN: 1
; COMPUTE_PGM_RSRC2:TGID_Y_EN: 0
; COMPUTE_PGM_RSRC2:TGID_Z_EN: 0
; COMPUTE_PGM_RSRC2:TIDIG_COMP_CNT: 0
	.section	.text._ZN7rocprim17ROCPRIM_400000_NS6detail44device_merge_sort_compile_time_verifier_archINS1_11comp_targetILNS1_3genE2ELNS1_11target_archE906ELNS1_3gpuE6ELNS1_3repE0EEES8_NS1_28merge_sort_block_sort_configILj256ELj4ELNS0_20block_sort_algorithmE0EEENS0_14default_configENS1_37merge_sort_block_sort_config_selectorIjN6thrust23THRUST_200600_302600_NS5tupleIffNSF_9null_typeESH_SH_SH_SH_SH_SH_SH_EEEENS1_38merge_sort_block_merge_config_selectorIjSI_EEEEvv,"axG",@progbits,_ZN7rocprim17ROCPRIM_400000_NS6detail44device_merge_sort_compile_time_verifier_archINS1_11comp_targetILNS1_3genE2ELNS1_11target_archE906ELNS1_3gpuE6ELNS1_3repE0EEES8_NS1_28merge_sort_block_sort_configILj256ELj4ELNS0_20block_sort_algorithmE0EEENS0_14default_configENS1_37merge_sort_block_sort_config_selectorIjN6thrust23THRUST_200600_302600_NS5tupleIffNSF_9null_typeESH_SH_SH_SH_SH_SH_SH_EEEENS1_38merge_sort_block_merge_config_selectorIjSI_EEEEvv,comdat
	.protected	_ZN7rocprim17ROCPRIM_400000_NS6detail44device_merge_sort_compile_time_verifier_archINS1_11comp_targetILNS1_3genE2ELNS1_11target_archE906ELNS1_3gpuE6ELNS1_3repE0EEES8_NS1_28merge_sort_block_sort_configILj256ELj4ELNS0_20block_sort_algorithmE0EEENS0_14default_configENS1_37merge_sort_block_sort_config_selectorIjN6thrust23THRUST_200600_302600_NS5tupleIffNSF_9null_typeESH_SH_SH_SH_SH_SH_SH_EEEENS1_38merge_sort_block_merge_config_selectorIjSI_EEEEvv ; -- Begin function _ZN7rocprim17ROCPRIM_400000_NS6detail44device_merge_sort_compile_time_verifier_archINS1_11comp_targetILNS1_3genE2ELNS1_11target_archE906ELNS1_3gpuE6ELNS1_3repE0EEES8_NS1_28merge_sort_block_sort_configILj256ELj4ELNS0_20block_sort_algorithmE0EEENS0_14default_configENS1_37merge_sort_block_sort_config_selectorIjN6thrust23THRUST_200600_302600_NS5tupleIffNSF_9null_typeESH_SH_SH_SH_SH_SH_SH_EEEENS1_38merge_sort_block_merge_config_selectorIjSI_EEEEvv
	.globl	_ZN7rocprim17ROCPRIM_400000_NS6detail44device_merge_sort_compile_time_verifier_archINS1_11comp_targetILNS1_3genE2ELNS1_11target_archE906ELNS1_3gpuE6ELNS1_3repE0EEES8_NS1_28merge_sort_block_sort_configILj256ELj4ELNS0_20block_sort_algorithmE0EEENS0_14default_configENS1_37merge_sort_block_sort_config_selectorIjN6thrust23THRUST_200600_302600_NS5tupleIffNSF_9null_typeESH_SH_SH_SH_SH_SH_SH_EEEENS1_38merge_sort_block_merge_config_selectorIjSI_EEEEvv
	.p2align	8
	.type	_ZN7rocprim17ROCPRIM_400000_NS6detail44device_merge_sort_compile_time_verifier_archINS1_11comp_targetILNS1_3genE2ELNS1_11target_archE906ELNS1_3gpuE6ELNS1_3repE0EEES8_NS1_28merge_sort_block_sort_configILj256ELj4ELNS0_20block_sort_algorithmE0EEENS0_14default_configENS1_37merge_sort_block_sort_config_selectorIjN6thrust23THRUST_200600_302600_NS5tupleIffNSF_9null_typeESH_SH_SH_SH_SH_SH_SH_EEEENS1_38merge_sort_block_merge_config_selectorIjSI_EEEEvv,@function
_ZN7rocprim17ROCPRIM_400000_NS6detail44device_merge_sort_compile_time_verifier_archINS1_11comp_targetILNS1_3genE2ELNS1_11target_archE906ELNS1_3gpuE6ELNS1_3repE0EEES8_NS1_28merge_sort_block_sort_configILj256ELj4ELNS0_20block_sort_algorithmE0EEENS0_14default_configENS1_37merge_sort_block_sort_config_selectorIjN6thrust23THRUST_200600_302600_NS5tupleIffNSF_9null_typeESH_SH_SH_SH_SH_SH_SH_EEEENS1_38merge_sort_block_merge_config_selectorIjSI_EEEEvv: ; @_ZN7rocprim17ROCPRIM_400000_NS6detail44device_merge_sort_compile_time_verifier_archINS1_11comp_targetILNS1_3genE2ELNS1_11target_archE906ELNS1_3gpuE6ELNS1_3repE0EEES8_NS1_28merge_sort_block_sort_configILj256ELj4ELNS0_20block_sort_algorithmE0EEENS0_14default_configENS1_37merge_sort_block_sort_config_selectorIjN6thrust23THRUST_200600_302600_NS5tupleIffNSF_9null_typeESH_SH_SH_SH_SH_SH_SH_EEEENS1_38merge_sort_block_merge_config_selectorIjSI_EEEEvv
; %bb.0:
	s_endpgm
	.section	.rodata,"a",@progbits
	.p2align	6, 0x0
	.amdhsa_kernel _ZN7rocprim17ROCPRIM_400000_NS6detail44device_merge_sort_compile_time_verifier_archINS1_11comp_targetILNS1_3genE2ELNS1_11target_archE906ELNS1_3gpuE6ELNS1_3repE0EEES8_NS1_28merge_sort_block_sort_configILj256ELj4ELNS0_20block_sort_algorithmE0EEENS0_14default_configENS1_37merge_sort_block_sort_config_selectorIjN6thrust23THRUST_200600_302600_NS5tupleIffNSF_9null_typeESH_SH_SH_SH_SH_SH_SH_EEEENS1_38merge_sort_block_merge_config_selectorIjSI_EEEEvv
		.amdhsa_group_segment_fixed_size 0
		.amdhsa_private_segment_fixed_size 0
		.amdhsa_kernarg_size 0
		.amdhsa_user_sgpr_count 0
		.amdhsa_user_sgpr_dispatch_ptr 0
		.amdhsa_user_sgpr_queue_ptr 0
		.amdhsa_user_sgpr_kernarg_segment_ptr 0
		.amdhsa_user_sgpr_dispatch_id 0
		.amdhsa_user_sgpr_private_segment_size 0
		.amdhsa_wavefront_size32 1
		.amdhsa_uses_dynamic_stack 0
		.amdhsa_enable_private_segment 0
		.amdhsa_system_sgpr_workgroup_id_x 1
		.amdhsa_system_sgpr_workgroup_id_y 0
		.amdhsa_system_sgpr_workgroup_id_z 0
		.amdhsa_system_sgpr_workgroup_info 0
		.amdhsa_system_vgpr_workitem_id 0
		.amdhsa_next_free_vgpr 1
		.amdhsa_next_free_sgpr 1
		.amdhsa_reserve_vcc 0
		.amdhsa_float_round_mode_32 0
		.amdhsa_float_round_mode_16_64 0
		.amdhsa_float_denorm_mode_32 3
		.amdhsa_float_denorm_mode_16_64 3
		.amdhsa_fp16_overflow 0
		.amdhsa_workgroup_processor_mode 1
		.amdhsa_memory_ordered 1
		.amdhsa_forward_progress 1
		.amdhsa_inst_pref_size 1
		.amdhsa_round_robin_scheduling 0
		.amdhsa_exception_fp_ieee_invalid_op 0
		.amdhsa_exception_fp_denorm_src 0
		.amdhsa_exception_fp_ieee_div_zero 0
		.amdhsa_exception_fp_ieee_overflow 0
		.amdhsa_exception_fp_ieee_underflow 0
		.amdhsa_exception_fp_ieee_inexact 0
		.amdhsa_exception_int_div_zero 0
	.end_amdhsa_kernel
	.section	.text._ZN7rocprim17ROCPRIM_400000_NS6detail44device_merge_sort_compile_time_verifier_archINS1_11comp_targetILNS1_3genE2ELNS1_11target_archE906ELNS1_3gpuE6ELNS1_3repE0EEES8_NS1_28merge_sort_block_sort_configILj256ELj4ELNS0_20block_sort_algorithmE0EEENS0_14default_configENS1_37merge_sort_block_sort_config_selectorIjN6thrust23THRUST_200600_302600_NS5tupleIffNSF_9null_typeESH_SH_SH_SH_SH_SH_SH_EEEENS1_38merge_sort_block_merge_config_selectorIjSI_EEEEvv,"axG",@progbits,_ZN7rocprim17ROCPRIM_400000_NS6detail44device_merge_sort_compile_time_verifier_archINS1_11comp_targetILNS1_3genE2ELNS1_11target_archE906ELNS1_3gpuE6ELNS1_3repE0EEES8_NS1_28merge_sort_block_sort_configILj256ELj4ELNS0_20block_sort_algorithmE0EEENS0_14default_configENS1_37merge_sort_block_sort_config_selectorIjN6thrust23THRUST_200600_302600_NS5tupleIffNSF_9null_typeESH_SH_SH_SH_SH_SH_SH_EEEENS1_38merge_sort_block_merge_config_selectorIjSI_EEEEvv,comdat
.Lfunc_end20:
	.size	_ZN7rocprim17ROCPRIM_400000_NS6detail44device_merge_sort_compile_time_verifier_archINS1_11comp_targetILNS1_3genE2ELNS1_11target_archE906ELNS1_3gpuE6ELNS1_3repE0EEES8_NS1_28merge_sort_block_sort_configILj256ELj4ELNS0_20block_sort_algorithmE0EEENS0_14default_configENS1_37merge_sort_block_sort_config_selectorIjN6thrust23THRUST_200600_302600_NS5tupleIffNSF_9null_typeESH_SH_SH_SH_SH_SH_SH_EEEENS1_38merge_sort_block_merge_config_selectorIjSI_EEEEvv, .Lfunc_end20-_ZN7rocprim17ROCPRIM_400000_NS6detail44device_merge_sort_compile_time_verifier_archINS1_11comp_targetILNS1_3genE2ELNS1_11target_archE906ELNS1_3gpuE6ELNS1_3repE0EEES8_NS1_28merge_sort_block_sort_configILj256ELj4ELNS0_20block_sort_algorithmE0EEENS0_14default_configENS1_37merge_sort_block_sort_config_selectorIjN6thrust23THRUST_200600_302600_NS5tupleIffNSF_9null_typeESH_SH_SH_SH_SH_SH_SH_EEEENS1_38merge_sort_block_merge_config_selectorIjSI_EEEEvv
                                        ; -- End function
	.set _ZN7rocprim17ROCPRIM_400000_NS6detail44device_merge_sort_compile_time_verifier_archINS1_11comp_targetILNS1_3genE2ELNS1_11target_archE906ELNS1_3gpuE6ELNS1_3repE0EEES8_NS1_28merge_sort_block_sort_configILj256ELj4ELNS0_20block_sort_algorithmE0EEENS0_14default_configENS1_37merge_sort_block_sort_config_selectorIjN6thrust23THRUST_200600_302600_NS5tupleIffNSF_9null_typeESH_SH_SH_SH_SH_SH_SH_EEEENS1_38merge_sort_block_merge_config_selectorIjSI_EEEEvv.num_vgpr, 0
	.set _ZN7rocprim17ROCPRIM_400000_NS6detail44device_merge_sort_compile_time_verifier_archINS1_11comp_targetILNS1_3genE2ELNS1_11target_archE906ELNS1_3gpuE6ELNS1_3repE0EEES8_NS1_28merge_sort_block_sort_configILj256ELj4ELNS0_20block_sort_algorithmE0EEENS0_14default_configENS1_37merge_sort_block_sort_config_selectorIjN6thrust23THRUST_200600_302600_NS5tupleIffNSF_9null_typeESH_SH_SH_SH_SH_SH_SH_EEEENS1_38merge_sort_block_merge_config_selectorIjSI_EEEEvv.num_agpr, 0
	.set _ZN7rocprim17ROCPRIM_400000_NS6detail44device_merge_sort_compile_time_verifier_archINS1_11comp_targetILNS1_3genE2ELNS1_11target_archE906ELNS1_3gpuE6ELNS1_3repE0EEES8_NS1_28merge_sort_block_sort_configILj256ELj4ELNS0_20block_sort_algorithmE0EEENS0_14default_configENS1_37merge_sort_block_sort_config_selectorIjN6thrust23THRUST_200600_302600_NS5tupleIffNSF_9null_typeESH_SH_SH_SH_SH_SH_SH_EEEENS1_38merge_sort_block_merge_config_selectorIjSI_EEEEvv.numbered_sgpr, 0
	.set _ZN7rocprim17ROCPRIM_400000_NS6detail44device_merge_sort_compile_time_verifier_archINS1_11comp_targetILNS1_3genE2ELNS1_11target_archE906ELNS1_3gpuE6ELNS1_3repE0EEES8_NS1_28merge_sort_block_sort_configILj256ELj4ELNS0_20block_sort_algorithmE0EEENS0_14default_configENS1_37merge_sort_block_sort_config_selectorIjN6thrust23THRUST_200600_302600_NS5tupleIffNSF_9null_typeESH_SH_SH_SH_SH_SH_SH_EEEENS1_38merge_sort_block_merge_config_selectorIjSI_EEEEvv.num_named_barrier, 0
	.set _ZN7rocprim17ROCPRIM_400000_NS6detail44device_merge_sort_compile_time_verifier_archINS1_11comp_targetILNS1_3genE2ELNS1_11target_archE906ELNS1_3gpuE6ELNS1_3repE0EEES8_NS1_28merge_sort_block_sort_configILj256ELj4ELNS0_20block_sort_algorithmE0EEENS0_14default_configENS1_37merge_sort_block_sort_config_selectorIjN6thrust23THRUST_200600_302600_NS5tupleIffNSF_9null_typeESH_SH_SH_SH_SH_SH_SH_EEEENS1_38merge_sort_block_merge_config_selectorIjSI_EEEEvv.private_seg_size, 0
	.set _ZN7rocprim17ROCPRIM_400000_NS6detail44device_merge_sort_compile_time_verifier_archINS1_11comp_targetILNS1_3genE2ELNS1_11target_archE906ELNS1_3gpuE6ELNS1_3repE0EEES8_NS1_28merge_sort_block_sort_configILj256ELj4ELNS0_20block_sort_algorithmE0EEENS0_14default_configENS1_37merge_sort_block_sort_config_selectorIjN6thrust23THRUST_200600_302600_NS5tupleIffNSF_9null_typeESH_SH_SH_SH_SH_SH_SH_EEEENS1_38merge_sort_block_merge_config_selectorIjSI_EEEEvv.uses_vcc, 0
	.set _ZN7rocprim17ROCPRIM_400000_NS6detail44device_merge_sort_compile_time_verifier_archINS1_11comp_targetILNS1_3genE2ELNS1_11target_archE906ELNS1_3gpuE6ELNS1_3repE0EEES8_NS1_28merge_sort_block_sort_configILj256ELj4ELNS0_20block_sort_algorithmE0EEENS0_14default_configENS1_37merge_sort_block_sort_config_selectorIjN6thrust23THRUST_200600_302600_NS5tupleIffNSF_9null_typeESH_SH_SH_SH_SH_SH_SH_EEEENS1_38merge_sort_block_merge_config_selectorIjSI_EEEEvv.uses_flat_scratch, 0
	.set _ZN7rocprim17ROCPRIM_400000_NS6detail44device_merge_sort_compile_time_verifier_archINS1_11comp_targetILNS1_3genE2ELNS1_11target_archE906ELNS1_3gpuE6ELNS1_3repE0EEES8_NS1_28merge_sort_block_sort_configILj256ELj4ELNS0_20block_sort_algorithmE0EEENS0_14default_configENS1_37merge_sort_block_sort_config_selectorIjN6thrust23THRUST_200600_302600_NS5tupleIffNSF_9null_typeESH_SH_SH_SH_SH_SH_SH_EEEENS1_38merge_sort_block_merge_config_selectorIjSI_EEEEvv.has_dyn_sized_stack, 0
	.set _ZN7rocprim17ROCPRIM_400000_NS6detail44device_merge_sort_compile_time_verifier_archINS1_11comp_targetILNS1_3genE2ELNS1_11target_archE906ELNS1_3gpuE6ELNS1_3repE0EEES8_NS1_28merge_sort_block_sort_configILj256ELj4ELNS0_20block_sort_algorithmE0EEENS0_14default_configENS1_37merge_sort_block_sort_config_selectorIjN6thrust23THRUST_200600_302600_NS5tupleIffNSF_9null_typeESH_SH_SH_SH_SH_SH_SH_EEEENS1_38merge_sort_block_merge_config_selectorIjSI_EEEEvv.has_recursion, 0
	.set _ZN7rocprim17ROCPRIM_400000_NS6detail44device_merge_sort_compile_time_verifier_archINS1_11comp_targetILNS1_3genE2ELNS1_11target_archE906ELNS1_3gpuE6ELNS1_3repE0EEES8_NS1_28merge_sort_block_sort_configILj256ELj4ELNS0_20block_sort_algorithmE0EEENS0_14default_configENS1_37merge_sort_block_sort_config_selectorIjN6thrust23THRUST_200600_302600_NS5tupleIffNSF_9null_typeESH_SH_SH_SH_SH_SH_SH_EEEENS1_38merge_sort_block_merge_config_selectorIjSI_EEEEvv.has_indirect_call, 0
	.section	.AMDGPU.csdata,"",@progbits
; Kernel info:
; codeLenInByte = 4
; TotalNumSgprs: 0
; NumVgprs: 0
; ScratchSize: 0
; MemoryBound: 0
; FloatMode: 240
; IeeeMode: 1
; LDSByteSize: 0 bytes/workgroup (compile time only)
; SGPRBlocks: 0
; VGPRBlocks: 0
; NumSGPRsForWavesPerEU: 1
; NumVGPRsForWavesPerEU: 1
; Occupancy: 16
; WaveLimiterHint : 0
; COMPUTE_PGM_RSRC2:SCRATCH_EN: 0
; COMPUTE_PGM_RSRC2:USER_SGPR: 0
; COMPUTE_PGM_RSRC2:TRAP_HANDLER: 0
; COMPUTE_PGM_RSRC2:TGID_X_EN: 1
; COMPUTE_PGM_RSRC2:TGID_Y_EN: 0
; COMPUTE_PGM_RSRC2:TGID_Z_EN: 0
; COMPUTE_PGM_RSRC2:TIDIG_COMP_CNT: 0
	.section	.text._ZN7rocprim17ROCPRIM_400000_NS6detail44device_merge_sort_compile_time_verifier_archINS1_11comp_targetILNS1_3genE10ELNS1_11target_archE1201ELNS1_3gpuE5ELNS1_3repE0EEES8_NS1_28merge_sort_block_sort_configILj256ELj4ELNS0_20block_sort_algorithmE0EEENS0_14default_configENS1_37merge_sort_block_sort_config_selectorIjN6thrust23THRUST_200600_302600_NS5tupleIffNSF_9null_typeESH_SH_SH_SH_SH_SH_SH_EEEENS1_38merge_sort_block_merge_config_selectorIjSI_EEEEvv,"axG",@progbits,_ZN7rocprim17ROCPRIM_400000_NS6detail44device_merge_sort_compile_time_verifier_archINS1_11comp_targetILNS1_3genE10ELNS1_11target_archE1201ELNS1_3gpuE5ELNS1_3repE0EEES8_NS1_28merge_sort_block_sort_configILj256ELj4ELNS0_20block_sort_algorithmE0EEENS0_14default_configENS1_37merge_sort_block_sort_config_selectorIjN6thrust23THRUST_200600_302600_NS5tupleIffNSF_9null_typeESH_SH_SH_SH_SH_SH_SH_EEEENS1_38merge_sort_block_merge_config_selectorIjSI_EEEEvv,comdat
	.protected	_ZN7rocprim17ROCPRIM_400000_NS6detail44device_merge_sort_compile_time_verifier_archINS1_11comp_targetILNS1_3genE10ELNS1_11target_archE1201ELNS1_3gpuE5ELNS1_3repE0EEES8_NS1_28merge_sort_block_sort_configILj256ELj4ELNS0_20block_sort_algorithmE0EEENS0_14default_configENS1_37merge_sort_block_sort_config_selectorIjN6thrust23THRUST_200600_302600_NS5tupleIffNSF_9null_typeESH_SH_SH_SH_SH_SH_SH_EEEENS1_38merge_sort_block_merge_config_selectorIjSI_EEEEvv ; -- Begin function _ZN7rocprim17ROCPRIM_400000_NS6detail44device_merge_sort_compile_time_verifier_archINS1_11comp_targetILNS1_3genE10ELNS1_11target_archE1201ELNS1_3gpuE5ELNS1_3repE0EEES8_NS1_28merge_sort_block_sort_configILj256ELj4ELNS0_20block_sort_algorithmE0EEENS0_14default_configENS1_37merge_sort_block_sort_config_selectorIjN6thrust23THRUST_200600_302600_NS5tupleIffNSF_9null_typeESH_SH_SH_SH_SH_SH_SH_EEEENS1_38merge_sort_block_merge_config_selectorIjSI_EEEEvv
	.globl	_ZN7rocprim17ROCPRIM_400000_NS6detail44device_merge_sort_compile_time_verifier_archINS1_11comp_targetILNS1_3genE10ELNS1_11target_archE1201ELNS1_3gpuE5ELNS1_3repE0EEES8_NS1_28merge_sort_block_sort_configILj256ELj4ELNS0_20block_sort_algorithmE0EEENS0_14default_configENS1_37merge_sort_block_sort_config_selectorIjN6thrust23THRUST_200600_302600_NS5tupleIffNSF_9null_typeESH_SH_SH_SH_SH_SH_SH_EEEENS1_38merge_sort_block_merge_config_selectorIjSI_EEEEvv
	.p2align	8
	.type	_ZN7rocprim17ROCPRIM_400000_NS6detail44device_merge_sort_compile_time_verifier_archINS1_11comp_targetILNS1_3genE10ELNS1_11target_archE1201ELNS1_3gpuE5ELNS1_3repE0EEES8_NS1_28merge_sort_block_sort_configILj256ELj4ELNS0_20block_sort_algorithmE0EEENS0_14default_configENS1_37merge_sort_block_sort_config_selectorIjN6thrust23THRUST_200600_302600_NS5tupleIffNSF_9null_typeESH_SH_SH_SH_SH_SH_SH_EEEENS1_38merge_sort_block_merge_config_selectorIjSI_EEEEvv,@function
_ZN7rocprim17ROCPRIM_400000_NS6detail44device_merge_sort_compile_time_verifier_archINS1_11comp_targetILNS1_3genE10ELNS1_11target_archE1201ELNS1_3gpuE5ELNS1_3repE0EEES8_NS1_28merge_sort_block_sort_configILj256ELj4ELNS0_20block_sort_algorithmE0EEENS0_14default_configENS1_37merge_sort_block_sort_config_selectorIjN6thrust23THRUST_200600_302600_NS5tupleIffNSF_9null_typeESH_SH_SH_SH_SH_SH_SH_EEEENS1_38merge_sort_block_merge_config_selectorIjSI_EEEEvv: ; @_ZN7rocprim17ROCPRIM_400000_NS6detail44device_merge_sort_compile_time_verifier_archINS1_11comp_targetILNS1_3genE10ELNS1_11target_archE1201ELNS1_3gpuE5ELNS1_3repE0EEES8_NS1_28merge_sort_block_sort_configILj256ELj4ELNS0_20block_sort_algorithmE0EEENS0_14default_configENS1_37merge_sort_block_sort_config_selectorIjN6thrust23THRUST_200600_302600_NS5tupleIffNSF_9null_typeESH_SH_SH_SH_SH_SH_SH_EEEENS1_38merge_sort_block_merge_config_selectorIjSI_EEEEvv
; %bb.0:
	s_endpgm
	.section	.rodata,"a",@progbits
	.p2align	6, 0x0
	.amdhsa_kernel _ZN7rocprim17ROCPRIM_400000_NS6detail44device_merge_sort_compile_time_verifier_archINS1_11comp_targetILNS1_3genE10ELNS1_11target_archE1201ELNS1_3gpuE5ELNS1_3repE0EEES8_NS1_28merge_sort_block_sort_configILj256ELj4ELNS0_20block_sort_algorithmE0EEENS0_14default_configENS1_37merge_sort_block_sort_config_selectorIjN6thrust23THRUST_200600_302600_NS5tupleIffNSF_9null_typeESH_SH_SH_SH_SH_SH_SH_EEEENS1_38merge_sort_block_merge_config_selectorIjSI_EEEEvv
		.amdhsa_group_segment_fixed_size 0
		.amdhsa_private_segment_fixed_size 0
		.amdhsa_kernarg_size 0
		.amdhsa_user_sgpr_count 0
		.amdhsa_user_sgpr_dispatch_ptr 0
		.amdhsa_user_sgpr_queue_ptr 0
		.amdhsa_user_sgpr_kernarg_segment_ptr 0
		.amdhsa_user_sgpr_dispatch_id 0
		.amdhsa_user_sgpr_private_segment_size 0
		.amdhsa_wavefront_size32 1
		.amdhsa_uses_dynamic_stack 0
		.amdhsa_enable_private_segment 0
		.amdhsa_system_sgpr_workgroup_id_x 1
		.amdhsa_system_sgpr_workgroup_id_y 0
		.amdhsa_system_sgpr_workgroup_id_z 0
		.amdhsa_system_sgpr_workgroup_info 0
		.amdhsa_system_vgpr_workitem_id 0
		.amdhsa_next_free_vgpr 1
		.amdhsa_next_free_sgpr 1
		.amdhsa_reserve_vcc 0
		.amdhsa_float_round_mode_32 0
		.amdhsa_float_round_mode_16_64 0
		.amdhsa_float_denorm_mode_32 3
		.amdhsa_float_denorm_mode_16_64 3
		.amdhsa_fp16_overflow 0
		.amdhsa_workgroup_processor_mode 1
		.amdhsa_memory_ordered 1
		.amdhsa_forward_progress 1
		.amdhsa_inst_pref_size 1
		.amdhsa_round_robin_scheduling 0
		.amdhsa_exception_fp_ieee_invalid_op 0
		.amdhsa_exception_fp_denorm_src 0
		.amdhsa_exception_fp_ieee_div_zero 0
		.amdhsa_exception_fp_ieee_overflow 0
		.amdhsa_exception_fp_ieee_underflow 0
		.amdhsa_exception_fp_ieee_inexact 0
		.amdhsa_exception_int_div_zero 0
	.end_amdhsa_kernel
	.section	.text._ZN7rocprim17ROCPRIM_400000_NS6detail44device_merge_sort_compile_time_verifier_archINS1_11comp_targetILNS1_3genE10ELNS1_11target_archE1201ELNS1_3gpuE5ELNS1_3repE0EEES8_NS1_28merge_sort_block_sort_configILj256ELj4ELNS0_20block_sort_algorithmE0EEENS0_14default_configENS1_37merge_sort_block_sort_config_selectorIjN6thrust23THRUST_200600_302600_NS5tupleIffNSF_9null_typeESH_SH_SH_SH_SH_SH_SH_EEEENS1_38merge_sort_block_merge_config_selectorIjSI_EEEEvv,"axG",@progbits,_ZN7rocprim17ROCPRIM_400000_NS6detail44device_merge_sort_compile_time_verifier_archINS1_11comp_targetILNS1_3genE10ELNS1_11target_archE1201ELNS1_3gpuE5ELNS1_3repE0EEES8_NS1_28merge_sort_block_sort_configILj256ELj4ELNS0_20block_sort_algorithmE0EEENS0_14default_configENS1_37merge_sort_block_sort_config_selectorIjN6thrust23THRUST_200600_302600_NS5tupleIffNSF_9null_typeESH_SH_SH_SH_SH_SH_SH_EEEENS1_38merge_sort_block_merge_config_selectorIjSI_EEEEvv,comdat
.Lfunc_end21:
	.size	_ZN7rocprim17ROCPRIM_400000_NS6detail44device_merge_sort_compile_time_verifier_archINS1_11comp_targetILNS1_3genE10ELNS1_11target_archE1201ELNS1_3gpuE5ELNS1_3repE0EEES8_NS1_28merge_sort_block_sort_configILj256ELj4ELNS0_20block_sort_algorithmE0EEENS0_14default_configENS1_37merge_sort_block_sort_config_selectorIjN6thrust23THRUST_200600_302600_NS5tupleIffNSF_9null_typeESH_SH_SH_SH_SH_SH_SH_EEEENS1_38merge_sort_block_merge_config_selectorIjSI_EEEEvv, .Lfunc_end21-_ZN7rocprim17ROCPRIM_400000_NS6detail44device_merge_sort_compile_time_verifier_archINS1_11comp_targetILNS1_3genE10ELNS1_11target_archE1201ELNS1_3gpuE5ELNS1_3repE0EEES8_NS1_28merge_sort_block_sort_configILj256ELj4ELNS0_20block_sort_algorithmE0EEENS0_14default_configENS1_37merge_sort_block_sort_config_selectorIjN6thrust23THRUST_200600_302600_NS5tupleIffNSF_9null_typeESH_SH_SH_SH_SH_SH_SH_EEEENS1_38merge_sort_block_merge_config_selectorIjSI_EEEEvv
                                        ; -- End function
	.set _ZN7rocprim17ROCPRIM_400000_NS6detail44device_merge_sort_compile_time_verifier_archINS1_11comp_targetILNS1_3genE10ELNS1_11target_archE1201ELNS1_3gpuE5ELNS1_3repE0EEES8_NS1_28merge_sort_block_sort_configILj256ELj4ELNS0_20block_sort_algorithmE0EEENS0_14default_configENS1_37merge_sort_block_sort_config_selectorIjN6thrust23THRUST_200600_302600_NS5tupleIffNSF_9null_typeESH_SH_SH_SH_SH_SH_SH_EEEENS1_38merge_sort_block_merge_config_selectorIjSI_EEEEvv.num_vgpr, 0
	.set _ZN7rocprim17ROCPRIM_400000_NS6detail44device_merge_sort_compile_time_verifier_archINS1_11comp_targetILNS1_3genE10ELNS1_11target_archE1201ELNS1_3gpuE5ELNS1_3repE0EEES8_NS1_28merge_sort_block_sort_configILj256ELj4ELNS0_20block_sort_algorithmE0EEENS0_14default_configENS1_37merge_sort_block_sort_config_selectorIjN6thrust23THRUST_200600_302600_NS5tupleIffNSF_9null_typeESH_SH_SH_SH_SH_SH_SH_EEEENS1_38merge_sort_block_merge_config_selectorIjSI_EEEEvv.num_agpr, 0
	.set _ZN7rocprim17ROCPRIM_400000_NS6detail44device_merge_sort_compile_time_verifier_archINS1_11comp_targetILNS1_3genE10ELNS1_11target_archE1201ELNS1_3gpuE5ELNS1_3repE0EEES8_NS1_28merge_sort_block_sort_configILj256ELj4ELNS0_20block_sort_algorithmE0EEENS0_14default_configENS1_37merge_sort_block_sort_config_selectorIjN6thrust23THRUST_200600_302600_NS5tupleIffNSF_9null_typeESH_SH_SH_SH_SH_SH_SH_EEEENS1_38merge_sort_block_merge_config_selectorIjSI_EEEEvv.numbered_sgpr, 0
	.set _ZN7rocprim17ROCPRIM_400000_NS6detail44device_merge_sort_compile_time_verifier_archINS1_11comp_targetILNS1_3genE10ELNS1_11target_archE1201ELNS1_3gpuE5ELNS1_3repE0EEES8_NS1_28merge_sort_block_sort_configILj256ELj4ELNS0_20block_sort_algorithmE0EEENS0_14default_configENS1_37merge_sort_block_sort_config_selectorIjN6thrust23THRUST_200600_302600_NS5tupleIffNSF_9null_typeESH_SH_SH_SH_SH_SH_SH_EEEENS1_38merge_sort_block_merge_config_selectorIjSI_EEEEvv.num_named_barrier, 0
	.set _ZN7rocprim17ROCPRIM_400000_NS6detail44device_merge_sort_compile_time_verifier_archINS1_11comp_targetILNS1_3genE10ELNS1_11target_archE1201ELNS1_3gpuE5ELNS1_3repE0EEES8_NS1_28merge_sort_block_sort_configILj256ELj4ELNS0_20block_sort_algorithmE0EEENS0_14default_configENS1_37merge_sort_block_sort_config_selectorIjN6thrust23THRUST_200600_302600_NS5tupleIffNSF_9null_typeESH_SH_SH_SH_SH_SH_SH_EEEENS1_38merge_sort_block_merge_config_selectorIjSI_EEEEvv.private_seg_size, 0
	.set _ZN7rocprim17ROCPRIM_400000_NS6detail44device_merge_sort_compile_time_verifier_archINS1_11comp_targetILNS1_3genE10ELNS1_11target_archE1201ELNS1_3gpuE5ELNS1_3repE0EEES8_NS1_28merge_sort_block_sort_configILj256ELj4ELNS0_20block_sort_algorithmE0EEENS0_14default_configENS1_37merge_sort_block_sort_config_selectorIjN6thrust23THRUST_200600_302600_NS5tupleIffNSF_9null_typeESH_SH_SH_SH_SH_SH_SH_EEEENS1_38merge_sort_block_merge_config_selectorIjSI_EEEEvv.uses_vcc, 0
	.set _ZN7rocprim17ROCPRIM_400000_NS6detail44device_merge_sort_compile_time_verifier_archINS1_11comp_targetILNS1_3genE10ELNS1_11target_archE1201ELNS1_3gpuE5ELNS1_3repE0EEES8_NS1_28merge_sort_block_sort_configILj256ELj4ELNS0_20block_sort_algorithmE0EEENS0_14default_configENS1_37merge_sort_block_sort_config_selectorIjN6thrust23THRUST_200600_302600_NS5tupleIffNSF_9null_typeESH_SH_SH_SH_SH_SH_SH_EEEENS1_38merge_sort_block_merge_config_selectorIjSI_EEEEvv.uses_flat_scratch, 0
	.set _ZN7rocprim17ROCPRIM_400000_NS6detail44device_merge_sort_compile_time_verifier_archINS1_11comp_targetILNS1_3genE10ELNS1_11target_archE1201ELNS1_3gpuE5ELNS1_3repE0EEES8_NS1_28merge_sort_block_sort_configILj256ELj4ELNS0_20block_sort_algorithmE0EEENS0_14default_configENS1_37merge_sort_block_sort_config_selectorIjN6thrust23THRUST_200600_302600_NS5tupleIffNSF_9null_typeESH_SH_SH_SH_SH_SH_SH_EEEENS1_38merge_sort_block_merge_config_selectorIjSI_EEEEvv.has_dyn_sized_stack, 0
	.set _ZN7rocprim17ROCPRIM_400000_NS6detail44device_merge_sort_compile_time_verifier_archINS1_11comp_targetILNS1_3genE10ELNS1_11target_archE1201ELNS1_3gpuE5ELNS1_3repE0EEES8_NS1_28merge_sort_block_sort_configILj256ELj4ELNS0_20block_sort_algorithmE0EEENS0_14default_configENS1_37merge_sort_block_sort_config_selectorIjN6thrust23THRUST_200600_302600_NS5tupleIffNSF_9null_typeESH_SH_SH_SH_SH_SH_SH_EEEENS1_38merge_sort_block_merge_config_selectorIjSI_EEEEvv.has_recursion, 0
	.set _ZN7rocprim17ROCPRIM_400000_NS6detail44device_merge_sort_compile_time_verifier_archINS1_11comp_targetILNS1_3genE10ELNS1_11target_archE1201ELNS1_3gpuE5ELNS1_3repE0EEES8_NS1_28merge_sort_block_sort_configILj256ELj4ELNS0_20block_sort_algorithmE0EEENS0_14default_configENS1_37merge_sort_block_sort_config_selectorIjN6thrust23THRUST_200600_302600_NS5tupleIffNSF_9null_typeESH_SH_SH_SH_SH_SH_SH_EEEENS1_38merge_sort_block_merge_config_selectorIjSI_EEEEvv.has_indirect_call, 0
	.section	.AMDGPU.csdata,"",@progbits
; Kernel info:
; codeLenInByte = 4
; TotalNumSgprs: 0
; NumVgprs: 0
; ScratchSize: 0
; MemoryBound: 0
; FloatMode: 240
; IeeeMode: 1
; LDSByteSize: 0 bytes/workgroup (compile time only)
; SGPRBlocks: 0
; VGPRBlocks: 0
; NumSGPRsForWavesPerEU: 1
; NumVGPRsForWavesPerEU: 1
; Occupancy: 16
; WaveLimiterHint : 0
; COMPUTE_PGM_RSRC2:SCRATCH_EN: 0
; COMPUTE_PGM_RSRC2:USER_SGPR: 0
; COMPUTE_PGM_RSRC2:TRAP_HANDLER: 0
; COMPUTE_PGM_RSRC2:TGID_X_EN: 1
; COMPUTE_PGM_RSRC2:TGID_Y_EN: 0
; COMPUTE_PGM_RSRC2:TGID_Z_EN: 0
; COMPUTE_PGM_RSRC2:TIDIG_COMP_CNT: 0
	.section	.text._ZN7rocprim17ROCPRIM_400000_NS6detail44device_merge_sort_compile_time_verifier_archINS1_11comp_targetILNS1_3genE10ELNS1_11target_archE1200ELNS1_3gpuE4ELNS1_3repE0EEENS3_ILS4_10ELS5_1201ELS6_5ELS7_0EEENS1_28merge_sort_block_sort_configILj256ELj4ELNS0_20block_sort_algorithmE0EEENS0_14default_configENS1_37merge_sort_block_sort_config_selectorIjN6thrust23THRUST_200600_302600_NS5tupleIffNSG_9null_typeESI_SI_SI_SI_SI_SI_SI_EEEENS1_38merge_sort_block_merge_config_selectorIjSJ_EEEEvv,"axG",@progbits,_ZN7rocprim17ROCPRIM_400000_NS6detail44device_merge_sort_compile_time_verifier_archINS1_11comp_targetILNS1_3genE10ELNS1_11target_archE1200ELNS1_3gpuE4ELNS1_3repE0EEENS3_ILS4_10ELS5_1201ELS6_5ELS7_0EEENS1_28merge_sort_block_sort_configILj256ELj4ELNS0_20block_sort_algorithmE0EEENS0_14default_configENS1_37merge_sort_block_sort_config_selectorIjN6thrust23THRUST_200600_302600_NS5tupleIffNSG_9null_typeESI_SI_SI_SI_SI_SI_SI_EEEENS1_38merge_sort_block_merge_config_selectorIjSJ_EEEEvv,comdat
	.protected	_ZN7rocprim17ROCPRIM_400000_NS6detail44device_merge_sort_compile_time_verifier_archINS1_11comp_targetILNS1_3genE10ELNS1_11target_archE1200ELNS1_3gpuE4ELNS1_3repE0EEENS3_ILS4_10ELS5_1201ELS6_5ELS7_0EEENS1_28merge_sort_block_sort_configILj256ELj4ELNS0_20block_sort_algorithmE0EEENS0_14default_configENS1_37merge_sort_block_sort_config_selectorIjN6thrust23THRUST_200600_302600_NS5tupleIffNSG_9null_typeESI_SI_SI_SI_SI_SI_SI_EEEENS1_38merge_sort_block_merge_config_selectorIjSJ_EEEEvv ; -- Begin function _ZN7rocprim17ROCPRIM_400000_NS6detail44device_merge_sort_compile_time_verifier_archINS1_11comp_targetILNS1_3genE10ELNS1_11target_archE1200ELNS1_3gpuE4ELNS1_3repE0EEENS3_ILS4_10ELS5_1201ELS6_5ELS7_0EEENS1_28merge_sort_block_sort_configILj256ELj4ELNS0_20block_sort_algorithmE0EEENS0_14default_configENS1_37merge_sort_block_sort_config_selectorIjN6thrust23THRUST_200600_302600_NS5tupleIffNSG_9null_typeESI_SI_SI_SI_SI_SI_SI_EEEENS1_38merge_sort_block_merge_config_selectorIjSJ_EEEEvv
	.globl	_ZN7rocprim17ROCPRIM_400000_NS6detail44device_merge_sort_compile_time_verifier_archINS1_11comp_targetILNS1_3genE10ELNS1_11target_archE1200ELNS1_3gpuE4ELNS1_3repE0EEENS3_ILS4_10ELS5_1201ELS6_5ELS7_0EEENS1_28merge_sort_block_sort_configILj256ELj4ELNS0_20block_sort_algorithmE0EEENS0_14default_configENS1_37merge_sort_block_sort_config_selectorIjN6thrust23THRUST_200600_302600_NS5tupleIffNSG_9null_typeESI_SI_SI_SI_SI_SI_SI_EEEENS1_38merge_sort_block_merge_config_selectorIjSJ_EEEEvv
	.p2align	8
	.type	_ZN7rocprim17ROCPRIM_400000_NS6detail44device_merge_sort_compile_time_verifier_archINS1_11comp_targetILNS1_3genE10ELNS1_11target_archE1200ELNS1_3gpuE4ELNS1_3repE0EEENS3_ILS4_10ELS5_1201ELS6_5ELS7_0EEENS1_28merge_sort_block_sort_configILj256ELj4ELNS0_20block_sort_algorithmE0EEENS0_14default_configENS1_37merge_sort_block_sort_config_selectorIjN6thrust23THRUST_200600_302600_NS5tupleIffNSG_9null_typeESI_SI_SI_SI_SI_SI_SI_EEEENS1_38merge_sort_block_merge_config_selectorIjSJ_EEEEvv,@function
_ZN7rocprim17ROCPRIM_400000_NS6detail44device_merge_sort_compile_time_verifier_archINS1_11comp_targetILNS1_3genE10ELNS1_11target_archE1200ELNS1_3gpuE4ELNS1_3repE0EEENS3_ILS4_10ELS5_1201ELS6_5ELS7_0EEENS1_28merge_sort_block_sort_configILj256ELj4ELNS0_20block_sort_algorithmE0EEENS0_14default_configENS1_37merge_sort_block_sort_config_selectorIjN6thrust23THRUST_200600_302600_NS5tupleIffNSG_9null_typeESI_SI_SI_SI_SI_SI_SI_EEEENS1_38merge_sort_block_merge_config_selectorIjSJ_EEEEvv: ; @_ZN7rocprim17ROCPRIM_400000_NS6detail44device_merge_sort_compile_time_verifier_archINS1_11comp_targetILNS1_3genE10ELNS1_11target_archE1200ELNS1_3gpuE4ELNS1_3repE0EEENS3_ILS4_10ELS5_1201ELS6_5ELS7_0EEENS1_28merge_sort_block_sort_configILj256ELj4ELNS0_20block_sort_algorithmE0EEENS0_14default_configENS1_37merge_sort_block_sort_config_selectorIjN6thrust23THRUST_200600_302600_NS5tupleIffNSG_9null_typeESI_SI_SI_SI_SI_SI_SI_EEEENS1_38merge_sort_block_merge_config_selectorIjSJ_EEEEvv
; %bb.0:
	s_endpgm
	.section	.rodata,"a",@progbits
	.p2align	6, 0x0
	.amdhsa_kernel _ZN7rocprim17ROCPRIM_400000_NS6detail44device_merge_sort_compile_time_verifier_archINS1_11comp_targetILNS1_3genE10ELNS1_11target_archE1200ELNS1_3gpuE4ELNS1_3repE0EEENS3_ILS4_10ELS5_1201ELS6_5ELS7_0EEENS1_28merge_sort_block_sort_configILj256ELj4ELNS0_20block_sort_algorithmE0EEENS0_14default_configENS1_37merge_sort_block_sort_config_selectorIjN6thrust23THRUST_200600_302600_NS5tupleIffNSG_9null_typeESI_SI_SI_SI_SI_SI_SI_EEEENS1_38merge_sort_block_merge_config_selectorIjSJ_EEEEvv
		.amdhsa_group_segment_fixed_size 0
		.amdhsa_private_segment_fixed_size 0
		.amdhsa_kernarg_size 0
		.amdhsa_user_sgpr_count 0
		.amdhsa_user_sgpr_dispatch_ptr 0
		.amdhsa_user_sgpr_queue_ptr 0
		.amdhsa_user_sgpr_kernarg_segment_ptr 0
		.amdhsa_user_sgpr_dispatch_id 0
		.amdhsa_user_sgpr_private_segment_size 0
		.amdhsa_wavefront_size32 1
		.amdhsa_uses_dynamic_stack 0
		.amdhsa_enable_private_segment 0
		.amdhsa_system_sgpr_workgroup_id_x 1
		.amdhsa_system_sgpr_workgroup_id_y 0
		.amdhsa_system_sgpr_workgroup_id_z 0
		.amdhsa_system_sgpr_workgroup_info 0
		.amdhsa_system_vgpr_workitem_id 0
		.amdhsa_next_free_vgpr 1
		.amdhsa_next_free_sgpr 1
		.amdhsa_reserve_vcc 0
		.amdhsa_float_round_mode_32 0
		.amdhsa_float_round_mode_16_64 0
		.amdhsa_float_denorm_mode_32 3
		.amdhsa_float_denorm_mode_16_64 3
		.amdhsa_fp16_overflow 0
		.amdhsa_workgroup_processor_mode 1
		.amdhsa_memory_ordered 1
		.amdhsa_forward_progress 1
		.amdhsa_inst_pref_size 1
		.amdhsa_round_robin_scheduling 0
		.amdhsa_exception_fp_ieee_invalid_op 0
		.amdhsa_exception_fp_denorm_src 0
		.amdhsa_exception_fp_ieee_div_zero 0
		.amdhsa_exception_fp_ieee_overflow 0
		.amdhsa_exception_fp_ieee_underflow 0
		.amdhsa_exception_fp_ieee_inexact 0
		.amdhsa_exception_int_div_zero 0
	.end_amdhsa_kernel
	.section	.text._ZN7rocprim17ROCPRIM_400000_NS6detail44device_merge_sort_compile_time_verifier_archINS1_11comp_targetILNS1_3genE10ELNS1_11target_archE1200ELNS1_3gpuE4ELNS1_3repE0EEENS3_ILS4_10ELS5_1201ELS6_5ELS7_0EEENS1_28merge_sort_block_sort_configILj256ELj4ELNS0_20block_sort_algorithmE0EEENS0_14default_configENS1_37merge_sort_block_sort_config_selectorIjN6thrust23THRUST_200600_302600_NS5tupleIffNSG_9null_typeESI_SI_SI_SI_SI_SI_SI_EEEENS1_38merge_sort_block_merge_config_selectorIjSJ_EEEEvv,"axG",@progbits,_ZN7rocprim17ROCPRIM_400000_NS6detail44device_merge_sort_compile_time_verifier_archINS1_11comp_targetILNS1_3genE10ELNS1_11target_archE1200ELNS1_3gpuE4ELNS1_3repE0EEENS3_ILS4_10ELS5_1201ELS6_5ELS7_0EEENS1_28merge_sort_block_sort_configILj256ELj4ELNS0_20block_sort_algorithmE0EEENS0_14default_configENS1_37merge_sort_block_sort_config_selectorIjN6thrust23THRUST_200600_302600_NS5tupleIffNSG_9null_typeESI_SI_SI_SI_SI_SI_SI_EEEENS1_38merge_sort_block_merge_config_selectorIjSJ_EEEEvv,comdat
.Lfunc_end22:
	.size	_ZN7rocprim17ROCPRIM_400000_NS6detail44device_merge_sort_compile_time_verifier_archINS1_11comp_targetILNS1_3genE10ELNS1_11target_archE1200ELNS1_3gpuE4ELNS1_3repE0EEENS3_ILS4_10ELS5_1201ELS6_5ELS7_0EEENS1_28merge_sort_block_sort_configILj256ELj4ELNS0_20block_sort_algorithmE0EEENS0_14default_configENS1_37merge_sort_block_sort_config_selectorIjN6thrust23THRUST_200600_302600_NS5tupleIffNSG_9null_typeESI_SI_SI_SI_SI_SI_SI_EEEENS1_38merge_sort_block_merge_config_selectorIjSJ_EEEEvv, .Lfunc_end22-_ZN7rocprim17ROCPRIM_400000_NS6detail44device_merge_sort_compile_time_verifier_archINS1_11comp_targetILNS1_3genE10ELNS1_11target_archE1200ELNS1_3gpuE4ELNS1_3repE0EEENS3_ILS4_10ELS5_1201ELS6_5ELS7_0EEENS1_28merge_sort_block_sort_configILj256ELj4ELNS0_20block_sort_algorithmE0EEENS0_14default_configENS1_37merge_sort_block_sort_config_selectorIjN6thrust23THRUST_200600_302600_NS5tupleIffNSG_9null_typeESI_SI_SI_SI_SI_SI_SI_EEEENS1_38merge_sort_block_merge_config_selectorIjSJ_EEEEvv
                                        ; -- End function
	.set _ZN7rocprim17ROCPRIM_400000_NS6detail44device_merge_sort_compile_time_verifier_archINS1_11comp_targetILNS1_3genE10ELNS1_11target_archE1200ELNS1_3gpuE4ELNS1_3repE0EEENS3_ILS4_10ELS5_1201ELS6_5ELS7_0EEENS1_28merge_sort_block_sort_configILj256ELj4ELNS0_20block_sort_algorithmE0EEENS0_14default_configENS1_37merge_sort_block_sort_config_selectorIjN6thrust23THRUST_200600_302600_NS5tupleIffNSG_9null_typeESI_SI_SI_SI_SI_SI_SI_EEEENS1_38merge_sort_block_merge_config_selectorIjSJ_EEEEvv.num_vgpr, 0
	.set _ZN7rocprim17ROCPRIM_400000_NS6detail44device_merge_sort_compile_time_verifier_archINS1_11comp_targetILNS1_3genE10ELNS1_11target_archE1200ELNS1_3gpuE4ELNS1_3repE0EEENS3_ILS4_10ELS5_1201ELS6_5ELS7_0EEENS1_28merge_sort_block_sort_configILj256ELj4ELNS0_20block_sort_algorithmE0EEENS0_14default_configENS1_37merge_sort_block_sort_config_selectorIjN6thrust23THRUST_200600_302600_NS5tupleIffNSG_9null_typeESI_SI_SI_SI_SI_SI_SI_EEEENS1_38merge_sort_block_merge_config_selectorIjSJ_EEEEvv.num_agpr, 0
	.set _ZN7rocprim17ROCPRIM_400000_NS6detail44device_merge_sort_compile_time_verifier_archINS1_11comp_targetILNS1_3genE10ELNS1_11target_archE1200ELNS1_3gpuE4ELNS1_3repE0EEENS3_ILS4_10ELS5_1201ELS6_5ELS7_0EEENS1_28merge_sort_block_sort_configILj256ELj4ELNS0_20block_sort_algorithmE0EEENS0_14default_configENS1_37merge_sort_block_sort_config_selectorIjN6thrust23THRUST_200600_302600_NS5tupleIffNSG_9null_typeESI_SI_SI_SI_SI_SI_SI_EEEENS1_38merge_sort_block_merge_config_selectorIjSJ_EEEEvv.numbered_sgpr, 0
	.set _ZN7rocprim17ROCPRIM_400000_NS6detail44device_merge_sort_compile_time_verifier_archINS1_11comp_targetILNS1_3genE10ELNS1_11target_archE1200ELNS1_3gpuE4ELNS1_3repE0EEENS3_ILS4_10ELS5_1201ELS6_5ELS7_0EEENS1_28merge_sort_block_sort_configILj256ELj4ELNS0_20block_sort_algorithmE0EEENS0_14default_configENS1_37merge_sort_block_sort_config_selectorIjN6thrust23THRUST_200600_302600_NS5tupleIffNSG_9null_typeESI_SI_SI_SI_SI_SI_SI_EEEENS1_38merge_sort_block_merge_config_selectorIjSJ_EEEEvv.num_named_barrier, 0
	.set _ZN7rocprim17ROCPRIM_400000_NS6detail44device_merge_sort_compile_time_verifier_archINS1_11comp_targetILNS1_3genE10ELNS1_11target_archE1200ELNS1_3gpuE4ELNS1_3repE0EEENS3_ILS4_10ELS5_1201ELS6_5ELS7_0EEENS1_28merge_sort_block_sort_configILj256ELj4ELNS0_20block_sort_algorithmE0EEENS0_14default_configENS1_37merge_sort_block_sort_config_selectorIjN6thrust23THRUST_200600_302600_NS5tupleIffNSG_9null_typeESI_SI_SI_SI_SI_SI_SI_EEEENS1_38merge_sort_block_merge_config_selectorIjSJ_EEEEvv.private_seg_size, 0
	.set _ZN7rocprim17ROCPRIM_400000_NS6detail44device_merge_sort_compile_time_verifier_archINS1_11comp_targetILNS1_3genE10ELNS1_11target_archE1200ELNS1_3gpuE4ELNS1_3repE0EEENS3_ILS4_10ELS5_1201ELS6_5ELS7_0EEENS1_28merge_sort_block_sort_configILj256ELj4ELNS0_20block_sort_algorithmE0EEENS0_14default_configENS1_37merge_sort_block_sort_config_selectorIjN6thrust23THRUST_200600_302600_NS5tupleIffNSG_9null_typeESI_SI_SI_SI_SI_SI_SI_EEEENS1_38merge_sort_block_merge_config_selectorIjSJ_EEEEvv.uses_vcc, 0
	.set _ZN7rocprim17ROCPRIM_400000_NS6detail44device_merge_sort_compile_time_verifier_archINS1_11comp_targetILNS1_3genE10ELNS1_11target_archE1200ELNS1_3gpuE4ELNS1_3repE0EEENS3_ILS4_10ELS5_1201ELS6_5ELS7_0EEENS1_28merge_sort_block_sort_configILj256ELj4ELNS0_20block_sort_algorithmE0EEENS0_14default_configENS1_37merge_sort_block_sort_config_selectorIjN6thrust23THRUST_200600_302600_NS5tupleIffNSG_9null_typeESI_SI_SI_SI_SI_SI_SI_EEEENS1_38merge_sort_block_merge_config_selectorIjSJ_EEEEvv.uses_flat_scratch, 0
	.set _ZN7rocprim17ROCPRIM_400000_NS6detail44device_merge_sort_compile_time_verifier_archINS1_11comp_targetILNS1_3genE10ELNS1_11target_archE1200ELNS1_3gpuE4ELNS1_3repE0EEENS3_ILS4_10ELS5_1201ELS6_5ELS7_0EEENS1_28merge_sort_block_sort_configILj256ELj4ELNS0_20block_sort_algorithmE0EEENS0_14default_configENS1_37merge_sort_block_sort_config_selectorIjN6thrust23THRUST_200600_302600_NS5tupleIffNSG_9null_typeESI_SI_SI_SI_SI_SI_SI_EEEENS1_38merge_sort_block_merge_config_selectorIjSJ_EEEEvv.has_dyn_sized_stack, 0
	.set _ZN7rocprim17ROCPRIM_400000_NS6detail44device_merge_sort_compile_time_verifier_archINS1_11comp_targetILNS1_3genE10ELNS1_11target_archE1200ELNS1_3gpuE4ELNS1_3repE0EEENS3_ILS4_10ELS5_1201ELS6_5ELS7_0EEENS1_28merge_sort_block_sort_configILj256ELj4ELNS0_20block_sort_algorithmE0EEENS0_14default_configENS1_37merge_sort_block_sort_config_selectorIjN6thrust23THRUST_200600_302600_NS5tupleIffNSG_9null_typeESI_SI_SI_SI_SI_SI_SI_EEEENS1_38merge_sort_block_merge_config_selectorIjSJ_EEEEvv.has_recursion, 0
	.set _ZN7rocprim17ROCPRIM_400000_NS6detail44device_merge_sort_compile_time_verifier_archINS1_11comp_targetILNS1_3genE10ELNS1_11target_archE1200ELNS1_3gpuE4ELNS1_3repE0EEENS3_ILS4_10ELS5_1201ELS6_5ELS7_0EEENS1_28merge_sort_block_sort_configILj256ELj4ELNS0_20block_sort_algorithmE0EEENS0_14default_configENS1_37merge_sort_block_sort_config_selectorIjN6thrust23THRUST_200600_302600_NS5tupleIffNSG_9null_typeESI_SI_SI_SI_SI_SI_SI_EEEENS1_38merge_sort_block_merge_config_selectorIjSJ_EEEEvv.has_indirect_call, 0
	.section	.AMDGPU.csdata,"",@progbits
; Kernel info:
; codeLenInByte = 4
; TotalNumSgprs: 0
; NumVgprs: 0
; ScratchSize: 0
; MemoryBound: 0
; FloatMode: 240
; IeeeMode: 1
; LDSByteSize: 0 bytes/workgroup (compile time only)
; SGPRBlocks: 0
; VGPRBlocks: 0
; NumSGPRsForWavesPerEU: 1
; NumVGPRsForWavesPerEU: 1
; Occupancy: 16
; WaveLimiterHint : 0
; COMPUTE_PGM_RSRC2:SCRATCH_EN: 0
; COMPUTE_PGM_RSRC2:USER_SGPR: 0
; COMPUTE_PGM_RSRC2:TRAP_HANDLER: 0
; COMPUTE_PGM_RSRC2:TGID_X_EN: 1
; COMPUTE_PGM_RSRC2:TGID_Y_EN: 0
; COMPUTE_PGM_RSRC2:TGID_Z_EN: 0
; COMPUTE_PGM_RSRC2:TIDIG_COMP_CNT: 0
	.section	.text._ZN7rocprim17ROCPRIM_400000_NS6detail44device_merge_sort_compile_time_verifier_archINS1_11comp_targetILNS1_3genE9ELNS1_11target_archE1100ELNS1_3gpuE3ELNS1_3repE0EEES8_NS1_28merge_sort_block_sort_configILj256ELj4ELNS0_20block_sort_algorithmE0EEENS0_14default_configENS1_37merge_sort_block_sort_config_selectorIjN6thrust23THRUST_200600_302600_NS5tupleIffNSF_9null_typeESH_SH_SH_SH_SH_SH_SH_EEEENS1_38merge_sort_block_merge_config_selectorIjSI_EEEEvv,"axG",@progbits,_ZN7rocprim17ROCPRIM_400000_NS6detail44device_merge_sort_compile_time_verifier_archINS1_11comp_targetILNS1_3genE9ELNS1_11target_archE1100ELNS1_3gpuE3ELNS1_3repE0EEES8_NS1_28merge_sort_block_sort_configILj256ELj4ELNS0_20block_sort_algorithmE0EEENS0_14default_configENS1_37merge_sort_block_sort_config_selectorIjN6thrust23THRUST_200600_302600_NS5tupleIffNSF_9null_typeESH_SH_SH_SH_SH_SH_SH_EEEENS1_38merge_sort_block_merge_config_selectorIjSI_EEEEvv,comdat
	.protected	_ZN7rocprim17ROCPRIM_400000_NS6detail44device_merge_sort_compile_time_verifier_archINS1_11comp_targetILNS1_3genE9ELNS1_11target_archE1100ELNS1_3gpuE3ELNS1_3repE0EEES8_NS1_28merge_sort_block_sort_configILj256ELj4ELNS0_20block_sort_algorithmE0EEENS0_14default_configENS1_37merge_sort_block_sort_config_selectorIjN6thrust23THRUST_200600_302600_NS5tupleIffNSF_9null_typeESH_SH_SH_SH_SH_SH_SH_EEEENS1_38merge_sort_block_merge_config_selectorIjSI_EEEEvv ; -- Begin function _ZN7rocprim17ROCPRIM_400000_NS6detail44device_merge_sort_compile_time_verifier_archINS1_11comp_targetILNS1_3genE9ELNS1_11target_archE1100ELNS1_3gpuE3ELNS1_3repE0EEES8_NS1_28merge_sort_block_sort_configILj256ELj4ELNS0_20block_sort_algorithmE0EEENS0_14default_configENS1_37merge_sort_block_sort_config_selectorIjN6thrust23THRUST_200600_302600_NS5tupleIffNSF_9null_typeESH_SH_SH_SH_SH_SH_SH_EEEENS1_38merge_sort_block_merge_config_selectorIjSI_EEEEvv
	.globl	_ZN7rocprim17ROCPRIM_400000_NS6detail44device_merge_sort_compile_time_verifier_archINS1_11comp_targetILNS1_3genE9ELNS1_11target_archE1100ELNS1_3gpuE3ELNS1_3repE0EEES8_NS1_28merge_sort_block_sort_configILj256ELj4ELNS0_20block_sort_algorithmE0EEENS0_14default_configENS1_37merge_sort_block_sort_config_selectorIjN6thrust23THRUST_200600_302600_NS5tupleIffNSF_9null_typeESH_SH_SH_SH_SH_SH_SH_EEEENS1_38merge_sort_block_merge_config_selectorIjSI_EEEEvv
	.p2align	8
	.type	_ZN7rocprim17ROCPRIM_400000_NS6detail44device_merge_sort_compile_time_verifier_archINS1_11comp_targetILNS1_3genE9ELNS1_11target_archE1100ELNS1_3gpuE3ELNS1_3repE0EEES8_NS1_28merge_sort_block_sort_configILj256ELj4ELNS0_20block_sort_algorithmE0EEENS0_14default_configENS1_37merge_sort_block_sort_config_selectorIjN6thrust23THRUST_200600_302600_NS5tupleIffNSF_9null_typeESH_SH_SH_SH_SH_SH_SH_EEEENS1_38merge_sort_block_merge_config_selectorIjSI_EEEEvv,@function
_ZN7rocprim17ROCPRIM_400000_NS6detail44device_merge_sort_compile_time_verifier_archINS1_11comp_targetILNS1_3genE9ELNS1_11target_archE1100ELNS1_3gpuE3ELNS1_3repE0EEES8_NS1_28merge_sort_block_sort_configILj256ELj4ELNS0_20block_sort_algorithmE0EEENS0_14default_configENS1_37merge_sort_block_sort_config_selectorIjN6thrust23THRUST_200600_302600_NS5tupleIffNSF_9null_typeESH_SH_SH_SH_SH_SH_SH_EEEENS1_38merge_sort_block_merge_config_selectorIjSI_EEEEvv: ; @_ZN7rocprim17ROCPRIM_400000_NS6detail44device_merge_sort_compile_time_verifier_archINS1_11comp_targetILNS1_3genE9ELNS1_11target_archE1100ELNS1_3gpuE3ELNS1_3repE0EEES8_NS1_28merge_sort_block_sort_configILj256ELj4ELNS0_20block_sort_algorithmE0EEENS0_14default_configENS1_37merge_sort_block_sort_config_selectorIjN6thrust23THRUST_200600_302600_NS5tupleIffNSF_9null_typeESH_SH_SH_SH_SH_SH_SH_EEEENS1_38merge_sort_block_merge_config_selectorIjSI_EEEEvv
; %bb.0:
	s_endpgm
	.section	.rodata,"a",@progbits
	.p2align	6, 0x0
	.amdhsa_kernel _ZN7rocprim17ROCPRIM_400000_NS6detail44device_merge_sort_compile_time_verifier_archINS1_11comp_targetILNS1_3genE9ELNS1_11target_archE1100ELNS1_3gpuE3ELNS1_3repE0EEES8_NS1_28merge_sort_block_sort_configILj256ELj4ELNS0_20block_sort_algorithmE0EEENS0_14default_configENS1_37merge_sort_block_sort_config_selectorIjN6thrust23THRUST_200600_302600_NS5tupleIffNSF_9null_typeESH_SH_SH_SH_SH_SH_SH_EEEENS1_38merge_sort_block_merge_config_selectorIjSI_EEEEvv
		.amdhsa_group_segment_fixed_size 0
		.amdhsa_private_segment_fixed_size 0
		.amdhsa_kernarg_size 0
		.amdhsa_user_sgpr_count 0
		.amdhsa_user_sgpr_dispatch_ptr 0
		.amdhsa_user_sgpr_queue_ptr 0
		.amdhsa_user_sgpr_kernarg_segment_ptr 0
		.amdhsa_user_sgpr_dispatch_id 0
		.amdhsa_user_sgpr_private_segment_size 0
		.amdhsa_wavefront_size32 1
		.amdhsa_uses_dynamic_stack 0
		.amdhsa_enable_private_segment 0
		.amdhsa_system_sgpr_workgroup_id_x 1
		.amdhsa_system_sgpr_workgroup_id_y 0
		.amdhsa_system_sgpr_workgroup_id_z 0
		.amdhsa_system_sgpr_workgroup_info 0
		.amdhsa_system_vgpr_workitem_id 0
		.amdhsa_next_free_vgpr 1
		.amdhsa_next_free_sgpr 1
		.amdhsa_reserve_vcc 0
		.amdhsa_float_round_mode_32 0
		.amdhsa_float_round_mode_16_64 0
		.amdhsa_float_denorm_mode_32 3
		.amdhsa_float_denorm_mode_16_64 3
		.amdhsa_fp16_overflow 0
		.amdhsa_workgroup_processor_mode 1
		.amdhsa_memory_ordered 1
		.amdhsa_forward_progress 1
		.amdhsa_inst_pref_size 1
		.amdhsa_round_robin_scheduling 0
		.amdhsa_exception_fp_ieee_invalid_op 0
		.amdhsa_exception_fp_denorm_src 0
		.amdhsa_exception_fp_ieee_div_zero 0
		.amdhsa_exception_fp_ieee_overflow 0
		.amdhsa_exception_fp_ieee_underflow 0
		.amdhsa_exception_fp_ieee_inexact 0
		.amdhsa_exception_int_div_zero 0
	.end_amdhsa_kernel
	.section	.text._ZN7rocprim17ROCPRIM_400000_NS6detail44device_merge_sort_compile_time_verifier_archINS1_11comp_targetILNS1_3genE9ELNS1_11target_archE1100ELNS1_3gpuE3ELNS1_3repE0EEES8_NS1_28merge_sort_block_sort_configILj256ELj4ELNS0_20block_sort_algorithmE0EEENS0_14default_configENS1_37merge_sort_block_sort_config_selectorIjN6thrust23THRUST_200600_302600_NS5tupleIffNSF_9null_typeESH_SH_SH_SH_SH_SH_SH_EEEENS1_38merge_sort_block_merge_config_selectorIjSI_EEEEvv,"axG",@progbits,_ZN7rocprim17ROCPRIM_400000_NS6detail44device_merge_sort_compile_time_verifier_archINS1_11comp_targetILNS1_3genE9ELNS1_11target_archE1100ELNS1_3gpuE3ELNS1_3repE0EEES8_NS1_28merge_sort_block_sort_configILj256ELj4ELNS0_20block_sort_algorithmE0EEENS0_14default_configENS1_37merge_sort_block_sort_config_selectorIjN6thrust23THRUST_200600_302600_NS5tupleIffNSF_9null_typeESH_SH_SH_SH_SH_SH_SH_EEEENS1_38merge_sort_block_merge_config_selectorIjSI_EEEEvv,comdat
.Lfunc_end23:
	.size	_ZN7rocprim17ROCPRIM_400000_NS6detail44device_merge_sort_compile_time_verifier_archINS1_11comp_targetILNS1_3genE9ELNS1_11target_archE1100ELNS1_3gpuE3ELNS1_3repE0EEES8_NS1_28merge_sort_block_sort_configILj256ELj4ELNS0_20block_sort_algorithmE0EEENS0_14default_configENS1_37merge_sort_block_sort_config_selectorIjN6thrust23THRUST_200600_302600_NS5tupleIffNSF_9null_typeESH_SH_SH_SH_SH_SH_SH_EEEENS1_38merge_sort_block_merge_config_selectorIjSI_EEEEvv, .Lfunc_end23-_ZN7rocprim17ROCPRIM_400000_NS6detail44device_merge_sort_compile_time_verifier_archINS1_11comp_targetILNS1_3genE9ELNS1_11target_archE1100ELNS1_3gpuE3ELNS1_3repE0EEES8_NS1_28merge_sort_block_sort_configILj256ELj4ELNS0_20block_sort_algorithmE0EEENS0_14default_configENS1_37merge_sort_block_sort_config_selectorIjN6thrust23THRUST_200600_302600_NS5tupleIffNSF_9null_typeESH_SH_SH_SH_SH_SH_SH_EEEENS1_38merge_sort_block_merge_config_selectorIjSI_EEEEvv
                                        ; -- End function
	.set _ZN7rocprim17ROCPRIM_400000_NS6detail44device_merge_sort_compile_time_verifier_archINS1_11comp_targetILNS1_3genE9ELNS1_11target_archE1100ELNS1_3gpuE3ELNS1_3repE0EEES8_NS1_28merge_sort_block_sort_configILj256ELj4ELNS0_20block_sort_algorithmE0EEENS0_14default_configENS1_37merge_sort_block_sort_config_selectorIjN6thrust23THRUST_200600_302600_NS5tupleIffNSF_9null_typeESH_SH_SH_SH_SH_SH_SH_EEEENS1_38merge_sort_block_merge_config_selectorIjSI_EEEEvv.num_vgpr, 0
	.set _ZN7rocprim17ROCPRIM_400000_NS6detail44device_merge_sort_compile_time_verifier_archINS1_11comp_targetILNS1_3genE9ELNS1_11target_archE1100ELNS1_3gpuE3ELNS1_3repE0EEES8_NS1_28merge_sort_block_sort_configILj256ELj4ELNS0_20block_sort_algorithmE0EEENS0_14default_configENS1_37merge_sort_block_sort_config_selectorIjN6thrust23THRUST_200600_302600_NS5tupleIffNSF_9null_typeESH_SH_SH_SH_SH_SH_SH_EEEENS1_38merge_sort_block_merge_config_selectorIjSI_EEEEvv.num_agpr, 0
	.set _ZN7rocprim17ROCPRIM_400000_NS6detail44device_merge_sort_compile_time_verifier_archINS1_11comp_targetILNS1_3genE9ELNS1_11target_archE1100ELNS1_3gpuE3ELNS1_3repE0EEES8_NS1_28merge_sort_block_sort_configILj256ELj4ELNS0_20block_sort_algorithmE0EEENS0_14default_configENS1_37merge_sort_block_sort_config_selectorIjN6thrust23THRUST_200600_302600_NS5tupleIffNSF_9null_typeESH_SH_SH_SH_SH_SH_SH_EEEENS1_38merge_sort_block_merge_config_selectorIjSI_EEEEvv.numbered_sgpr, 0
	.set _ZN7rocprim17ROCPRIM_400000_NS6detail44device_merge_sort_compile_time_verifier_archINS1_11comp_targetILNS1_3genE9ELNS1_11target_archE1100ELNS1_3gpuE3ELNS1_3repE0EEES8_NS1_28merge_sort_block_sort_configILj256ELj4ELNS0_20block_sort_algorithmE0EEENS0_14default_configENS1_37merge_sort_block_sort_config_selectorIjN6thrust23THRUST_200600_302600_NS5tupleIffNSF_9null_typeESH_SH_SH_SH_SH_SH_SH_EEEENS1_38merge_sort_block_merge_config_selectorIjSI_EEEEvv.num_named_barrier, 0
	.set _ZN7rocprim17ROCPRIM_400000_NS6detail44device_merge_sort_compile_time_verifier_archINS1_11comp_targetILNS1_3genE9ELNS1_11target_archE1100ELNS1_3gpuE3ELNS1_3repE0EEES8_NS1_28merge_sort_block_sort_configILj256ELj4ELNS0_20block_sort_algorithmE0EEENS0_14default_configENS1_37merge_sort_block_sort_config_selectorIjN6thrust23THRUST_200600_302600_NS5tupleIffNSF_9null_typeESH_SH_SH_SH_SH_SH_SH_EEEENS1_38merge_sort_block_merge_config_selectorIjSI_EEEEvv.private_seg_size, 0
	.set _ZN7rocprim17ROCPRIM_400000_NS6detail44device_merge_sort_compile_time_verifier_archINS1_11comp_targetILNS1_3genE9ELNS1_11target_archE1100ELNS1_3gpuE3ELNS1_3repE0EEES8_NS1_28merge_sort_block_sort_configILj256ELj4ELNS0_20block_sort_algorithmE0EEENS0_14default_configENS1_37merge_sort_block_sort_config_selectorIjN6thrust23THRUST_200600_302600_NS5tupleIffNSF_9null_typeESH_SH_SH_SH_SH_SH_SH_EEEENS1_38merge_sort_block_merge_config_selectorIjSI_EEEEvv.uses_vcc, 0
	.set _ZN7rocprim17ROCPRIM_400000_NS6detail44device_merge_sort_compile_time_verifier_archINS1_11comp_targetILNS1_3genE9ELNS1_11target_archE1100ELNS1_3gpuE3ELNS1_3repE0EEES8_NS1_28merge_sort_block_sort_configILj256ELj4ELNS0_20block_sort_algorithmE0EEENS0_14default_configENS1_37merge_sort_block_sort_config_selectorIjN6thrust23THRUST_200600_302600_NS5tupleIffNSF_9null_typeESH_SH_SH_SH_SH_SH_SH_EEEENS1_38merge_sort_block_merge_config_selectorIjSI_EEEEvv.uses_flat_scratch, 0
	.set _ZN7rocprim17ROCPRIM_400000_NS6detail44device_merge_sort_compile_time_verifier_archINS1_11comp_targetILNS1_3genE9ELNS1_11target_archE1100ELNS1_3gpuE3ELNS1_3repE0EEES8_NS1_28merge_sort_block_sort_configILj256ELj4ELNS0_20block_sort_algorithmE0EEENS0_14default_configENS1_37merge_sort_block_sort_config_selectorIjN6thrust23THRUST_200600_302600_NS5tupleIffNSF_9null_typeESH_SH_SH_SH_SH_SH_SH_EEEENS1_38merge_sort_block_merge_config_selectorIjSI_EEEEvv.has_dyn_sized_stack, 0
	.set _ZN7rocprim17ROCPRIM_400000_NS6detail44device_merge_sort_compile_time_verifier_archINS1_11comp_targetILNS1_3genE9ELNS1_11target_archE1100ELNS1_3gpuE3ELNS1_3repE0EEES8_NS1_28merge_sort_block_sort_configILj256ELj4ELNS0_20block_sort_algorithmE0EEENS0_14default_configENS1_37merge_sort_block_sort_config_selectorIjN6thrust23THRUST_200600_302600_NS5tupleIffNSF_9null_typeESH_SH_SH_SH_SH_SH_SH_EEEENS1_38merge_sort_block_merge_config_selectorIjSI_EEEEvv.has_recursion, 0
	.set _ZN7rocprim17ROCPRIM_400000_NS6detail44device_merge_sort_compile_time_verifier_archINS1_11comp_targetILNS1_3genE9ELNS1_11target_archE1100ELNS1_3gpuE3ELNS1_3repE0EEES8_NS1_28merge_sort_block_sort_configILj256ELj4ELNS0_20block_sort_algorithmE0EEENS0_14default_configENS1_37merge_sort_block_sort_config_selectorIjN6thrust23THRUST_200600_302600_NS5tupleIffNSF_9null_typeESH_SH_SH_SH_SH_SH_SH_EEEENS1_38merge_sort_block_merge_config_selectorIjSI_EEEEvv.has_indirect_call, 0
	.section	.AMDGPU.csdata,"",@progbits
; Kernel info:
; codeLenInByte = 4
; TotalNumSgprs: 0
; NumVgprs: 0
; ScratchSize: 0
; MemoryBound: 0
; FloatMode: 240
; IeeeMode: 1
; LDSByteSize: 0 bytes/workgroup (compile time only)
; SGPRBlocks: 0
; VGPRBlocks: 0
; NumSGPRsForWavesPerEU: 1
; NumVGPRsForWavesPerEU: 1
; Occupancy: 16
; WaveLimiterHint : 0
; COMPUTE_PGM_RSRC2:SCRATCH_EN: 0
; COMPUTE_PGM_RSRC2:USER_SGPR: 0
; COMPUTE_PGM_RSRC2:TRAP_HANDLER: 0
; COMPUTE_PGM_RSRC2:TGID_X_EN: 1
; COMPUTE_PGM_RSRC2:TGID_Y_EN: 0
; COMPUTE_PGM_RSRC2:TGID_Z_EN: 0
; COMPUTE_PGM_RSRC2:TIDIG_COMP_CNT: 0
	.section	.text._ZN7rocprim17ROCPRIM_400000_NS6detail44device_merge_sort_compile_time_verifier_archINS1_11comp_targetILNS1_3genE8ELNS1_11target_archE1030ELNS1_3gpuE2ELNS1_3repE0EEES8_NS1_28merge_sort_block_sort_configILj256ELj4ELNS0_20block_sort_algorithmE0EEENS0_14default_configENS1_37merge_sort_block_sort_config_selectorIjN6thrust23THRUST_200600_302600_NS5tupleIffNSF_9null_typeESH_SH_SH_SH_SH_SH_SH_EEEENS1_38merge_sort_block_merge_config_selectorIjSI_EEEEvv,"axG",@progbits,_ZN7rocprim17ROCPRIM_400000_NS6detail44device_merge_sort_compile_time_verifier_archINS1_11comp_targetILNS1_3genE8ELNS1_11target_archE1030ELNS1_3gpuE2ELNS1_3repE0EEES8_NS1_28merge_sort_block_sort_configILj256ELj4ELNS0_20block_sort_algorithmE0EEENS0_14default_configENS1_37merge_sort_block_sort_config_selectorIjN6thrust23THRUST_200600_302600_NS5tupleIffNSF_9null_typeESH_SH_SH_SH_SH_SH_SH_EEEENS1_38merge_sort_block_merge_config_selectorIjSI_EEEEvv,comdat
	.protected	_ZN7rocprim17ROCPRIM_400000_NS6detail44device_merge_sort_compile_time_verifier_archINS1_11comp_targetILNS1_3genE8ELNS1_11target_archE1030ELNS1_3gpuE2ELNS1_3repE0EEES8_NS1_28merge_sort_block_sort_configILj256ELj4ELNS0_20block_sort_algorithmE0EEENS0_14default_configENS1_37merge_sort_block_sort_config_selectorIjN6thrust23THRUST_200600_302600_NS5tupleIffNSF_9null_typeESH_SH_SH_SH_SH_SH_SH_EEEENS1_38merge_sort_block_merge_config_selectorIjSI_EEEEvv ; -- Begin function _ZN7rocprim17ROCPRIM_400000_NS6detail44device_merge_sort_compile_time_verifier_archINS1_11comp_targetILNS1_3genE8ELNS1_11target_archE1030ELNS1_3gpuE2ELNS1_3repE0EEES8_NS1_28merge_sort_block_sort_configILj256ELj4ELNS0_20block_sort_algorithmE0EEENS0_14default_configENS1_37merge_sort_block_sort_config_selectorIjN6thrust23THRUST_200600_302600_NS5tupleIffNSF_9null_typeESH_SH_SH_SH_SH_SH_SH_EEEENS1_38merge_sort_block_merge_config_selectorIjSI_EEEEvv
	.globl	_ZN7rocprim17ROCPRIM_400000_NS6detail44device_merge_sort_compile_time_verifier_archINS1_11comp_targetILNS1_3genE8ELNS1_11target_archE1030ELNS1_3gpuE2ELNS1_3repE0EEES8_NS1_28merge_sort_block_sort_configILj256ELj4ELNS0_20block_sort_algorithmE0EEENS0_14default_configENS1_37merge_sort_block_sort_config_selectorIjN6thrust23THRUST_200600_302600_NS5tupleIffNSF_9null_typeESH_SH_SH_SH_SH_SH_SH_EEEENS1_38merge_sort_block_merge_config_selectorIjSI_EEEEvv
	.p2align	8
	.type	_ZN7rocprim17ROCPRIM_400000_NS6detail44device_merge_sort_compile_time_verifier_archINS1_11comp_targetILNS1_3genE8ELNS1_11target_archE1030ELNS1_3gpuE2ELNS1_3repE0EEES8_NS1_28merge_sort_block_sort_configILj256ELj4ELNS0_20block_sort_algorithmE0EEENS0_14default_configENS1_37merge_sort_block_sort_config_selectorIjN6thrust23THRUST_200600_302600_NS5tupleIffNSF_9null_typeESH_SH_SH_SH_SH_SH_SH_EEEENS1_38merge_sort_block_merge_config_selectorIjSI_EEEEvv,@function
_ZN7rocprim17ROCPRIM_400000_NS6detail44device_merge_sort_compile_time_verifier_archINS1_11comp_targetILNS1_3genE8ELNS1_11target_archE1030ELNS1_3gpuE2ELNS1_3repE0EEES8_NS1_28merge_sort_block_sort_configILj256ELj4ELNS0_20block_sort_algorithmE0EEENS0_14default_configENS1_37merge_sort_block_sort_config_selectorIjN6thrust23THRUST_200600_302600_NS5tupleIffNSF_9null_typeESH_SH_SH_SH_SH_SH_SH_EEEENS1_38merge_sort_block_merge_config_selectorIjSI_EEEEvv: ; @_ZN7rocprim17ROCPRIM_400000_NS6detail44device_merge_sort_compile_time_verifier_archINS1_11comp_targetILNS1_3genE8ELNS1_11target_archE1030ELNS1_3gpuE2ELNS1_3repE0EEES8_NS1_28merge_sort_block_sort_configILj256ELj4ELNS0_20block_sort_algorithmE0EEENS0_14default_configENS1_37merge_sort_block_sort_config_selectorIjN6thrust23THRUST_200600_302600_NS5tupleIffNSF_9null_typeESH_SH_SH_SH_SH_SH_SH_EEEENS1_38merge_sort_block_merge_config_selectorIjSI_EEEEvv
; %bb.0:
	s_endpgm
	.section	.rodata,"a",@progbits
	.p2align	6, 0x0
	.amdhsa_kernel _ZN7rocprim17ROCPRIM_400000_NS6detail44device_merge_sort_compile_time_verifier_archINS1_11comp_targetILNS1_3genE8ELNS1_11target_archE1030ELNS1_3gpuE2ELNS1_3repE0EEES8_NS1_28merge_sort_block_sort_configILj256ELj4ELNS0_20block_sort_algorithmE0EEENS0_14default_configENS1_37merge_sort_block_sort_config_selectorIjN6thrust23THRUST_200600_302600_NS5tupleIffNSF_9null_typeESH_SH_SH_SH_SH_SH_SH_EEEENS1_38merge_sort_block_merge_config_selectorIjSI_EEEEvv
		.amdhsa_group_segment_fixed_size 0
		.amdhsa_private_segment_fixed_size 0
		.amdhsa_kernarg_size 0
		.amdhsa_user_sgpr_count 0
		.amdhsa_user_sgpr_dispatch_ptr 0
		.amdhsa_user_sgpr_queue_ptr 0
		.amdhsa_user_sgpr_kernarg_segment_ptr 0
		.amdhsa_user_sgpr_dispatch_id 0
		.amdhsa_user_sgpr_private_segment_size 0
		.amdhsa_wavefront_size32 1
		.amdhsa_uses_dynamic_stack 0
		.amdhsa_enable_private_segment 0
		.amdhsa_system_sgpr_workgroup_id_x 1
		.amdhsa_system_sgpr_workgroup_id_y 0
		.amdhsa_system_sgpr_workgroup_id_z 0
		.amdhsa_system_sgpr_workgroup_info 0
		.amdhsa_system_vgpr_workitem_id 0
		.amdhsa_next_free_vgpr 1
		.amdhsa_next_free_sgpr 1
		.amdhsa_reserve_vcc 0
		.amdhsa_float_round_mode_32 0
		.amdhsa_float_round_mode_16_64 0
		.amdhsa_float_denorm_mode_32 3
		.amdhsa_float_denorm_mode_16_64 3
		.amdhsa_fp16_overflow 0
		.amdhsa_workgroup_processor_mode 1
		.amdhsa_memory_ordered 1
		.amdhsa_forward_progress 1
		.amdhsa_inst_pref_size 1
		.amdhsa_round_robin_scheduling 0
		.amdhsa_exception_fp_ieee_invalid_op 0
		.amdhsa_exception_fp_denorm_src 0
		.amdhsa_exception_fp_ieee_div_zero 0
		.amdhsa_exception_fp_ieee_overflow 0
		.amdhsa_exception_fp_ieee_underflow 0
		.amdhsa_exception_fp_ieee_inexact 0
		.amdhsa_exception_int_div_zero 0
	.end_amdhsa_kernel
	.section	.text._ZN7rocprim17ROCPRIM_400000_NS6detail44device_merge_sort_compile_time_verifier_archINS1_11comp_targetILNS1_3genE8ELNS1_11target_archE1030ELNS1_3gpuE2ELNS1_3repE0EEES8_NS1_28merge_sort_block_sort_configILj256ELj4ELNS0_20block_sort_algorithmE0EEENS0_14default_configENS1_37merge_sort_block_sort_config_selectorIjN6thrust23THRUST_200600_302600_NS5tupleIffNSF_9null_typeESH_SH_SH_SH_SH_SH_SH_EEEENS1_38merge_sort_block_merge_config_selectorIjSI_EEEEvv,"axG",@progbits,_ZN7rocprim17ROCPRIM_400000_NS6detail44device_merge_sort_compile_time_verifier_archINS1_11comp_targetILNS1_3genE8ELNS1_11target_archE1030ELNS1_3gpuE2ELNS1_3repE0EEES8_NS1_28merge_sort_block_sort_configILj256ELj4ELNS0_20block_sort_algorithmE0EEENS0_14default_configENS1_37merge_sort_block_sort_config_selectorIjN6thrust23THRUST_200600_302600_NS5tupleIffNSF_9null_typeESH_SH_SH_SH_SH_SH_SH_EEEENS1_38merge_sort_block_merge_config_selectorIjSI_EEEEvv,comdat
.Lfunc_end24:
	.size	_ZN7rocprim17ROCPRIM_400000_NS6detail44device_merge_sort_compile_time_verifier_archINS1_11comp_targetILNS1_3genE8ELNS1_11target_archE1030ELNS1_3gpuE2ELNS1_3repE0EEES8_NS1_28merge_sort_block_sort_configILj256ELj4ELNS0_20block_sort_algorithmE0EEENS0_14default_configENS1_37merge_sort_block_sort_config_selectorIjN6thrust23THRUST_200600_302600_NS5tupleIffNSF_9null_typeESH_SH_SH_SH_SH_SH_SH_EEEENS1_38merge_sort_block_merge_config_selectorIjSI_EEEEvv, .Lfunc_end24-_ZN7rocprim17ROCPRIM_400000_NS6detail44device_merge_sort_compile_time_verifier_archINS1_11comp_targetILNS1_3genE8ELNS1_11target_archE1030ELNS1_3gpuE2ELNS1_3repE0EEES8_NS1_28merge_sort_block_sort_configILj256ELj4ELNS0_20block_sort_algorithmE0EEENS0_14default_configENS1_37merge_sort_block_sort_config_selectorIjN6thrust23THRUST_200600_302600_NS5tupleIffNSF_9null_typeESH_SH_SH_SH_SH_SH_SH_EEEENS1_38merge_sort_block_merge_config_selectorIjSI_EEEEvv
                                        ; -- End function
	.set _ZN7rocprim17ROCPRIM_400000_NS6detail44device_merge_sort_compile_time_verifier_archINS1_11comp_targetILNS1_3genE8ELNS1_11target_archE1030ELNS1_3gpuE2ELNS1_3repE0EEES8_NS1_28merge_sort_block_sort_configILj256ELj4ELNS0_20block_sort_algorithmE0EEENS0_14default_configENS1_37merge_sort_block_sort_config_selectorIjN6thrust23THRUST_200600_302600_NS5tupleIffNSF_9null_typeESH_SH_SH_SH_SH_SH_SH_EEEENS1_38merge_sort_block_merge_config_selectorIjSI_EEEEvv.num_vgpr, 0
	.set _ZN7rocprim17ROCPRIM_400000_NS6detail44device_merge_sort_compile_time_verifier_archINS1_11comp_targetILNS1_3genE8ELNS1_11target_archE1030ELNS1_3gpuE2ELNS1_3repE0EEES8_NS1_28merge_sort_block_sort_configILj256ELj4ELNS0_20block_sort_algorithmE0EEENS0_14default_configENS1_37merge_sort_block_sort_config_selectorIjN6thrust23THRUST_200600_302600_NS5tupleIffNSF_9null_typeESH_SH_SH_SH_SH_SH_SH_EEEENS1_38merge_sort_block_merge_config_selectorIjSI_EEEEvv.num_agpr, 0
	.set _ZN7rocprim17ROCPRIM_400000_NS6detail44device_merge_sort_compile_time_verifier_archINS1_11comp_targetILNS1_3genE8ELNS1_11target_archE1030ELNS1_3gpuE2ELNS1_3repE0EEES8_NS1_28merge_sort_block_sort_configILj256ELj4ELNS0_20block_sort_algorithmE0EEENS0_14default_configENS1_37merge_sort_block_sort_config_selectorIjN6thrust23THRUST_200600_302600_NS5tupleIffNSF_9null_typeESH_SH_SH_SH_SH_SH_SH_EEEENS1_38merge_sort_block_merge_config_selectorIjSI_EEEEvv.numbered_sgpr, 0
	.set _ZN7rocprim17ROCPRIM_400000_NS6detail44device_merge_sort_compile_time_verifier_archINS1_11comp_targetILNS1_3genE8ELNS1_11target_archE1030ELNS1_3gpuE2ELNS1_3repE0EEES8_NS1_28merge_sort_block_sort_configILj256ELj4ELNS0_20block_sort_algorithmE0EEENS0_14default_configENS1_37merge_sort_block_sort_config_selectorIjN6thrust23THRUST_200600_302600_NS5tupleIffNSF_9null_typeESH_SH_SH_SH_SH_SH_SH_EEEENS1_38merge_sort_block_merge_config_selectorIjSI_EEEEvv.num_named_barrier, 0
	.set _ZN7rocprim17ROCPRIM_400000_NS6detail44device_merge_sort_compile_time_verifier_archINS1_11comp_targetILNS1_3genE8ELNS1_11target_archE1030ELNS1_3gpuE2ELNS1_3repE0EEES8_NS1_28merge_sort_block_sort_configILj256ELj4ELNS0_20block_sort_algorithmE0EEENS0_14default_configENS1_37merge_sort_block_sort_config_selectorIjN6thrust23THRUST_200600_302600_NS5tupleIffNSF_9null_typeESH_SH_SH_SH_SH_SH_SH_EEEENS1_38merge_sort_block_merge_config_selectorIjSI_EEEEvv.private_seg_size, 0
	.set _ZN7rocprim17ROCPRIM_400000_NS6detail44device_merge_sort_compile_time_verifier_archINS1_11comp_targetILNS1_3genE8ELNS1_11target_archE1030ELNS1_3gpuE2ELNS1_3repE0EEES8_NS1_28merge_sort_block_sort_configILj256ELj4ELNS0_20block_sort_algorithmE0EEENS0_14default_configENS1_37merge_sort_block_sort_config_selectorIjN6thrust23THRUST_200600_302600_NS5tupleIffNSF_9null_typeESH_SH_SH_SH_SH_SH_SH_EEEENS1_38merge_sort_block_merge_config_selectorIjSI_EEEEvv.uses_vcc, 0
	.set _ZN7rocprim17ROCPRIM_400000_NS6detail44device_merge_sort_compile_time_verifier_archINS1_11comp_targetILNS1_3genE8ELNS1_11target_archE1030ELNS1_3gpuE2ELNS1_3repE0EEES8_NS1_28merge_sort_block_sort_configILj256ELj4ELNS0_20block_sort_algorithmE0EEENS0_14default_configENS1_37merge_sort_block_sort_config_selectorIjN6thrust23THRUST_200600_302600_NS5tupleIffNSF_9null_typeESH_SH_SH_SH_SH_SH_SH_EEEENS1_38merge_sort_block_merge_config_selectorIjSI_EEEEvv.uses_flat_scratch, 0
	.set _ZN7rocprim17ROCPRIM_400000_NS6detail44device_merge_sort_compile_time_verifier_archINS1_11comp_targetILNS1_3genE8ELNS1_11target_archE1030ELNS1_3gpuE2ELNS1_3repE0EEES8_NS1_28merge_sort_block_sort_configILj256ELj4ELNS0_20block_sort_algorithmE0EEENS0_14default_configENS1_37merge_sort_block_sort_config_selectorIjN6thrust23THRUST_200600_302600_NS5tupleIffNSF_9null_typeESH_SH_SH_SH_SH_SH_SH_EEEENS1_38merge_sort_block_merge_config_selectorIjSI_EEEEvv.has_dyn_sized_stack, 0
	.set _ZN7rocprim17ROCPRIM_400000_NS6detail44device_merge_sort_compile_time_verifier_archINS1_11comp_targetILNS1_3genE8ELNS1_11target_archE1030ELNS1_3gpuE2ELNS1_3repE0EEES8_NS1_28merge_sort_block_sort_configILj256ELj4ELNS0_20block_sort_algorithmE0EEENS0_14default_configENS1_37merge_sort_block_sort_config_selectorIjN6thrust23THRUST_200600_302600_NS5tupleIffNSF_9null_typeESH_SH_SH_SH_SH_SH_SH_EEEENS1_38merge_sort_block_merge_config_selectorIjSI_EEEEvv.has_recursion, 0
	.set _ZN7rocprim17ROCPRIM_400000_NS6detail44device_merge_sort_compile_time_verifier_archINS1_11comp_targetILNS1_3genE8ELNS1_11target_archE1030ELNS1_3gpuE2ELNS1_3repE0EEES8_NS1_28merge_sort_block_sort_configILj256ELj4ELNS0_20block_sort_algorithmE0EEENS0_14default_configENS1_37merge_sort_block_sort_config_selectorIjN6thrust23THRUST_200600_302600_NS5tupleIffNSF_9null_typeESH_SH_SH_SH_SH_SH_SH_EEEENS1_38merge_sort_block_merge_config_selectorIjSI_EEEEvv.has_indirect_call, 0
	.section	.AMDGPU.csdata,"",@progbits
; Kernel info:
; codeLenInByte = 4
; TotalNumSgprs: 0
; NumVgprs: 0
; ScratchSize: 0
; MemoryBound: 0
; FloatMode: 240
; IeeeMode: 1
; LDSByteSize: 0 bytes/workgroup (compile time only)
; SGPRBlocks: 0
; VGPRBlocks: 0
; NumSGPRsForWavesPerEU: 1
; NumVGPRsForWavesPerEU: 1
; Occupancy: 16
; WaveLimiterHint : 0
; COMPUTE_PGM_RSRC2:SCRATCH_EN: 0
; COMPUTE_PGM_RSRC2:USER_SGPR: 0
; COMPUTE_PGM_RSRC2:TRAP_HANDLER: 0
; COMPUTE_PGM_RSRC2:TGID_X_EN: 1
; COMPUTE_PGM_RSRC2:TGID_Y_EN: 0
; COMPUTE_PGM_RSRC2:TGID_Z_EN: 0
; COMPUTE_PGM_RSRC2:TIDIG_COMP_CNT: 0
	.section	.text._ZN7rocprim17ROCPRIM_400000_NS6detail17trampoline_kernelINS0_14default_configENS1_38merge_sort_block_merge_config_selectorIjN6thrust23THRUST_200600_302600_NS5tupleIffNS6_9null_typeES8_S8_S8_S8_S8_S8_S8_EEEEZZNS1_27merge_sort_block_merge_implIS3_NS6_6detail15normal_iteratorINS6_10device_ptrIjEEEENSD_INSE_IS9_EEEEjNS1_19radix_merge_compareILb0ELb0EjNS0_19identity_decomposerEEEEE10hipError_tT0_T1_T2_jT3_P12ihipStream_tbPNSt15iterator_traitsISN_E10value_typeEPNST_ISO_E10value_typeEPSP_NS1_7vsmem_tEENKUlT_SN_SO_SP_E_clIPjSG_PS9_SI_EESM_S12_SN_SO_SP_EUlS12_E_NS1_11comp_targetILNS1_3genE0ELNS1_11target_archE4294967295ELNS1_3gpuE0ELNS1_3repE0EEENS1_48merge_mergepath_partition_config_static_selectorELNS0_4arch9wavefront6targetE0EEEvSO_,"axG",@progbits,_ZN7rocprim17ROCPRIM_400000_NS6detail17trampoline_kernelINS0_14default_configENS1_38merge_sort_block_merge_config_selectorIjN6thrust23THRUST_200600_302600_NS5tupleIffNS6_9null_typeES8_S8_S8_S8_S8_S8_S8_EEEEZZNS1_27merge_sort_block_merge_implIS3_NS6_6detail15normal_iteratorINS6_10device_ptrIjEEEENSD_INSE_IS9_EEEEjNS1_19radix_merge_compareILb0ELb0EjNS0_19identity_decomposerEEEEE10hipError_tT0_T1_T2_jT3_P12ihipStream_tbPNSt15iterator_traitsISN_E10value_typeEPNST_ISO_E10value_typeEPSP_NS1_7vsmem_tEENKUlT_SN_SO_SP_E_clIPjSG_PS9_SI_EESM_S12_SN_SO_SP_EUlS12_E_NS1_11comp_targetILNS1_3genE0ELNS1_11target_archE4294967295ELNS1_3gpuE0ELNS1_3repE0EEENS1_48merge_mergepath_partition_config_static_selectorELNS0_4arch9wavefront6targetE0EEEvSO_,comdat
	.protected	_ZN7rocprim17ROCPRIM_400000_NS6detail17trampoline_kernelINS0_14default_configENS1_38merge_sort_block_merge_config_selectorIjN6thrust23THRUST_200600_302600_NS5tupleIffNS6_9null_typeES8_S8_S8_S8_S8_S8_S8_EEEEZZNS1_27merge_sort_block_merge_implIS3_NS6_6detail15normal_iteratorINS6_10device_ptrIjEEEENSD_INSE_IS9_EEEEjNS1_19radix_merge_compareILb0ELb0EjNS0_19identity_decomposerEEEEE10hipError_tT0_T1_T2_jT3_P12ihipStream_tbPNSt15iterator_traitsISN_E10value_typeEPNST_ISO_E10value_typeEPSP_NS1_7vsmem_tEENKUlT_SN_SO_SP_E_clIPjSG_PS9_SI_EESM_S12_SN_SO_SP_EUlS12_E_NS1_11comp_targetILNS1_3genE0ELNS1_11target_archE4294967295ELNS1_3gpuE0ELNS1_3repE0EEENS1_48merge_mergepath_partition_config_static_selectorELNS0_4arch9wavefront6targetE0EEEvSO_ ; -- Begin function _ZN7rocprim17ROCPRIM_400000_NS6detail17trampoline_kernelINS0_14default_configENS1_38merge_sort_block_merge_config_selectorIjN6thrust23THRUST_200600_302600_NS5tupleIffNS6_9null_typeES8_S8_S8_S8_S8_S8_S8_EEEEZZNS1_27merge_sort_block_merge_implIS3_NS6_6detail15normal_iteratorINS6_10device_ptrIjEEEENSD_INSE_IS9_EEEEjNS1_19radix_merge_compareILb0ELb0EjNS0_19identity_decomposerEEEEE10hipError_tT0_T1_T2_jT3_P12ihipStream_tbPNSt15iterator_traitsISN_E10value_typeEPNST_ISO_E10value_typeEPSP_NS1_7vsmem_tEENKUlT_SN_SO_SP_E_clIPjSG_PS9_SI_EESM_S12_SN_SO_SP_EUlS12_E_NS1_11comp_targetILNS1_3genE0ELNS1_11target_archE4294967295ELNS1_3gpuE0ELNS1_3repE0EEENS1_48merge_mergepath_partition_config_static_selectorELNS0_4arch9wavefront6targetE0EEEvSO_
	.globl	_ZN7rocprim17ROCPRIM_400000_NS6detail17trampoline_kernelINS0_14default_configENS1_38merge_sort_block_merge_config_selectorIjN6thrust23THRUST_200600_302600_NS5tupleIffNS6_9null_typeES8_S8_S8_S8_S8_S8_S8_EEEEZZNS1_27merge_sort_block_merge_implIS3_NS6_6detail15normal_iteratorINS6_10device_ptrIjEEEENSD_INSE_IS9_EEEEjNS1_19radix_merge_compareILb0ELb0EjNS0_19identity_decomposerEEEEE10hipError_tT0_T1_T2_jT3_P12ihipStream_tbPNSt15iterator_traitsISN_E10value_typeEPNST_ISO_E10value_typeEPSP_NS1_7vsmem_tEENKUlT_SN_SO_SP_E_clIPjSG_PS9_SI_EESM_S12_SN_SO_SP_EUlS12_E_NS1_11comp_targetILNS1_3genE0ELNS1_11target_archE4294967295ELNS1_3gpuE0ELNS1_3repE0EEENS1_48merge_mergepath_partition_config_static_selectorELNS0_4arch9wavefront6targetE0EEEvSO_
	.p2align	8
	.type	_ZN7rocprim17ROCPRIM_400000_NS6detail17trampoline_kernelINS0_14default_configENS1_38merge_sort_block_merge_config_selectorIjN6thrust23THRUST_200600_302600_NS5tupleIffNS6_9null_typeES8_S8_S8_S8_S8_S8_S8_EEEEZZNS1_27merge_sort_block_merge_implIS3_NS6_6detail15normal_iteratorINS6_10device_ptrIjEEEENSD_INSE_IS9_EEEEjNS1_19radix_merge_compareILb0ELb0EjNS0_19identity_decomposerEEEEE10hipError_tT0_T1_T2_jT3_P12ihipStream_tbPNSt15iterator_traitsISN_E10value_typeEPNST_ISO_E10value_typeEPSP_NS1_7vsmem_tEENKUlT_SN_SO_SP_E_clIPjSG_PS9_SI_EESM_S12_SN_SO_SP_EUlS12_E_NS1_11comp_targetILNS1_3genE0ELNS1_11target_archE4294967295ELNS1_3gpuE0ELNS1_3repE0EEENS1_48merge_mergepath_partition_config_static_selectorELNS0_4arch9wavefront6targetE0EEEvSO_,@function
_ZN7rocprim17ROCPRIM_400000_NS6detail17trampoline_kernelINS0_14default_configENS1_38merge_sort_block_merge_config_selectorIjN6thrust23THRUST_200600_302600_NS5tupleIffNS6_9null_typeES8_S8_S8_S8_S8_S8_S8_EEEEZZNS1_27merge_sort_block_merge_implIS3_NS6_6detail15normal_iteratorINS6_10device_ptrIjEEEENSD_INSE_IS9_EEEEjNS1_19radix_merge_compareILb0ELb0EjNS0_19identity_decomposerEEEEE10hipError_tT0_T1_T2_jT3_P12ihipStream_tbPNSt15iterator_traitsISN_E10value_typeEPNST_ISO_E10value_typeEPSP_NS1_7vsmem_tEENKUlT_SN_SO_SP_E_clIPjSG_PS9_SI_EESM_S12_SN_SO_SP_EUlS12_E_NS1_11comp_targetILNS1_3genE0ELNS1_11target_archE4294967295ELNS1_3gpuE0ELNS1_3repE0EEENS1_48merge_mergepath_partition_config_static_selectorELNS0_4arch9wavefront6targetE0EEEvSO_: ; @_ZN7rocprim17ROCPRIM_400000_NS6detail17trampoline_kernelINS0_14default_configENS1_38merge_sort_block_merge_config_selectorIjN6thrust23THRUST_200600_302600_NS5tupleIffNS6_9null_typeES8_S8_S8_S8_S8_S8_S8_EEEEZZNS1_27merge_sort_block_merge_implIS3_NS6_6detail15normal_iteratorINS6_10device_ptrIjEEEENSD_INSE_IS9_EEEEjNS1_19radix_merge_compareILb0ELb0EjNS0_19identity_decomposerEEEEE10hipError_tT0_T1_T2_jT3_P12ihipStream_tbPNSt15iterator_traitsISN_E10value_typeEPNST_ISO_E10value_typeEPSP_NS1_7vsmem_tEENKUlT_SN_SO_SP_E_clIPjSG_PS9_SI_EESM_S12_SN_SO_SP_EUlS12_E_NS1_11comp_targetILNS1_3genE0ELNS1_11target_archE4294967295ELNS1_3gpuE0ELNS1_3repE0EEENS1_48merge_mergepath_partition_config_static_selectorELNS0_4arch9wavefront6targetE0EEEvSO_
; %bb.0:
	.section	.rodata,"a",@progbits
	.p2align	6, 0x0
	.amdhsa_kernel _ZN7rocprim17ROCPRIM_400000_NS6detail17trampoline_kernelINS0_14default_configENS1_38merge_sort_block_merge_config_selectorIjN6thrust23THRUST_200600_302600_NS5tupleIffNS6_9null_typeES8_S8_S8_S8_S8_S8_S8_EEEEZZNS1_27merge_sort_block_merge_implIS3_NS6_6detail15normal_iteratorINS6_10device_ptrIjEEEENSD_INSE_IS9_EEEEjNS1_19radix_merge_compareILb0ELb0EjNS0_19identity_decomposerEEEEE10hipError_tT0_T1_T2_jT3_P12ihipStream_tbPNSt15iterator_traitsISN_E10value_typeEPNST_ISO_E10value_typeEPSP_NS1_7vsmem_tEENKUlT_SN_SO_SP_E_clIPjSG_PS9_SI_EESM_S12_SN_SO_SP_EUlS12_E_NS1_11comp_targetILNS1_3genE0ELNS1_11target_archE4294967295ELNS1_3gpuE0ELNS1_3repE0EEENS1_48merge_mergepath_partition_config_static_selectorELNS0_4arch9wavefront6targetE0EEEvSO_
		.amdhsa_group_segment_fixed_size 0
		.amdhsa_private_segment_fixed_size 0
		.amdhsa_kernarg_size 40
		.amdhsa_user_sgpr_count 2
		.amdhsa_user_sgpr_dispatch_ptr 0
		.amdhsa_user_sgpr_queue_ptr 0
		.amdhsa_user_sgpr_kernarg_segment_ptr 1
		.amdhsa_user_sgpr_dispatch_id 0
		.amdhsa_user_sgpr_private_segment_size 0
		.amdhsa_wavefront_size32 1
		.amdhsa_uses_dynamic_stack 0
		.amdhsa_enable_private_segment 0
		.amdhsa_system_sgpr_workgroup_id_x 1
		.amdhsa_system_sgpr_workgroup_id_y 0
		.amdhsa_system_sgpr_workgroup_id_z 0
		.amdhsa_system_sgpr_workgroup_info 0
		.amdhsa_system_vgpr_workitem_id 0
		.amdhsa_next_free_vgpr 1
		.amdhsa_next_free_sgpr 1
		.amdhsa_reserve_vcc 0
		.amdhsa_float_round_mode_32 0
		.amdhsa_float_round_mode_16_64 0
		.amdhsa_float_denorm_mode_32 3
		.amdhsa_float_denorm_mode_16_64 3
		.amdhsa_fp16_overflow 0
		.amdhsa_workgroup_processor_mode 1
		.amdhsa_memory_ordered 1
		.amdhsa_forward_progress 1
		.amdhsa_inst_pref_size 0
		.amdhsa_round_robin_scheduling 0
		.amdhsa_exception_fp_ieee_invalid_op 0
		.amdhsa_exception_fp_denorm_src 0
		.amdhsa_exception_fp_ieee_div_zero 0
		.amdhsa_exception_fp_ieee_overflow 0
		.amdhsa_exception_fp_ieee_underflow 0
		.amdhsa_exception_fp_ieee_inexact 0
		.amdhsa_exception_int_div_zero 0
	.end_amdhsa_kernel
	.section	.text._ZN7rocprim17ROCPRIM_400000_NS6detail17trampoline_kernelINS0_14default_configENS1_38merge_sort_block_merge_config_selectorIjN6thrust23THRUST_200600_302600_NS5tupleIffNS6_9null_typeES8_S8_S8_S8_S8_S8_S8_EEEEZZNS1_27merge_sort_block_merge_implIS3_NS6_6detail15normal_iteratorINS6_10device_ptrIjEEEENSD_INSE_IS9_EEEEjNS1_19radix_merge_compareILb0ELb0EjNS0_19identity_decomposerEEEEE10hipError_tT0_T1_T2_jT3_P12ihipStream_tbPNSt15iterator_traitsISN_E10value_typeEPNST_ISO_E10value_typeEPSP_NS1_7vsmem_tEENKUlT_SN_SO_SP_E_clIPjSG_PS9_SI_EESM_S12_SN_SO_SP_EUlS12_E_NS1_11comp_targetILNS1_3genE0ELNS1_11target_archE4294967295ELNS1_3gpuE0ELNS1_3repE0EEENS1_48merge_mergepath_partition_config_static_selectorELNS0_4arch9wavefront6targetE0EEEvSO_,"axG",@progbits,_ZN7rocprim17ROCPRIM_400000_NS6detail17trampoline_kernelINS0_14default_configENS1_38merge_sort_block_merge_config_selectorIjN6thrust23THRUST_200600_302600_NS5tupleIffNS6_9null_typeES8_S8_S8_S8_S8_S8_S8_EEEEZZNS1_27merge_sort_block_merge_implIS3_NS6_6detail15normal_iteratorINS6_10device_ptrIjEEEENSD_INSE_IS9_EEEEjNS1_19radix_merge_compareILb0ELb0EjNS0_19identity_decomposerEEEEE10hipError_tT0_T1_T2_jT3_P12ihipStream_tbPNSt15iterator_traitsISN_E10value_typeEPNST_ISO_E10value_typeEPSP_NS1_7vsmem_tEENKUlT_SN_SO_SP_E_clIPjSG_PS9_SI_EESM_S12_SN_SO_SP_EUlS12_E_NS1_11comp_targetILNS1_3genE0ELNS1_11target_archE4294967295ELNS1_3gpuE0ELNS1_3repE0EEENS1_48merge_mergepath_partition_config_static_selectorELNS0_4arch9wavefront6targetE0EEEvSO_,comdat
.Lfunc_end25:
	.size	_ZN7rocprim17ROCPRIM_400000_NS6detail17trampoline_kernelINS0_14default_configENS1_38merge_sort_block_merge_config_selectorIjN6thrust23THRUST_200600_302600_NS5tupleIffNS6_9null_typeES8_S8_S8_S8_S8_S8_S8_EEEEZZNS1_27merge_sort_block_merge_implIS3_NS6_6detail15normal_iteratorINS6_10device_ptrIjEEEENSD_INSE_IS9_EEEEjNS1_19radix_merge_compareILb0ELb0EjNS0_19identity_decomposerEEEEE10hipError_tT0_T1_T2_jT3_P12ihipStream_tbPNSt15iterator_traitsISN_E10value_typeEPNST_ISO_E10value_typeEPSP_NS1_7vsmem_tEENKUlT_SN_SO_SP_E_clIPjSG_PS9_SI_EESM_S12_SN_SO_SP_EUlS12_E_NS1_11comp_targetILNS1_3genE0ELNS1_11target_archE4294967295ELNS1_3gpuE0ELNS1_3repE0EEENS1_48merge_mergepath_partition_config_static_selectorELNS0_4arch9wavefront6targetE0EEEvSO_, .Lfunc_end25-_ZN7rocprim17ROCPRIM_400000_NS6detail17trampoline_kernelINS0_14default_configENS1_38merge_sort_block_merge_config_selectorIjN6thrust23THRUST_200600_302600_NS5tupleIffNS6_9null_typeES8_S8_S8_S8_S8_S8_S8_EEEEZZNS1_27merge_sort_block_merge_implIS3_NS6_6detail15normal_iteratorINS6_10device_ptrIjEEEENSD_INSE_IS9_EEEEjNS1_19radix_merge_compareILb0ELb0EjNS0_19identity_decomposerEEEEE10hipError_tT0_T1_T2_jT3_P12ihipStream_tbPNSt15iterator_traitsISN_E10value_typeEPNST_ISO_E10value_typeEPSP_NS1_7vsmem_tEENKUlT_SN_SO_SP_E_clIPjSG_PS9_SI_EESM_S12_SN_SO_SP_EUlS12_E_NS1_11comp_targetILNS1_3genE0ELNS1_11target_archE4294967295ELNS1_3gpuE0ELNS1_3repE0EEENS1_48merge_mergepath_partition_config_static_selectorELNS0_4arch9wavefront6targetE0EEEvSO_
                                        ; -- End function
	.set _ZN7rocprim17ROCPRIM_400000_NS6detail17trampoline_kernelINS0_14default_configENS1_38merge_sort_block_merge_config_selectorIjN6thrust23THRUST_200600_302600_NS5tupleIffNS6_9null_typeES8_S8_S8_S8_S8_S8_S8_EEEEZZNS1_27merge_sort_block_merge_implIS3_NS6_6detail15normal_iteratorINS6_10device_ptrIjEEEENSD_INSE_IS9_EEEEjNS1_19radix_merge_compareILb0ELb0EjNS0_19identity_decomposerEEEEE10hipError_tT0_T1_T2_jT3_P12ihipStream_tbPNSt15iterator_traitsISN_E10value_typeEPNST_ISO_E10value_typeEPSP_NS1_7vsmem_tEENKUlT_SN_SO_SP_E_clIPjSG_PS9_SI_EESM_S12_SN_SO_SP_EUlS12_E_NS1_11comp_targetILNS1_3genE0ELNS1_11target_archE4294967295ELNS1_3gpuE0ELNS1_3repE0EEENS1_48merge_mergepath_partition_config_static_selectorELNS0_4arch9wavefront6targetE0EEEvSO_.num_vgpr, 0
	.set _ZN7rocprim17ROCPRIM_400000_NS6detail17trampoline_kernelINS0_14default_configENS1_38merge_sort_block_merge_config_selectorIjN6thrust23THRUST_200600_302600_NS5tupleIffNS6_9null_typeES8_S8_S8_S8_S8_S8_S8_EEEEZZNS1_27merge_sort_block_merge_implIS3_NS6_6detail15normal_iteratorINS6_10device_ptrIjEEEENSD_INSE_IS9_EEEEjNS1_19radix_merge_compareILb0ELb0EjNS0_19identity_decomposerEEEEE10hipError_tT0_T1_T2_jT3_P12ihipStream_tbPNSt15iterator_traitsISN_E10value_typeEPNST_ISO_E10value_typeEPSP_NS1_7vsmem_tEENKUlT_SN_SO_SP_E_clIPjSG_PS9_SI_EESM_S12_SN_SO_SP_EUlS12_E_NS1_11comp_targetILNS1_3genE0ELNS1_11target_archE4294967295ELNS1_3gpuE0ELNS1_3repE0EEENS1_48merge_mergepath_partition_config_static_selectorELNS0_4arch9wavefront6targetE0EEEvSO_.num_agpr, 0
	.set _ZN7rocprim17ROCPRIM_400000_NS6detail17trampoline_kernelINS0_14default_configENS1_38merge_sort_block_merge_config_selectorIjN6thrust23THRUST_200600_302600_NS5tupleIffNS6_9null_typeES8_S8_S8_S8_S8_S8_S8_EEEEZZNS1_27merge_sort_block_merge_implIS3_NS6_6detail15normal_iteratorINS6_10device_ptrIjEEEENSD_INSE_IS9_EEEEjNS1_19radix_merge_compareILb0ELb0EjNS0_19identity_decomposerEEEEE10hipError_tT0_T1_T2_jT3_P12ihipStream_tbPNSt15iterator_traitsISN_E10value_typeEPNST_ISO_E10value_typeEPSP_NS1_7vsmem_tEENKUlT_SN_SO_SP_E_clIPjSG_PS9_SI_EESM_S12_SN_SO_SP_EUlS12_E_NS1_11comp_targetILNS1_3genE0ELNS1_11target_archE4294967295ELNS1_3gpuE0ELNS1_3repE0EEENS1_48merge_mergepath_partition_config_static_selectorELNS0_4arch9wavefront6targetE0EEEvSO_.numbered_sgpr, 0
	.set _ZN7rocprim17ROCPRIM_400000_NS6detail17trampoline_kernelINS0_14default_configENS1_38merge_sort_block_merge_config_selectorIjN6thrust23THRUST_200600_302600_NS5tupleIffNS6_9null_typeES8_S8_S8_S8_S8_S8_S8_EEEEZZNS1_27merge_sort_block_merge_implIS3_NS6_6detail15normal_iteratorINS6_10device_ptrIjEEEENSD_INSE_IS9_EEEEjNS1_19radix_merge_compareILb0ELb0EjNS0_19identity_decomposerEEEEE10hipError_tT0_T1_T2_jT3_P12ihipStream_tbPNSt15iterator_traitsISN_E10value_typeEPNST_ISO_E10value_typeEPSP_NS1_7vsmem_tEENKUlT_SN_SO_SP_E_clIPjSG_PS9_SI_EESM_S12_SN_SO_SP_EUlS12_E_NS1_11comp_targetILNS1_3genE0ELNS1_11target_archE4294967295ELNS1_3gpuE0ELNS1_3repE0EEENS1_48merge_mergepath_partition_config_static_selectorELNS0_4arch9wavefront6targetE0EEEvSO_.num_named_barrier, 0
	.set _ZN7rocprim17ROCPRIM_400000_NS6detail17trampoline_kernelINS0_14default_configENS1_38merge_sort_block_merge_config_selectorIjN6thrust23THRUST_200600_302600_NS5tupleIffNS6_9null_typeES8_S8_S8_S8_S8_S8_S8_EEEEZZNS1_27merge_sort_block_merge_implIS3_NS6_6detail15normal_iteratorINS6_10device_ptrIjEEEENSD_INSE_IS9_EEEEjNS1_19radix_merge_compareILb0ELb0EjNS0_19identity_decomposerEEEEE10hipError_tT0_T1_T2_jT3_P12ihipStream_tbPNSt15iterator_traitsISN_E10value_typeEPNST_ISO_E10value_typeEPSP_NS1_7vsmem_tEENKUlT_SN_SO_SP_E_clIPjSG_PS9_SI_EESM_S12_SN_SO_SP_EUlS12_E_NS1_11comp_targetILNS1_3genE0ELNS1_11target_archE4294967295ELNS1_3gpuE0ELNS1_3repE0EEENS1_48merge_mergepath_partition_config_static_selectorELNS0_4arch9wavefront6targetE0EEEvSO_.private_seg_size, 0
	.set _ZN7rocprim17ROCPRIM_400000_NS6detail17trampoline_kernelINS0_14default_configENS1_38merge_sort_block_merge_config_selectorIjN6thrust23THRUST_200600_302600_NS5tupleIffNS6_9null_typeES8_S8_S8_S8_S8_S8_S8_EEEEZZNS1_27merge_sort_block_merge_implIS3_NS6_6detail15normal_iteratorINS6_10device_ptrIjEEEENSD_INSE_IS9_EEEEjNS1_19radix_merge_compareILb0ELb0EjNS0_19identity_decomposerEEEEE10hipError_tT0_T1_T2_jT3_P12ihipStream_tbPNSt15iterator_traitsISN_E10value_typeEPNST_ISO_E10value_typeEPSP_NS1_7vsmem_tEENKUlT_SN_SO_SP_E_clIPjSG_PS9_SI_EESM_S12_SN_SO_SP_EUlS12_E_NS1_11comp_targetILNS1_3genE0ELNS1_11target_archE4294967295ELNS1_3gpuE0ELNS1_3repE0EEENS1_48merge_mergepath_partition_config_static_selectorELNS0_4arch9wavefront6targetE0EEEvSO_.uses_vcc, 0
	.set _ZN7rocprim17ROCPRIM_400000_NS6detail17trampoline_kernelINS0_14default_configENS1_38merge_sort_block_merge_config_selectorIjN6thrust23THRUST_200600_302600_NS5tupleIffNS6_9null_typeES8_S8_S8_S8_S8_S8_S8_EEEEZZNS1_27merge_sort_block_merge_implIS3_NS6_6detail15normal_iteratorINS6_10device_ptrIjEEEENSD_INSE_IS9_EEEEjNS1_19radix_merge_compareILb0ELb0EjNS0_19identity_decomposerEEEEE10hipError_tT0_T1_T2_jT3_P12ihipStream_tbPNSt15iterator_traitsISN_E10value_typeEPNST_ISO_E10value_typeEPSP_NS1_7vsmem_tEENKUlT_SN_SO_SP_E_clIPjSG_PS9_SI_EESM_S12_SN_SO_SP_EUlS12_E_NS1_11comp_targetILNS1_3genE0ELNS1_11target_archE4294967295ELNS1_3gpuE0ELNS1_3repE0EEENS1_48merge_mergepath_partition_config_static_selectorELNS0_4arch9wavefront6targetE0EEEvSO_.uses_flat_scratch, 0
	.set _ZN7rocprim17ROCPRIM_400000_NS6detail17trampoline_kernelINS0_14default_configENS1_38merge_sort_block_merge_config_selectorIjN6thrust23THRUST_200600_302600_NS5tupleIffNS6_9null_typeES8_S8_S8_S8_S8_S8_S8_EEEEZZNS1_27merge_sort_block_merge_implIS3_NS6_6detail15normal_iteratorINS6_10device_ptrIjEEEENSD_INSE_IS9_EEEEjNS1_19radix_merge_compareILb0ELb0EjNS0_19identity_decomposerEEEEE10hipError_tT0_T1_T2_jT3_P12ihipStream_tbPNSt15iterator_traitsISN_E10value_typeEPNST_ISO_E10value_typeEPSP_NS1_7vsmem_tEENKUlT_SN_SO_SP_E_clIPjSG_PS9_SI_EESM_S12_SN_SO_SP_EUlS12_E_NS1_11comp_targetILNS1_3genE0ELNS1_11target_archE4294967295ELNS1_3gpuE0ELNS1_3repE0EEENS1_48merge_mergepath_partition_config_static_selectorELNS0_4arch9wavefront6targetE0EEEvSO_.has_dyn_sized_stack, 0
	.set _ZN7rocprim17ROCPRIM_400000_NS6detail17trampoline_kernelINS0_14default_configENS1_38merge_sort_block_merge_config_selectorIjN6thrust23THRUST_200600_302600_NS5tupleIffNS6_9null_typeES8_S8_S8_S8_S8_S8_S8_EEEEZZNS1_27merge_sort_block_merge_implIS3_NS6_6detail15normal_iteratorINS6_10device_ptrIjEEEENSD_INSE_IS9_EEEEjNS1_19radix_merge_compareILb0ELb0EjNS0_19identity_decomposerEEEEE10hipError_tT0_T1_T2_jT3_P12ihipStream_tbPNSt15iterator_traitsISN_E10value_typeEPNST_ISO_E10value_typeEPSP_NS1_7vsmem_tEENKUlT_SN_SO_SP_E_clIPjSG_PS9_SI_EESM_S12_SN_SO_SP_EUlS12_E_NS1_11comp_targetILNS1_3genE0ELNS1_11target_archE4294967295ELNS1_3gpuE0ELNS1_3repE0EEENS1_48merge_mergepath_partition_config_static_selectorELNS0_4arch9wavefront6targetE0EEEvSO_.has_recursion, 0
	.set _ZN7rocprim17ROCPRIM_400000_NS6detail17trampoline_kernelINS0_14default_configENS1_38merge_sort_block_merge_config_selectorIjN6thrust23THRUST_200600_302600_NS5tupleIffNS6_9null_typeES8_S8_S8_S8_S8_S8_S8_EEEEZZNS1_27merge_sort_block_merge_implIS3_NS6_6detail15normal_iteratorINS6_10device_ptrIjEEEENSD_INSE_IS9_EEEEjNS1_19radix_merge_compareILb0ELb0EjNS0_19identity_decomposerEEEEE10hipError_tT0_T1_T2_jT3_P12ihipStream_tbPNSt15iterator_traitsISN_E10value_typeEPNST_ISO_E10value_typeEPSP_NS1_7vsmem_tEENKUlT_SN_SO_SP_E_clIPjSG_PS9_SI_EESM_S12_SN_SO_SP_EUlS12_E_NS1_11comp_targetILNS1_3genE0ELNS1_11target_archE4294967295ELNS1_3gpuE0ELNS1_3repE0EEENS1_48merge_mergepath_partition_config_static_selectorELNS0_4arch9wavefront6targetE0EEEvSO_.has_indirect_call, 0
	.section	.AMDGPU.csdata,"",@progbits
; Kernel info:
; codeLenInByte = 0
; TotalNumSgprs: 0
; NumVgprs: 0
; ScratchSize: 0
; MemoryBound: 0
; FloatMode: 240
; IeeeMode: 1
; LDSByteSize: 0 bytes/workgroup (compile time only)
; SGPRBlocks: 0
; VGPRBlocks: 0
; NumSGPRsForWavesPerEU: 1
; NumVGPRsForWavesPerEU: 1
; Occupancy: 16
; WaveLimiterHint : 0
; COMPUTE_PGM_RSRC2:SCRATCH_EN: 0
; COMPUTE_PGM_RSRC2:USER_SGPR: 2
; COMPUTE_PGM_RSRC2:TRAP_HANDLER: 0
; COMPUTE_PGM_RSRC2:TGID_X_EN: 1
; COMPUTE_PGM_RSRC2:TGID_Y_EN: 0
; COMPUTE_PGM_RSRC2:TGID_Z_EN: 0
; COMPUTE_PGM_RSRC2:TIDIG_COMP_CNT: 0
	.section	.text._ZN7rocprim17ROCPRIM_400000_NS6detail17trampoline_kernelINS0_14default_configENS1_38merge_sort_block_merge_config_selectorIjN6thrust23THRUST_200600_302600_NS5tupleIffNS6_9null_typeES8_S8_S8_S8_S8_S8_S8_EEEEZZNS1_27merge_sort_block_merge_implIS3_NS6_6detail15normal_iteratorINS6_10device_ptrIjEEEENSD_INSE_IS9_EEEEjNS1_19radix_merge_compareILb0ELb0EjNS0_19identity_decomposerEEEEE10hipError_tT0_T1_T2_jT3_P12ihipStream_tbPNSt15iterator_traitsISN_E10value_typeEPNST_ISO_E10value_typeEPSP_NS1_7vsmem_tEENKUlT_SN_SO_SP_E_clIPjSG_PS9_SI_EESM_S12_SN_SO_SP_EUlS12_E_NS1_11comp_targetILNS1_3genE10ELNS1_11target_archE1201ELNS1_3gpuE5ELNS1_3repE0EEENS1_48merge_mergepath_partition_config_static_selectorELNS0_4arch9wavefront6targetE0EEEvSO_,"axG",@progbits,_ZN7rocprim17ROCPRIM_400000_NS6detail17trampoline_kernelINS0_14default_configENS1_38merge_sort_block_merge_config_selectorIjN6thrust23THRUST_200600_302600_NS5tupleIffNS6_9null_typeES8_S8_S8_S8_S8_S8_S8_EEEEZZNS1_27merge_sort_block_merge_implIS3_NS6_6detail15normal_iteratorINS6_10device_ptrIjEEEENSD_INSE_IS9_EEEEjNS1_19radix_merge_compareILb0ELb0EjNS0_19identity_decomposerEEEEE10hipError_tT0_T1_T2_jT3_P12ihipStream_tbPNSt15iterator_traitsISN_E10value_typeEPNST_ISO_E10value_typeEPSP_NS1_7vsmem_tEENKUlT_SN_SO_SP_E_clIPjSG_PS9_SI_EESM_S12_SN_SO_SP_EUlS12_E_NS1_11comp_targetILNS1_3genE10ELNS1_11target_archE1201ELNS1_3gpuE5ELNS1_3repE0EEENS1_48merge_mergepath_partition_config_static_selectorELNS0_4arch9wavefront6targetE0EEEvSO_,comdat
	.protected	_ZN7rocprim17ROCPRIM_400000_NS6detail17trampoline_kernelINS0_14default_configENS1_38merge_sort_block_merge_config_selectorIjN6thrust23THRUST_200600_302600_NS5tupleIffNS6_9null_typeES8_S8_S8_S8_S8_S8_S8_EEEEZZNS1_27merge_sort_block_merge_implIS3_NS6_6detail15normal_iteratorINS6_10device_ptrIjEEEENSD_INSE_IS9_EEEEjNS1_19radix_merge_compareILb0ELb0EjNS0_19identity_decomposerEEEEE10hipError_tT0_T1_T2_jT3_P12ihipStream_tbPNSt15iterator_traitsISN_E10value_typeEPNST_ISO_E10value_typeEPSP_NS1_7vsmem_tEENKUlT_SN_SO_SP_E_clIPjSG_PS9_SI_EESM_S12_SN_SO_SP_EUlS12_E_NS1_11comp_targetILNS1_3genE10ELNS1_11target_archE1201ELNS1_3gpuE5ELNS1_3repE0EEENS1_48merge_mergepath_partition_config_static_selectorELNS0_4arch9wavefront6targetE0EEEvSO_ ; -- Begin function _ZN7rocprim17ROCPRIM_400000_NS6detail17trampoline_kernelINS0_14default_configENS1_38merge_sort_block_merge_config_selectorIjN6thrust23THRUST_200600_302600_NS5tupleIffNS6_9null_typeES8_S8_S8_S8_S8_S8_S8_EEEEZZNS1_27merge_sort_block_merge_implIS3_NS6_6detail15normal_iteratorINS6_10device_ptrIjEEEENSD_INSE_IS9_EEEEjNS1_19radix_merge_compareILb0ELb0EjNS0_19identity_decomposerEEEEE10hipError_tT0_T1_T2_jT3_P12ihipStream_tbPNSt15iterator_traitsISN_E10value_typeEPNST_ISO_E10value_typeEPSP_NS1_7vsmem_tEENKUlT_SN_SO_SP_E_clIPjSG_PS9_SI_EESM_S12_SN_SO_SP_EUlS12_E_NS1_11comp_targetILNS1_3genE10ELNS1_11target_archE1201ELNS1_3gpuE5ELNS1_3repE0EEENS1_48merge_mergepath_partition_config_static_selectorELNS0_4arch9wavefront6targetE0EEEvSO_
	.globl	_ZN7rocprim17ROCPRIM_400000_NS6detail17trampoline_kernelINS0_14default_configENS1_38merge_sort_block_merge_config_selectorIjN6thrust23THRUST_200600_302600_NS5tupleIffNS6_9null_typeES8_S8_S8_S8_S8_S8_S8_EEEEZZNS1_27merge_sort_block_merge_implIS3_NS6_6detail15normal_iteratorINS6_10device_ptrIjEEEENSD_INSE_IS9_EEEEjNS1_19radix_merge_compareILb0ELb0EjNS0_19identity_decomposerEEEEE10hipError_tT0_T1_T2_jT3_P12ihipStream_tbPNSt15iterator_traitsISN_E10value_typeEPNST_ISO_E10value_typeEPSP_NS1_7vsmem_tEENKUlT_SN_SO_SP_E_clIPjSG_PS9_SI_EESM_S12_SN_SO_SP_EUlS12_E_NS1_11comp_targetILNS1_3genE10ELNS1_11target_archE1201ELNS1_3gpuE5ELNS1_3repE0EEENS1_48merge_mergepath_partition_config_static_selectorELNS0_4arch9wavefront6targetE0EEEvSO_
	.p2align	8
	.type	_ZN7rocprim17ROCPRIM_400000_NS6detail17trampoline_kernelINS0_14default_configENS1_38merge_sort_block_merge_config_selectorIjN6thrust23THRUST_200600_302600_NS5tupleIffNS6_9null_typeES8_S8_S8_S8_S8_S8_S8_EEEEZZNS1_27merge_sort_block_merge_implIS3_NS6_6detail15normal_iteratorINS6_10device_ptrIjEEEENSD_INSE_IS9_EEEEjNS1_19radix_merge_compareILb0ELb0EjNS0_19identity_decomposerEEEEE10hipError_tT0_T1_T2_jT3_P12ihipStream_tbPNSt15iterator_traitsISN_E10value_typeEPNST_ISO_E10value_typeEPSP_NS1_7vsmem_tEENKUlT_SN_SO_SP_E_clIPjSG_PS9_SI_EESM_S12_SN_SO_SP_EUlS12_E_NS1_11comp_targetILNS1_3genE10ELNS1_11target_archE1201ELNS1_3gpuE5ELNS1_3repE0EEENS1_48merge_mergepath_partition_config_static_selectorELNS0_4arch9wavefront6targetE0EEEvSO_,@function
_ZN7rocprim17ROCPRIM_400000_NS6detail17trampoline_kernelINS0_14default_configENS1_38merge_sort_block_merge_config_selectorIjN6thrust23THRUST_200600_302600_NS5tupleIffNS6_9null_typeES8_S8_S8_S8_S8_S8_S8_EEEEZZNS1_27merge_sort_block_merge_implIS3_NS6_6detail15normal_iteratorINS6_10device_ptrIjEEEENSD_INSE_IS9_EEEEjNS1_19radix_merge_compareILb0ELb0EjNS0_19identity_decomposerEEEEE10hipError_tT0_T1_T2_jT3_P12ihipStream_tbPNSt15iterator_traitsISN_E10value_typeEPNST_ISO_E10value_typeEPSP_NS1_7vsmem_tEENKUlT_SN_SO_SP_E_clIPjSG_PS9_SI_EESM_S12_SN_SO_SP_EUlS12_E_NS1_11comp_targetILNS1_3genE10ELNS1_11target_archE1201ELNS1_3gpuE5ELNS1_3repE0EEENS1_48merge_mergepath_partition_config_static_selectorELNS0_4arch9wavefront6targetE0EEEvSO_: ; @_ZN7rocprim17ROCPRIM_400000_NS6detail17trampoline_kernelINS0_14default_configENS1_38merge_sort_block_merge_config_selectorIjN6thrust23THRUST_200600_302600_NS5tupleIffNS6_9null_typeES8_S8_S8_S8_S8_S8_S8_EEEEZZNS1_27merge_sort_block_merge_implIS3_NS6_6detail15normal_iteratorINS6_10device_ptrIjEEEENSD_INSE_IS9_EEEEjNS1_19radix_merge_compareILb0ELb0EjNS0_19identity_decomposerEEEEE10hipError_tT0_T1_T2_jT3_P12ihipStream_tbPNSt15iterator_traitsISN_E10value_typeEPNST_ISO_E10value_typeEPSP_NS1_7vsmem_tEENKUlT_SN_SO_SP_E_clIPjSG_PS9_SI_EESM_S12_SN_SO_SP_EUlS12_E_NS1_11comp_targetILNS1_3genE10ELNS1_11target_archE1201ELNS1_3gpuE5ELNS1_3repE0EEENS1_48merge_mergepath_partition_config_static_selectorELNS0_4arch9wavefront6targetE0EEEvSO_
; %bb.0:
	s_load_b32 s2, s[0:1], 0x0
	v_lshl_or_b32 v0, ttmp9, 7, v0
	s_wait_kmcnt 0x0
	s_delay_alu instid0(VALU_DEP_1)
	v_cmp_gt_u32_e32 vcc_lo, s2, v0
	s_and_saveexec_b32 s2, vcc_lo
	s_cbranch_execz .LBB26_6
; %bb.1:
	s_load_b64 s[2:3], s[0:1], 0x4
	s_wait_kmcnt 0x0
	s_lshr_b32 s4, s2, 9
	s_delay_alu instid0(SALU_CYCLE_1) | instskip(NEXT) | instid1(SALU_CYCLE_1)
	s_and_b32 s4, s4, 0x7ffffe
	s_sub_co_i32 s5, 0, s4
	s_add_co_i32 s4, s4, -1
	v_and_b32_e32 v1, s5, v0
	v_and_b32_e32 v5, s4, v0
	s_mov_b32 s5, 0
	s_mov_b32 s4, exec_lo
	s_delay_alu instid0(VALU_DEP_2) | instskip(NEXT) | instid1(VALU_DEP_1)
	v_lshlrev_b32_e32 v1, 10, v1
	v_add_nc_u32_e32 v2, s2, v1
	s_delay_alu instid0(VALU_DEP_1) | instskip(SKIP_1) | instid1(VALU_DEP_2)
	v_min_u32_e32 v4, s3, v2
	v_min_u32_e32 v2, s3, v1
	v_add_nc_u32_e32 v3, s2, v4
	s_delay_alu instid0(VALU_DEP_1) | instskip(SKIP_2) | instid1(VALU_DEP_2)
	v_min_u32_e32 v1, s3, v3
	s_load_b64 s[2:3], s[0:1], 0x20
	v_lshlrev_b32_e32 v3, 10, v5
	v_sub_nc_u32_e32 v5, v1, v2
	v_sub_nc_u32_e32 v6, v1, v4
	s_delay_alu instid0(VALU_DEP_2) | instskip(SKIP_1) | instid1(VALU_DEP_2)
	v_min_u32_e32 v1, v5, v3
	v_sub_nc_u32_e32 v3, v4, v2
	v_sub_nc_u32_e64 v6, v1, v6 clamp
	s_delay_alu instid0(VALU_DEP_2) | instskip(NEXT) | instid1(VALU_DEP_1)
	v_min_u32_e32 v7, v1, v3
	v_cmpx_lt_u32_e64 v6, v7
	s_cbranch_execz .LBB26_5
; %bb.2:
	s_load_b64 s[0:1], s[0:1], 0x10
	v_mov_b32_e32 v5, 0
	s_delay_alu instid0(VALU_DEP_1) | instskip(SKIP_1) | instid1(VALU_DEP_2)
	v_mov_b32_e32 v3, v5
	v_lshlrev_b64_e32 v[10:11], 2, v[4:5]
	v_lshlrev_b64_e32 v[8:9], 2, v[2:3]
	s_wait_kmcnt 0x0
	s_delay_alu instid0(VALU_DEP_1) | instskip(NEXT) | instid1(VALU_DEP_1)
	v_add_co_u32 v3, vcc_lo, s0, v8
	v_add_co_ci_u32_e64 v8, null, s1, v9, vcc_lo
	s_delay_alu instid0(VALU_DEP_4)
	v_add_co_u32 v9, vcc_lo, s0, v10
	s_wait_alu 0xfffd
	v_add_co_ci_u32_e64 v10, null, s1, v11, vcc_lo
.LBB26_3:                               ; =>This Inner Loop Header: Depth=1
	v_add_nc_u32_e32 v4, v7, v6
	s_delay_alu instid0(VALU_DEP_1) | instskip(SKIP_1) | instid1(VALU_DEP_2)
	v_lshrrev_b32_e32 v4, 1, v4
	v_mov_b32_e32 v12, v5
	v_xad_u32 v11, v4, -1, v1
	v_lshlrev_b64_e32 v[13:14], 2, v[4:5]
	s_delay_alu instid0(VALU_DEP_2) | instskip(NEXT) | instid1(VALU_DEP_2)
	v_lshlrev_b64_e32 v[11:12], 2, v[11:12]
	v_add_co_u32 v13, vcc_lo, v3, v13
	s_wait_alu 0xfffd
	s_delay_alu instid0(VALU_DEP_3) | instskip(NEXT) | instid1(VALU_DEP_3)
	v_add_co_ci_u32_e64 v14, null, v8, v14, vcc_lo
	v_add_co_u32 v11, vcc_lo, v9, v11
	s_wait_alu 0xfffd
	v_add_co_ci_u32_e64 v12, null, v10, v12, vcc_lo
	s_clause 0x1
	global_load_b32 v13, v[13:14], off
	global_load_b32 v11, v[11:12], off
	v_add_nc_u32_e32 v12, 1, v4
	s_wait_loadcnt 0x0
	v_cmp_gt_u32_e32 vcc_lo, v13, v11
	s_wait_alu 0xfffd
	s_delay_alu instid0(VALU_DEP_2) | instskip(NEXT) | instid1(VALU_DEP_1)
	v_dual_cndmask_b32 v7, v7, v4 :: v_dual_cndmask_b32 v6, v12, v6
	v_cmp_ge_u32_e32 vcc_lo, v6, v7
	s_or_b32 s5, vcc_lo, s5
	s_wait_alu 0xfffe
	s_and_not1_b32 exec_lo, exec_lo, s5
	s_cbranch_execnz .LBB26_3
; %bb.4:
	s_or_b32 exec_lo, exec_lo, s5
.LBB26_5:
	s_delay_alu instid0(SALU_CYCLE_1) | instskip(SKIP_1) | instid1(VALU_DEP_1)
	s_or_b32 exec_lo, exec_lo, s4
	v_dual_mov_b32 v1, 0 :: v_dual_add_nc_u32 v2, v6, v2
	v_lshlrev_b64_e32 v[0:1], 2, v[0:1]
	s_wait_kmcnt 0x0
	s_delay_alu instid0(VALU_DEP_1) | instskip(SKIP_1) | instid1(VALU_DEP_2)
	v_add_co_u32 v0, vcc_lo, s2, v0
	s_wait_alu 0xfffd
	v_add_co_ci_u32_e64 v1, null, s3, v1, vcc_lo
	global_store_b32 v[0:1], v2, off
.LBB26_6:
	s_endpgm
	.section	.rodata,"a",@progbits
	.p2align	6, 0x0
	.amdhsa_kernel _ZN7rocprim17ROCPRIM_400000_NS6detail17trampoline_kernelINS0_14default_configENS1_38merge_sort_block_merge_config_selectorIjN6thrust23THRUST_200600_302600_NS5tupleIffNS6_9null_typeES8_S8_S8_S8_S8_S8_S8_EEEEZZNS1_27merge_sort_block_merge_implIS3_NS6_6detail15normal_iteratorINS6_10device_ptrIjEEEENSD_INSE_IS9_EEEEjNS1_19radix_merge_compareILb0ELb0EjNS0_19identity_decomposerEEEEE10hipError_tT0_T1_T2_jT3_P12ihipStream_tbPNSt15iterator_traitsISN_E10value_typeEPNST_ISO_E10value_typeEPSP_NS1_7vsmem_tEENKUlT_SN_SO_SP_E_clIPjSG_PS9_SI_EESM_S12_SN_SO_SP_EUlS12_E_NS1_11comp_targetILNS1_3genE10ELNS1_11target_archE1201ELNS1_3gpuE5ELNS1_3repE0EEENS1_48merge_mergepath_partition_config_static_selectorELNS0_4arch9wavefront6targetE0EEEvSO_
		.amdhsa_group_segment_fixed_size 0
		.amdhsa_private_segment_fixed_size 0
		.amdhsa_kernarg_size 40
		.amdhsa_user_sgpr_count 2
		.amdhsa_user_sgpr_dispatch_ptr 0
		.amdhsa_user_sgpr_queue_ptr 0
		.amdhsa_user_sgpr_kernarg_segment_ptr 1
		.amdhsa_user_sgpr_dispatch_id 0
		.amdhsa_user_sgpr_private_segment_size 0
		.amdhsa_wavefront_size32 1
		.amdhsa_uses_dynamic_stack 0
		.amdhsa_enable_private_segment 0
		.amdhsa_system_sgpr_workgroup_id_x 1
		.amdhsa_system_sgpr_workgroup_id_y 0
		.amdhsa_system_sgpr_workgroup_id_z 0
		.amdhsa_system_sgpr_workgroup_info 0
		.amdhsa_system_vgpr_workitem_id 0
		.amdhsa_next_free_vgpr 15
		.amdhsa_next_free_sgpr 6
		.amdhsa_reserve_vcc 1
		.amdhsa_float_round_mode_32 0
		.amdhsa_float_round_mode_16_64 0
		.amdhsa_float_denorm_mode_32 3
		.amdhsa_float_denorm_mode_16_64 3
		.amdhsa_fp16_overflow 0
		.amdhsa_workgroup_processor_mode 1
		.amdhsa_memory_ordered 1
		.amdhsa_forward_progress 1
		.amdhsa_inst_pref_size 4
		.amdhsa_round_robin_scheduling 0
		.amdhsa_exception_fp_ieee_invalid_op 0
		.amdhsa_exception_fp_denorm_src 0
		.amdhsa_exception_fp_ieee_div_zero 0
		.amdhsa_exception_fp_ieee_overflow 0
		.amdhsa_exception_fp_ieee_underflow 0
		.amdhsa_exception_fp_ieee_inexact 0
		.amdhsa_exception_int_div_zero 0
	.end_amdhsa_kernel
	.section	.text._ZN7rocprim17ROCPRIM_400000_NS6detail17trampoline_kernelINS0_14default_configENS1_38merge_sort_block_merge_config_selectorIjN6thrust23THRUST_200600_302600_NS5tupleIffNS6_9null_typeES8_S8_S8_S8_S8_S8_S8_EEEEZZNS1_27merge_sort_block_merge_implIS3_NS6_6detail15normal_iteratorINS6_10device_ptrIjEEEENSD_INSE_IS9_EEEEjNS1_19radix_merge_compareILb0ELb0EjNS0_19identity_decomposerEEEEE10hipError_tT0_T1_T2_jT3_P12ihipStream_tbPNSt15iterator_traitsISN_E10value_typeEPNST_ISO_E10value_typeEPSP_NS1_7vsmem_tEENKUlT_SN_SO_SP_E_clIPjSG_PS9_SI_EESM_S12_SN_SO_SP_EUlS12_E_NS1_11comp_targetILNS1_3genE10ELNS1_11target_archE1201ELNS1_3gpuE5ELNS1_3repE0EEENS1_48merge_mergepath_partition_config_static_selectorELNS0_4arch9wavefront6targetE0EEEvSO_,"axG",@progbits,_ZN7rocprim17ROCPRIM_400000_NS6detail17trampoline_kernelINS0_14default_configENS1_38merge_sort_block_merge_config_selectorIjN6thrust23THRUST_200600_302600_NS5tupleIffNS6_9null_typeES8_S8_S8_S8_S8_S8_S8_EEEEZZNS1_27merge_sort_block_merge_implIS3_NS6_6detail15normal_iteratorINS6_10device_ptrIjEEEENSD_INSE_IS9_EEEEjNS1_19radix_merge_compareILb0ELb0EjNS0_19identity_decomposerEEEEE10hipError_tT0_T1_T2_jT3_P12ihipStream_tbPNSt15iterator_traitsISN_E10value_typeEPNST_ISO_E10value_typeEPSP_NS1_7vsmem_tEENKUlT_SN_SO_SP_E_clIPjSG_PS9_SI_EESM_S12_SN_SO_SP_EUlS12_E_NS1_11comp_targetILNS1_3genE10ELNS1_11target_archE1201ELNS1_3gpuE5ELNS1_3repE0EEENS1_48merge_mergepath_partition_config_static_selectorELNS0_4arch9wavefront6targetE0EEEvSO_,comdat
.Lfunc_end26:
	.size	_ZN7rocprim17ROCPRIM_400000_NS6detail17trampoline_kernelINS0_14default_configENS1_38merge_sort_block_merge_config_selectorIjN6thrust23THRUST_200600_302600_NS5tupleIffNS6_9null_typeES8_S8_S8_S8_S8_S8_S8_EEEEZZNS1_27merge_sort_block_merge_implIS3_NS6_6detail15normal_iteratorINS6_10device_ptrIjEEEENSD_INSE_IS9_EEEEjNS1_19radix_merge_compareILb0ELb0EjNS0_19identity_decomposerEEEEE10hipError_tT0_T1_T2_jT3_P12ihipStream_tbPNSt15iterator_traitsISN_E10value_typeEPNST_ISO_E10value_typeEPSP_NS1_7vsmem_tEENKUlT_SN_SO_SP_E_clIPjSG_PS9_SI_EESM_S12_SN_SO_SP_EUlS12_E_NS1_11comp_targetILNS1_3genE10ELNS1_11target_archE1201ELNS1_3gpuE5ELNS1_3repE0EEENS1_48merge_mergepath_partition_config_static_selectorELNS0_4arch9wavefront6targetE0EEEvSO_, .Lfunc_end26-_ZN7rocprim17ROCPRIM_400000_NS6detail17trampoline_kernelINS0_14default_configENS1_38merge_sort_block_merge_config_selectorIjN6thrust23THRUST_200600_302600_NS5tupleIffNS6_9null_typeES8_S8_S8_S8_S8_S8_S8_EEEEZZNS1_27merge_sort_block_merge_implIS3_NS6_6detail15normal_iteratorINS6_10device_ptrIjEEEENSD_INSE_IS9_EEEEjNS1_19radix_merge_compareILb0ELb0EjNS0_19identity_decomposerEEEEE10hipError_tT0_T1_T2_jT3_P12ihipStream_tbPNSt15iterator_traitsISN_E10value_typeEPNST_ISO_E10value_typeEPSP_NS1_7vsmem_tEENKUlT_SN_SO_SP_E_clIPjSG_PS9_SI_EESM_S12_SN_SO_SP_EUlS12_E_NS1_11comp_targetILNS1_3genE10ELNS1_11target_archE1201ELNS1_3gpuE5ELNS1_3repE0EEENS1_48merge_mergepath_partition_config_static_selectorELNS0_4arch9wavefront6targetE0EEEvSO_
                                        ; -- End function
	.set _ZN7rocprim17ROCPRIM_400000_NS6detail17trampoline_kernelINS0_14default_configENS1_38merge_sort_block_merge_config_selectorIjN6thrust23THRUST_200600_302600_NS5tupleIffNS6_9null_typeES8_S8_S8_S8_S8_S8_S8_EEEEZZNS1_27merge_sort_block_merge_implIS3_NS6_6detail15normal_iteratorINS6_10device_ptrIjEEEENSD_INSE_IS9_EEEEjNS1_19radix_merge_compareILb0ELb0EjNS0_19identity_decomposerEEEEE10hipError_tT0_T1_T2_jT3_P12ihipStream_tbPNSt15iterator_traitsISN_E10value_typeEPNST_ISO_E10value_typeEPSP_NS1_7vsmem_tEENKUlT_SN_SO_SP_E_clIPjSG_PS9_SI_EESM_S12_SN_SO_SP_EUlS12_E_NS1_11comp_targetILNS1_3genE10ELNS1_11target_archE1201ELNS1_3gpuE5ELNS1_3repE0EEENS1_48merge_mergepath_partition_config_static_selectorELNS0_4arch9wavefront6targetE0EEEvSO_.num_vgpr, 15
	.set _ZN7rocprim17ROCPRIM_400000_NS6detail17trampoline_kernelINS0_14default_configENS1_38merge_sort_block_merge_config_selectorIjN6thrust23THRUST_200600_302600_NS5tupleIffNS6_9null_typeES8_S8_S8_S8_S8_S8_S8_EEEEZZNS1_27merge_sort_block_merge_implIS3_NS6_6detail15normal_iteratorINS6_10device_ptrIjEEEENSD_INSE_IS9_EEEEjNS1_19radix_merge_compareILb0ELb0EjNS0_19identity_decomposerEEEEE10hipError_tT0_T1_T2_jT3_P12ihipStream_tbPNSt15iterator_traitsISN_E10value_typeEPNST_ISO_E10value_typeEPSP_NS1_7vsmem_tEENKUlT_SN_SO_SP_E_clIPjSG_PS9_SI_EESM_S12_SN_SO_SP_EUlS12_E_NS1_11comp_targetILNS1_3genE10ELNS1_11target_archE1201ELNS1_3gpuE5ELNS1_3repE0EEENS1_48merge_mergepath_partition_config_static_selectorELNS0_4arch9wavefront6targetE0EEEvSO_.num_agpr, 0
	.set _ZN7rocprim17ROCPRIM_400000_NS6detail17trampoline_kernelINS0_14default_configENS1_38merge_sort_block_merge_config_selectorIjN6thrust23THRUST_200600_302600_NS5tupleIffNS6_9null_typeES8_S8_S8_S8_S8_S8_S8_EEEEZZNS1_27merge_sort_block_merge_implIS3_NS6_6detail15normal_iteratorINS6_10device_ptrIjEEEENSD_INSE_IS9_EEEEjNS1_19radix_merge_compareILb0ELb0EjNS0_19identity_decomposerEEEEE10hipError_tT0_T1_T2_jT3_P12ihipStream_tbPNSt15iterator_traitsISN_E10value_typeEPNST_ISO_E10value_typeEPSP_NS1_7vsmem_tEENKUlT_SN_SO_SP_E_clIPjSG_PS9_SI_EESM_S12_SN_SO_SP_EUlS12_E_NS1_11comp_targetILNS1_3genE10ELNS1_11target_archE1201ELNS1_3gpuE5ELNS1_3repE0EEENS1_48merge_mergepath_partition_config_static_selectorELNS0_4arch9wavefront6targetE0EEEvSO_.numbered_sgpr, 6
	.set _ZN7rocprim17ROCPRIM_400000_NS6detail17trampoline_kernelINS0_14default_configENS1_38merge_sort_block_merge_config_selectorIjN6thrust23THRUST_200600_302600_NS5tupleIffNS6_9null_typeES8_S8_S8_S8_S8_S8_S8_EEEEZZNS1_27merge_sort_block_merge_implIS3_NS6_6detail15normal_iteratorINS6_10device_ptrIjEEEENSD_INSE_IS9_EEEEjNS1_19radix_merge_compareILb0ELb0EjNS0_19identity_decomposerEEEEE10hipError_tT0_T1_T2_jT3_P12ihipStream_tbPNSt15iterator_traitsISN_E10value_typeEPNST_ISO_E10value_typeEPSP_NS1_7vsmem_tEENKUlT_SN_SO_SP_E_clIPjSG_PS9_SI_EESM_S12_SN_SO_SP_EUlS12_E_NS1_11comp_targetILNS1_3genE10ELNS1_11target_archE1201ELNS1_3gpuE5ELNS1_3repE0EEENS1_48merge_mergepath_partition_config_static_selectorELNS0_4arch9wavefront6targetE0EEEvSO_.num_named_barrier, 0
	.set _ZN7rocprim17ROCPRIM_400000_NS6detail17trampoline_kernelINS0_14default_configENS1_38merge_sort_block_merge_config_selectorIjN6thrust23THRUST_200600_302600_NS5tupleIffNS6_9null_typeES8_S8_S8_S8_S8_S8_S8_EEEEZZNS1_27merge_sort_block_merge_implIS3_NS6_6detail15normal_iteratorINS6_10device_ptrIjEEEENSD_INSE_IS9_EEEEjNS1_19radix_merge_compareILb0ELb0EjNS0_19identity_decomposerEEEEE10hipError_tT0_T1_T2_jT3_P12ihipStream_tbPNSt15iterator_traitsISN_E10value_typeEPNST_ISO_E10value_typeEPSP_NS1_7vsmem_tEENKUlT_SN_SO_SP_E_clIPjSG_PS9_SI_EESM_S12_SN_SO_SP_EUlS12_E_NS1_11comp_targetILNS1_3genE10ELNS1_11target_archE1201ELNS1_3gpuE5ELNS1_3repE0EEENS1_48merge_mergepath_partition_config_static_selectorELNS0_4arch9wavefront6targetE0EEEvSO_.private_seg_size, 0
	.set _ZN7rocprim17ROCPRIM_400000_NS6detail17trampoline_kernelINS0_14default_configENS1_38merge_sort_block_merge_config_selectorIjN6thrust23THRUST_200600_302600_NS5tupleIffNS6_9null_typeES8_S8_S8_S8_S8_S8_S8_EEEEZZNS1_27merge_sort_block_merge_implIS3_NS6_6detail15normal_iteratorINS6_10device_ptrIjEEEENSD_INSE_IS9_EEEEjNS1_19radix_merge_compareILb0ELb0EjNS0_19identity_decomposerEEEEE10hipError_tT0_T1_T2_jT3_P12ihipStream_tbPNSt15iterator_traitsISN_E10value_typeEPNST_ISO_E10value_typeEPSP_NS1_7vsmem_tEENKUlT_SN_SO_SP_E_clIPjSG_PS9_SI_EESM_S12_SN_SO_SP_EUlS12_E_NS1_11comp_targetILNS1_3genE10ELNS1_11target_archE1201ELNS1_3gpuE5ELNS1_3repE0EEENS1_48merge_mergepath_partition_config_static_selectorELNS0_4arch9wavefront6targetE0EEEvSO_.uses_vcc, 1
	.set _ZN7rocprim17ROCPRIM_400000_NS6detail17trampoline_kernelINS0_14default_configENS1_38merge_sort_block_merge_config_selectorIjN6thrust23THRUST_200600_302600_NS5tupleIffNS6_9null_typeES8_S8_S8_S8_S8_S8_S8_EEEEZZNS1_27merge_sort_block_merge_implIS3_NS6_6detail15normal_iteratorINS6_10device_ptrIjEEEENSD_INSE_IS9_EEEEjNS1_19radix_merge_compareILb0ELb0EjNS0_19identity_decomposerEEEEE10hipError_tT0_T1_T2_jT3_P12ihipStream_tbPNSt15iterator_traitsISN_E10value_typeEPNST_ISO_E10value_typeEPSP_NS1_7vsmem_tEENKUlT_SN_SO_SP_E_clIPjSG_PS9_SI_EESM_S12_SN_SO_SP_EUlS12_E_NS1_11comp_targetILNS1_3genE10ELNS1_11target_archE1201ELNS1_3gpuE5ELNS1_3repE0EEENS1_48merge_mergepath_partition_config_static_selectorELNS0_4arch9wavefront6targetE0EEEvSO_.uses_flat_scratch, 0
	.set _ZN7rocprim17ROCPRIM_400000_NS6detail17trampoline_kernelINS0_14default_configENS1_38merge_sort_block_merge_config_selectorIjN6thrust23THRUST_200600_302600_NS5tupleIffNS6_9null_typeES8_S8_S8_S8_S8_S8_S8_EEEEZZNS1_27merge_sort_block_merge_implIS3_NS6_6detail15normal_iteratorINS6_10device_ptrIjEEEENSD_INSE_IS9_EEEEjNS1_19radix_merge_compareILb0ELb0EjNS0_19identity_decomposerEEEEE10hipError_tT0_T1_T2_jT3_P12ihipStream_tbPNSt15iterator_traitsISN_E10value_typeEPNST_ISO_E10value_typeEPSP_NS1_7vsmem_tEENKUlT_SN_SO_SP_E_clIPjSG_PS9_SI_EESM_S12_SN_SO_SP_EUlS12_E_NS1_11comp_targetILNS1_3genE10ELNS1_11target_archE1201ELNS1_3gpuE5ELNS1_3repE0EEENS1_48merge_mergepath_partition_config_static_selectorELNS0_4arch9wavefront6targetE0EEEvSO_.has_dyn_sized_stack, 0
	.set _ZN7rocprim17ROCPRIM_400000_NS6detail17trampoline_kernelINS0_14default_configENS1_38merge_sort_block_merge_config_selectorIjN6thrust23THRUST_200600_302600_NS5tupleIffNS6_9null_typeES8_S8_S8_S8_S8_S8_S8_EEEEZZNS1_27merge_sort_block_merge_implIS3_NS6_6detail15normal_iteratorINS6_10device_ptrIjEEEENSD_INSE_IS9_EEEEjNS1_19radix_merge_compareILb0ELb0EjNS0_19identity_decomposerEEEEE10hipError_tT0_T1_T2_jT3_P12ihipStream_tbPNSt15iterator_traitsISN_E10value_typeEPNST_ISO_E10value_typeEPSP_NS1_7vsmem_tEENKUlT_SN_SO_SP_E_clIPjSG_PS9_SI_EESM_S12_SN_SO_SP_EUlS12_E_NS1_11comp_targetILNS1_3genE10ELNS1_11target_archE1201ELNS1_3gpuE5ELNS1_3repE0EEENS1_48merge_mergepath_partition_config_static_selectorELNS0_4arch9wavefront6targetE0EEEvSO_.has_recursion, 0
	.set _ZN7rocprim17ROCPRIM_400000_NS6detail17trampoline_kernelINS0_14default_configENS1_38merge_sort_block_merge_config_selectorIjN6thrust23THRUST_200600_302600_NS5tupleIffNS6_9null_typeES8_S8_S8_S8_S8_S8_S8_EEEEZZNS1_27merge_sort_block_merge_implIS3_NS6_6detail15normal_iteratorINS6_10device_ptrIjEEEENSD_INSE_IS9_EEEEjNS1_19radix_merge_compareILb0ELb0EjNS0_19identity_decomposerEEEEE10hipError_tT0_T1_T2_jT3_P12ihipStream_tbPNSt15iterator_traitsISN_E10value_typeEPNST_ISO_E10value_typeEPSP_NS1_7vsmem_tEENKUlT_SN_SO_SP_E_clIPjSG_PS9_SI_EESM_S12_SN_SO_SP_EUlS12_E_NS1_11comp_targetILNS1_3genE10ELNS1_11target_archE1201ELNS1_3gpuE5ELNS1_3repE0EEENS1_48merge_mergepath_partition_config_static_selectorELNS0_4arch9wavefront6targetE0EEEvSO_.has_indirect_call, 0
	.section	.AMDGPU.csdata,"",@progbits
; Kernel info:
; codeLenInByte = 484
; TotalNumSgprs: 8
; NumVgprs: 15
; ScratchSize: 0
; MemoryBound: 0
; FloatMode: 240
; IeeeMode: 1
; LDSByteSize: 0 bytes/workgroup (compile time only)
; SGPRBlocks: 0
; VGPRBlocks: 1
; NumSGPRsForWavesPerEU: 8
; NumVGPRsForWavesPerEU: 15
; Occupancy: 16
; WaveLimiterHint : 0
; COMPUTE_PGM_RSRC2:SCRATCH_EN: 0
; COMPUTE_PGM_RSRC2:USER_SGPR: 2
; COMPUTE_PGM_RSRC2:TRAP_HANDLER: 0
; COMPUTE_PGM_RSRC2:TGID_X_EN: 1
; COMPUTE_PGM_RSRC2:TGID_Y_EN: 0
; COMPUTE_PGM_RSRC2:TGID_Z_EN: 0
; COMPUTE_PGM_RSRC2:TIDIG_COMP_CNT: 0
	.section	.text._ZN7rocprim17ROCPRIM_400000_NS6detail17trampoline_kernelINS0_14default_configENS1_38merge_sort_block_merge_config_selectorIjN6thrust23THRUST_200600_302600_NS5tupleIffNS6_9null_typeES8_S8_S8_S8_S8_S8_S8_EEEEZZNS1_27merge_sort_block_merge_implIS3_NS6_6detail15normal_iteratorINS6_10device_ptrIjEEEENSD_INSE_IS9_EEEEjNS1_19radix_merge_compareILb0ELb0EjNS0_19identity_decomposerEEEEE10hipError_tT0_T1_T2_jT3_P12ihipStream_tbPNSt15iterator_traitsISN_E10value_typeEPNST_ISO_E10value_typeEPSP_NS1_7vsmem_tEENKUlT_SN_SO_SP_E_clIPjSG_PS9_SI_EESM_S12_SN_SO_SP_EUlS12_E_NS1_11comp_targetILNS1_3genE5ELNS1_11target_archE942ELNS1_3gpuE9ELNS1_3repE0EEENS1_48merge_mergepath_partition_config_static_selectorELNS0_4arch9wavefront6targetE0EEEvSO_,"axG",@progbits,_ZN7rocprim17ROCPRIM_400000_NS6detail17trampoline_kernelINS0_14default_configENS1_38merge_sort_block_merge_config_selectorIjN6thrust23THRUST_200600_302600_NS5tupleIffNS6_9null_typeES8_S8_S8_S8_S8_S8_S8_EEEEZZNS1_27merge_sort_block_merge_implIS3_NS6_6detail15normal_iteratorINS6_10device_ptrIjEEEENSD_INSE_IS9_EEEEjNS1_19radix_merge_compareILb0ELb0EjNS0_19identity_decomposerEEEEE10hipError_tT0_T1_T2_jT3_P12ihipStream_tbPNSt15iterator_traitsISN_E10value_typeEPNST_ISO_E10value_typeEPSP_NS1_7vsmem_tEENKUlT_SN_SO_SP_E_clIPjSG_PS9_SI_EESM_S12_SN_SO_SP_EUlS12_E_NS1_11comp_targetILNS1_3genE5ELNS1_11target_archE942ELNS1_3gpuE9ELNS1_3repE0EEENS1_48merge_mergepath_partition_config_static_selectorELNS0_4arch9wavefront6targetE0EEEvSO_,comdat
	.protected	_ZN7rocprim17ROCPRIM_400000_NS6detail17trampoline_kernelINS0_14default_configENS1_38merge_sort_block_merge_config_selectorIjN6thrust23THRUST_200600_302600_NS5tupleIffNS6_9null_typeES8_S8_S8_S8_S8_S8_S8_EEEEZZNS1_27merge_sort_block_merge_implIS3_NS6_6detail15normal_iteratorINS6_10device_ptrIjEEEENSD_INSE_IS9_EEEEjNS1_19radix_merge_compareILb0ELb0EjNS0_19identity_decomposerEEEEE10hipError_tT0_T1_T2_jT3_P12ihipStream_tbPNSt15iterator_traitsISN_E10value_typeEPNST_ISO_E10value_typeEPSP_NS1_7vsmem_tEENKUlT_SN_SO_SP_E_clIPjSG_PS9_SI_EESM_S12_SN_SO_SP_EUlS12_E_NS1_11comp_targetILNS1_3genE5ELNS1_11target_archE942ELNS1_3gpuE9ELNS1_3repE0EEENS1_48merge_mergepath_partition_config_static_selectorELNS0_4arch9wavefront6targetE0EEEvSO_ ; -- Begin function _ZN7rocprim17ROCPRIM_400000_NS6detail17trampoline_kernelINS0_14default_configENS1_38merge_sort_block_merge_config_selectorIjN6thrust23THRUST_200600_302600_NS5tupleIffNS6_9null_typeES8_S8_S8_S8_S8_S8_S8_EEEEZZNS1_27merge_sort_block_merge_implIS3_NS6_6detail15normal_iteratorINS6_10device_ptrIjEEEENSD_INSE_IS9_EEEEjNS1_19radix_merge_compareILb0ELb0EjNS0_19identity_decomposerEEEEE10hipError_tT0_T1_T2_jT3_P12ihipStream_tbPNSt15iterator_traitsISN_E10value_typeEPNST_ISO_E10value_typeEPSP_NS1_7vsmem_tEENKUlT_SN_SO_SP_E_clIPjSG_PS9_SI_EESM_S12_SN_SO_SP_EUlS12_E_NS1_11comp_targetILNS1_3genE5ELNS1_11target_archE942ELNS1_3gpuE9ELNS1_3repE0EEENS1_48merge_mergepath_partition_config_static_selectorELNS0_4arch9wavefront6targetE0EEEvSO_
	.globl	_ZN7rocprim17ROCPRIM_400000_NS6detail17trampoline_kernelINS0_14default_configENS1_38merge_sort_block_merge_config_selectorIjN6thrust23THRUST_200600_302600_NS5tupleIffNS6_9null_typeES8_S8_S8_S8_S8_S8_S8_EEEEZZNS1_27merge_sort_block_merge_implIS3_NS6_6detail15normal_iteratorINS6_10device_ptrIjEEEENSD_INSE_IS9_EEEEjNS1_19radix_merge_compareILb0ELb0EjNS0_19identity_decomposerEEEEE10hipError_tT0_T1_T2_jT3_P12ihipStream_tbPNSt15iterator_traitsISN_E10value_typeEPNST_ISO_E10value_typeEPSP_NS1_7vsmem_tEENKUlT_SN_SO_SP_E_clIPjSG_PS9_SI_EESM_S12_SN_SO_SP_EUlS12_E_NS1_11comp_targetILNS1_3genE5ELNS1_11target_archE942ELNS1_3gpuE9ELNS1_3repE0EEENS1_48merge_mergepath_partition_config_static_selectorELNS0_4arch9wavefront6targetE0EEEvSO_
	.p2align	8
	.type	_ZN7rocprim17ROCPRIM_400000_NS6detail17trampoline_kernelINS0_14default_configENS1_38merge_sort_block_merge_config_selectorIjN6thrust23THRUST_200600_302600_NS5tupleIffNS6_9null_typeES8_S8_S8_S8_S8_S8_S8_EEEEZZNS1_27merge_sort_block_merge_implIS3_NS6_6detail15normal_iteratorINS6_10device_ptrIjEEEENSD_INSE_IS9_EEEEjNS1_19radix_merge_compareILb0ELb0EjNS0_19identity_decomposerEEEEE10hipError_tT0_T1_T2_jT3_P12ihipStream_tbPNSt15iterator_traitsISN_E10value_typeEPNST_ISO_E10value_typeEPSP_NS1_7vsmem_tEENKUlT_SN_SO_SP_E_clIPjSG_PS9_SI_EESM_S12_SN_SO_SP_EUlS12_E_NS1_11comp_targetILNS1_3genE5ELNS1_11target_archE942ELNS1_3gpuE9ELNS1_3repE0EEENS1_48merge_mergepath_partition_config_static_selectorELNS0_4arch9wavefront6targetE0EEEvSO_,@function
_ZN7rocprim17ROCPRIM_400000_NS6detail17trampoline_kernelINS0_14default_configENS1_38merge_sort_block_merge_config_selectorIjN6thrust23THRUST_200600_302600_NS5tupleIffNS6_9null_typeES8_S8_S8_S8_S8_S8_S8_EEEEZZNS1_27merge_sort_block_merge_implIS3_NS6_6detail15normal_iteratorINS6_10device_ptrIjEEEENSD_INSE_IS9_EEEEjNS1_19radix_merge_compareILb0ELb0EjNS0_19identity_decomposerEEEEE10hipError_tT0_T1_T2_jT3_P12ihipStream_tbPNSt15iterator_traitsISN_E10value_typeEPNST_ISO_E10value_typeEPSP_NS1_7vsmem_tEENKUlT_SN_SO_SP_E_clIPjSG_PS9_SI_EESM_S12_SN_SO_SP_EUlS12_E_NS1_11comp_targetILNS1_3genE5ELNS1_11target_archE942ELNS1_3gpuE9ELNS1_3repE0EEENS1_48merge_mergepath_partition_config_static_selectorELNS0_4arch9wavefront6targetE0EEEvSO_: ; @_ZN7rocprim17ROCPRIM_400000_NS6detail17trampoline_kernelINS0_14default_configENS1_38merge_sort_block_merge_config_selectorIjN6thrust23THRUST_200600_302600_NS5tupleIffNS6_9null_typeES8_S8_S8_S8_S8_S8_S8_EEEEZZNS1_27merge_sort_block_merge_implIS3_NS6_6detail15normal_iteratorINS6_10device_ptrIjEEEENSD_INSE_IS9_EEEEjNS1_19radix_merge_compareILb0ELb0EjNS0_19identity_decomposerEEEEE10hipError_tT0_T1_T2_jT3_P12ihipStream_tbPNSt15iterator_traitsISN_E10value_typeEPNST_ISO_E10value_typeEPSP_NS1_7vsmem_tEENKUlT_SN_SO_SP_E_clIPjSG_PS9_SI_EESM_S12_SN_SO_SP_EUlS12_E_NS1_11comp_targetILNS1_3genE5ELNS1_11target_archE942ELNS1_3gpuE9ELNS1_3repE0EEENS1_48merge_mergepath_partition_config_static_selectorELNS0_4arch9wavefront6targetE0EEEvSO_
; %bb.0:
	.section	.rodata,"a",@progbits
	.p2align	6, 0x0
	.amdhsa_kernel _ZN7rocprim17ROCPRIM_400000_NS6detail17trampoline_kernelINS0_14default_configENS1_38merge_sort_block_merge_config_selectorIjN6thrust23THRUST_200600_302600_NS5tupleIffNS6_9null_typeES8_S8_S8_S8_S8_S8_S8_EEEEZZNS1_27merge_sort_block_merge_implIS3_NS6_6detail15normal_iteratorINS6_10device_ptrIjEEEENSD_INSE_IS9_EEEEjNS1_19radix_merge_compareILb0ELb0EjNS0_19identity_decomposerEEEEE10hipError_tT0_T1_T2_jT3_P12ihipStream_tbPNSt15iterator_traitsISN_E10value_typeEPNST_ISO_E10value_typeEPSP_NS1_7vsmem_tEENKUlT_SN_SO_SP_E_clIPjSG_PS9_SI_EESM_S12_SN_SO_SP_EUlS12_E_NS1_11comp_targetILNS1_3genE5ELNS1_11target_archE942ELNS1_3gpuE9ELNS1_3repE0EEENS1_48merge_mergepath_partition_config_static_selectorELNS0_4arch9wavefront6targetE0EEEvSO_
		.amdhsa_group_segment_fixed_size 0
		.amdhsa_private_segment_fixed_size 0
		.amdhsa_kernarg_size 40
		.amdhsa_user_sgpr_count 2
		.amdhsa_user_sgpr_dispatch_ptr 0
		.amdhsa_user_sgpr_queue_ptr 0
		.amdhsa_user_sgpr_kernarg_segment_ptr 1
		.amdhsa_user_sgpr_dispatch_id 0
		.amdhsa_user_sgpr_private_segment_size 0
		.amdhsa_wavefront_size32 1
		.amdhsa_uses_dynamic_stack 0
		.amdhsa_enable_private_segment 0
		.amdhsa_system_sgpr_workgroup_id_x 1
		.amdhsa_system_sgpr_workgroup_id_y 0
		.amdhsa_system_sgpr_workgroup_id_z 0
		.amdhsa_system_sgpr_workgroup_info 0
		.amdhsa_system_vgpr_workitem_id 0
		.amdhsa_next_free_vgpr 1
		.amdhsa_next_free_sgpr 1
		.amdhsa_reserve_vcc 0
		.amdhsa_float_round_mode_32 0
		.amdhsa_float_round_mode_16_64 0
		.amdhsa_float_denorm_mode_32 3
		.amdhsa_float_denorm_mode_16_64 3
		.amdhsa_fp16_overflow 0
		.amdhsa_workgroup_processor_mode 1
		.amdhsa_memory_ordered 1
		.amdhsa_forward_progress 1
		.amdhsa_inst_pref_size 0
		.amdhsa_round_robin_scheduling 0
		.amdhsa_exception_fp_ieee_invalid_op 0
		.amdhsa_exception_fp_denorm_src 0
		.amdhsa_exception_fp_ieee_div_zero 0
		.amdhsa_exception_fp_ieee_overflow 0
		.amdhsa_exception_fp_ieee_underflow 0
		.amdhsa_exception_fp_ieee_inexact 0
		.amdhsa_exception_int_div_zero 0
	.end_amdhsa_kernel
	.section	.text._ZN7rocprim17ROCPRIM_400000_NS6detail17trampoline_kernelINS0_14default_configENS1_38merge_sort_block_merge_config_selectorIjN6thrust23THRUST_200600_302600_NS5tupleIffNS6_9null_typeES8_S8_S8_S8_S8_S8_S8_EEEEZZNS1_27merge_sort_block_merge_implIS3_NS6_6detail15normal_iteratorINS6_10device_ptrIjEEEENSD_INSE_IS9_EEEEjNS1_19radix_merge_compareILb0ELb0EjNS0_19identity_decomposerEEEEE10hipError_tT0_T1_T2_jT3_P12ihipStream_tbPNSt15iterator_traitsISN_E10value_typeEPNST_ISO_E10value_typeEPSP_NS1_7vsmem_tEENKUlT_SN_SO_SP_E_clIPjSG_PS9_SI_EESM_S12_SN_SO_SP_EUlS12_E_NS1_11comp_targetILNS1_3genE5ELNS1_11target_archE942ELNS1_3gpuE9ELNS1_3repE0EEENS1_48merge_mergepath_partition_config_static_selectorELNS0_4arch9wavefront6targetE0EEEvSO_,"axG",@progbits,_ZN7rocprim17ROCPRIM_400000_NS6detail17trampoline_kernelINS0_14default_configENS1_38merge_sort_block_merge_config_selectorIjN6thrust23THRUST_200600_302600_NS5tupleIffNS6_9null_typeES8_S8_S8_S8_S8_S8_S8_EEEEZZNS1_27merge_sort_block_merge_implIS3_NS6_6detail15normal_iteratorINS6_10device_ptrIjEEEENSD_INSE_IS9_EEEEjNS1_19radix_merge_compareILb0ELb0EjNS0_19identity_decomposerEEEEE10hipError_tT0_T1_T2_jT3_P12ihipStream_tbPNSt15iterator_traitsISN_E10value_typeEPNST_ISO_E10value_typeEPSP_NS1_7vsmem_tEENKUlT_SN_SO_SP_E_clIPjSG_PS9_SI_EESM_S12_SN_SO_SP_EUlS12_E_NS1_11comp_targetILNS1_3genE5ELNS1_11target_archE942ELNS1_3gpuE9ELNS1_3repE0EEENS1_48merge_mergepath_partition_config_static_selectorELNS0_4arch9wavefront6targetE0EEEvSO_,comdat
.Lfunc_end27:
	.size	_ZN7rocprim17ROCPRIM_400000_NS6detail17trampoline_kernelINS0_14default_configENS1_38merge_sort_block_merge_config_selectorIjN6thrust23THRUST_200600_302600_NS5tupleIffNS6_9null_typeES8_S8_S8_S8_S8_S8_S8_EEEEZZNS1_27merge_sort_block_merge_implIS3_NS6_6detail15normal_iteratorINS6_10device_ptrIjEEEENSD_INSE_IS9_EEEEjNS1_19radix_merge_compareILb0ELb0EjNS0_19identity_decomposerEEEEE10hipError_tT0_T1_T2_jT3_P12ihipStream_tbPNSt15iterator_traitsISN_E10value_typeEPNST_ISO_E10value_typeEPSP_NS1_7vsmem_tEENKUlT_SN_SO_SP_E_clIPjSG_PS9_SI_EESM_S12_SN_SO_SP_EUlS12_E_NS1_11comp_targetILNS1_3genE5ELNS1_11target_archE942ELNS1_3gpuE9ELNS1_3repE0EEENS1_48merge_mergepath_partition_config_static_selectorELNS0_4arch9wavefront6targetE0EEEvSO_, .Lfunc_end27-_ZN7rocprim17ROCPRIM_400000_NS6detail17trampoline_kernelINS0_14default_configENS1_38merge_sort_block_merge_config_selectorIjN6thrust23THRUST_200600_302600_NS5tupleIffNS6_9null_typeES8_S8_S8_S8_S8_S8_S8_EEEEZZNS1_27merge_sort_block_merge_implIS3_NS6_6detail15normal_iteratorINS6_10device_ptrIjEEEENSD_INSE_IS9_EEEEjNS1_19radix_merge_compareILb0ELb0EjNS0_19identity_decomposerEEEEE10hipError_tT0_T1_T2_jT3_P12ihipStream_tbPNSt15iterator_traitsISN_E10value_typeEPNST_ISO_E10value_typeEPSP_NS1_7vsmem_tEENKUlT_SN_SO_SP_E_clIPjSG_PS9_SI_EESM_S12_SN_SO_SP_EUlS12_E_NS1_11comp_targetILNS1_3genE5ELNS1_11target_archE942ELNS1_3gpuE9ELNS1_3repE0EEENS1_48merge_mergepath_partition_config_static_selectorELNS0_4arch9wavefront6targetE0EEEvSO_
                                        ; -- End function
	.set _ZN7rocprim17ROCPRIM_400000_NS6detail17trampoline_kernelINS0_14default_configENS1_38merge_sort_block_merge_config_selectorIjN6thrust23THRUST_200600_302600_NS5tupleIffNS6_9null_typeES8_S8_S8_S8_S8_S8_S8_EEEEZZNS1_27merge_sort_block_merge_implIS3_NS6_6detail15normal_iteratorINS6_10device_ptrIjEEEENSD_INSE_IS9_EEEEjNS1_19radix_merge_compareILb0ELb0EjNS0_19identity_decomposerEEEEE10hipError_tT0_T1_T2_jT3_P12ihipStream_tbPNSt15iterator_traitsISN_E10value_typeEPNST_ISO_E10value_typeEPSP_NS1_7vsmem_tEENKUlT_SN_SO_SP_E_clIPjSG_PS9_SI_EESM_S12_SN_SO_SP_EUlS12_E_NS1_11comp_targetILNS1_3genE5ELNS1_11target_archE942ELNS1_3gpuE9ELNS1_3repE0EEENS1_48merge_mergepath_partition_config_static_selectorELNS0_4arch9wavefront6targetE0EEEvSO_.num_vgpr, 0
	.set _ZN7rocprim17ROCPRIM_400000_NS6detail17trampoline_kernelINS0_14default_configENS1_38merge_sort_block_merge_config_selectorIjN6thrust23THRUST_200600_302600_NS5tupleIffNS6_9null_typeES8_S8_S8_S8_S8_S8_S8_EEEEZZNS1_27merge_sort_block_merge_implIS3_NS6_6detail15normal_iteratorINS6_10device_ptrIjEEEENSD_INSE_IS9_EEEEjNS1_19radix_merge_compareILb0ELb0EjNS0_19identity_decomposerEEEEE10hipError_tT0_T1_T2_jT3_P12ihipStream_tbPNSt15iterator_traitsISN_E10value_typeEPNST_ISO_E10value_typeEPSP_NS1_7vsmem_tEENKUlT_SN_SO_SP_E_clIPjSG_PS9_SI_EESM_S12_SN_SO_SP_EUlS12_E_NS1_11comp_targetILNS1_3genE5ELNS1_11target_archE942ELNS1_3gpuE9ELNS1_3repE0EEENS1_48merge_mergepath_partition_config_static_selectorELNS0_4arch9wavefront6targetE0EEEvSO_.num_agpr, 0
	.set _ZN7rocprim17ROCPRIM_400000_NS6detail17trampoline_kernelINS0_14default_configENS1_38merge_sort_block_merge_config_selectorIjN6thrust23THRUST_200600_302600_NS5tupleIffNS6_9null_typeES8_S8_S8_S8_S8_S8_S8_EEEEZZNS1_27merge_sort_block_merge_implIS3_NS6_6detail15normal_iteratorINS6_10device_ptrIjEEEENSD_INSE_IS9_EEEEjNS1_19radix_merge_compareILb0ELb0EjNS0_19identity_decomposerEEEEE10hipError_tT0_T1_T2_jT3_P12ihipStream_tbPNSt15iterator_traitsISN_E10value_typeEPNST_ISO_E10value_typeEPSP_NS1_7vsmem_tEENKUlT_SN_SO_SP_E_clIPjSG_PS9_SI_EESM_S12_SN_SO_SP_EUlS12_E_NS1_11comp_targetILNS1_3genE5ELNS1_11target_archE942ELNS1_3gpuE9ELNS1_3repE0EEENS1_48merge_mergepath_partition_config_static_selectorELNS0_4arch9wavefront6targetE0EEEvSO_.numbered_sgpr, 0
	.set _ZN7rocprim17ROCPRIM_400000_NS6detail17trampoline_kernelINS0_14default_configENS1_38merge_sort_block_merge_config_selectorIjN6thrust23THRUST_200600_302600_NS5tupleIffNS6_9null_typeES8_S8_S8_S8_S8_S8_S8_EEEEZZNS1_27merge_sort_block_merge_implIS3_NS6_6detail15normal_iteratorINS6_10device_ptrIjEEEENSD_INSE_IS9_EEEEjNS1_19radix_merge_compareILb0ELb0EjNS0_19identity_decomposerEEEEE10hipError_tT0_T1_T2_jT3_P12ihipStream_tbPNSt15iterator_traitsISN_E10value_typeEPNST_ISO_E10value_typeEPSP_NS1_7vsmem_tEENKUlT_SN_SO_SP_E_clIPjSG_PS9_SI_EESM_S12_SN_SO_SP_EUlS12_E_NS1_11comp_targetILNS1_3genE5ELNS1_11target_archE942ELNS1_3gpuE9ELNS1_3repE0EEENS1_48merge_mergepath_partition_config_static_selectorELNS0_4arch9wavefront6targetE0EEEvSO_.num_named_barrier, 0
	.set _ZN7rocprim17ROCPRIM_400000_NS6detail17trampoline_kernelINS0_14default_configENS1_38merge_sort_block_merge_config_selectorIjN6thrust23THRUST_200600_302600_NS5tupleIffNS6_9null_typeES8_S8_S8_S8_S8_S8_S8_EEEEZZNS1_27merge_sort_block_merge_implIS3_NS6_6detail15normal_iteratorINS6_10device_ptrIjEEEENSD_INSE_IS9_EEEEjNS1_19radix_merge_compareILb0ELb0EjNS0_19identity_decomposerEEEEE10hipError_tT0_T1_T2_jT3_P12ihipStream_tbPNSt15iterator_traitsISN_E10value_typeEPNST_ISO_E10value_typeEPSP_NS1_7vsmem_tEENKUlT_SN_SO_SP_E_clIPjSG_PS9_SI_EESM_S12_SN_SO_SP_EUlS12_E_NS1_11comp_targetILNS1_3genE5ELNS1_11target_archE942ELNS1_3gpuE9ELNS1_3repE0EEENS1_48merge_mergepath_partition_config_static_selectorELNS0_4arch9wavefront6targetE0EEEvSO_.private_seg_size, 0
	.set _ZN7rocprim17ROCPRIM_400000_NS6detail17trampoline_kernelINS0_14default_configENS1_38merge_sort_block_merge_config_selectorIjN6thrust23THRUST_200600_302600_NS5tupleIffNS6_9null_typeES8_S8_S8_S8_S8_S8_S8_EEEEZZNS1_27merge_sort_block_merge_implIS3_NS6_6detail15normal_iteratorINS6_10device_ptrIjEEEENSD_INSE_IS9_EEEEjNS1_19radix_merge_compareILb0ELb0EjNS0_19identity_decomposerEEEEE10hipError_tT0_T1_T2_jT3_P12ihipStream_tbPNSt15iterator_traitsISN_E10value_typeEPNST_ISO_E10value_typeEPSP_NS1_7vsmem_tEENKUlT_SN_SO_SP_E_clIPjSG_PS9_SI_EESM_S12_SN_SO_SP_EUlS12_E_NS1_11comp_targetILNS1_3genE5ELNS1_11target_archE942ELNS1_3gpuE9ELNS1_3repE0EEENS1_48merge_mergepath_partition_config_static_selectorELNS0_4arch9wavefront6targetE0EEEvSO_.uses_vcc, 0
	.set _ZN7rocprim17ROCPRIM_400000_NS6detail17trampoline_kernelINS0_14default_configENS1_38merge_sort_block_merge_config_selectorIjN6thrust23THRUST_200600_302600_NS5tupleIffNS6_9null_typeES8_S8_S8_S8_S8_S8_S8_EEEEZZNS1_27merge_sort_block_merge_implIS3_NS6_6detail15normal_iteratorINS6_10device_ptrIjEEEENSD_INSE_IS9_EEEEjNS1_19radix_merge_compareILb0ELb0EjNS0_19identity_decomposerEEEEE10hipError_tT0_T1_T2_jT3_P12ihipStream_tbPNSt15iterator_traitsISN_E10value_typeEPNST_ISO_E10value_typeEPSP_NS1_7vsmem_tEENKUlT_SN_SO_SP_E_clIPjSG_PS9_SI_EESM_S12_SN_SO_SP_EUlS12_E_NS1_11comp_targetILNS1_3genE5ELNS1_11target_archE942ELNS1_3gpuE9ELNS1_3repE0EEENS1_48merge_mergepath_partition_config_static_selectorELNS0_4arch9wavefront6targetE0EEEvSO_.uses_flat_scratch, 0
	.set _ZN7rocprim17ROCPRIM_400000_NS6detail17trampoline_kernelINS0_14default_configENS1_38merge_sort_block_merge_config_selectorIjN6thrust23THRUST_200600_302600_NS5tupleIffNS6_9null_typeES8_S8_S8_S8_S8_S8_S8_EEEEZZNS1_27merge_sort_block_merge_implIS3_NS6_6detail15normal_iteratorINS6_10device_ptrIjEEEENSD_INSE_IS9_EEEEjNS1_19radix_merge_compareILb0ELb0EjNS0_19identity_decomposerEEEEE10hipError_tT0_T1_T2_jT3_P12ihipStream_tbPNSt15iterator_traitsISN_E10value_typeEPNST_ISO_E10value_typeEPSP_NS1_7vsmem_tEENKUlT_SN_SO_SP_E_clIPjSG_PS9_SI_EESM_S12_SN_SO_SP_EUlS12_E_NS1_11comp_targetILNS1_3genE5ELNS1_11target_archE942ELNS1_3gpuE9ELNS1_3repE0EEENS1_48merge_mergepath_partition_config_static_selectorELNS0_4arch9wavefront6targetE0EEEvSO_.has_dyn_sized_stack, 0
	.set _ZN7rocprim17ROCPRIM_400000_NS6detail17trampoline_kernelINS0_14default_configENS1_38merge_sort_block_merge_config_selectorIjN6thrust23THRUST_200600_302600_NS5tupleIffNS6_9null_typeES8_S8_S8_S8_S8_S8_S8_EEEEZZNS1_27merge_sort_block_merge_implIS3_NS6_6detail15normal_iteratorINS6_10device_ptrIjEEEENSD_INSE_IS9_EEEEjNS1_19radix_merge_compareILb0ELb0EjNS0_19identity_decomposerEEEEE10hipError_tT0_T1_T2_jT3_P12ihipStream_tbPNSt15iterator_traitsISN_E10value_typeEPNST_ISO_E10value_typeEPSP_NS1_7vsmem_tEENKUlT_SN_SO_SP_E_clIPjSG_PS9_SI_EESM_S12_SN_SO_SP_EUlS12_E_NS1_11comp_targetILNS1_3genE5ELNS1_11target_archE942ELNS1_3gpuE9ELNS1_3repE0EEENS1_48merge_mergepath_partition_config_static_selectorELNS0_4arch9wavefront6targetE0EEEvSO_.has_recursion, 0
	.set _ZN7rocprim17ROCPRIM_400000_NS6detail17trampoline_kernelINS0_14default_configENS1_38merge_sort_block_merge_config_selectorIjN6thrust23THRUST_200600_302600_NS5tupleIffNS6_9null_typeES8_S8_S8_S8_S8_S8_S8_EEEEZZNS1_27merge_sort_block_merge_implIS3_NS6_6detail15normal_iteratorINS6_10device_ptrIjEEEENSD_INSE_IS9_EEEEjNS1_19radix_merge_compareILb0ELb0EjNS0_19identity_decomposerEEEEE10hipError_tT0_T1_T2_jT3_P12ihipStream_tbPNSt15iterator_traitsISN_E10value_typeEPNST_ISO_E10value_typeEPSP_NS1_7vsmem_tEENKUlT_SN_SO_SP_E_clIPjSG_PS9_SI_EESM_S12_SN_SO_SP_EUlS12_E_NS1_11comp_targetILNS1_3genE5ELNS1_11target_archE942ELNS1_3gpuE9ELNS1_3repE0EEENS1_48merge_mergepath_partition_config_static_selectorELNS0_4arch9wavefront6targetE0EEEvSO_.has_indirect_call, 0
	.section	.AMDGPU.csdata,"",@progbits
; Kernel info:
; codeLenInByte = 0
; TotalNumSgprs: 0
; NumVgprs: 0
; ScratchSize: 0
; MemoryBound: 0
; FloatMode: 240
; IeeeMode: 1
; LDSByteSize: 0 bytes/workgroup (compile time only)
; SGPRBlocks: 0
; VGPRBlocks: 0
; NumSGPRsForWavesPerEU: 1
; NumVGPRsForWavesPerEU: 1
; Occupancy: 16
; WaveLimiterHint : 0
; COMPUTE_PGM_RSRC2:SCRATCH_EN: 0
; COMPUTE_PGM_RSRC2:USER_SGPR: 2
; COMPUTE_PGM_RSRC2:TRAP_HANDLER: 0
; COMPUTE_PGM_RSRC2:TGID_X_EN: 1
; COMPUTE_PGM_RSRC2:TGID_Y_EN: 0
; COMPUTE_PGM_RSRC2:TGID_Z_EN: 0
; COMPUTE_PGM_RSRC2:TIDIG_COMP_CNT: 0
	.section	.text._ZN7rocprim17ROCPRIM_400000_NS6detail17trampoline_kernelINS0_14default_configENS1_38merge_sort_block_merge_config_selectorIjN6thrust23THRUST_200600_302600_NS5tupleIffNS6_9null_typeES8_S8_S8_S8_S8_S8_S8_EEEEZZNS1_27merge_sort_block_merge_implIS3_NS6_6detail15normal_iteratorINS6_10device_ptrIjEEEENSD_INSE_IS9_EEEEjNS1_19radix_merge_compareILb0ELb0EjNS0_19identity_decomposerEEEEE10hipError_tT0_T1_T2_jT3_P12ihipStream_tbPNSt15iterator_traitsISN_E10value_typeEPNST_ISO_E10value_typeEPSP_NS1_7vsmem_tEENKUlT_SN_SO_SP_E_clIPjSG_PS9_SI_EESM_S12_SN_SO_SP_EUlS12_E_NS1_11comp_targetILNS1_3genE4ELNS1_11target_archE910ELNS1_3gpuE8ELNS1_3repE0EEENS1_48merge_mergepath_partition_config_static_selectorELNS0_4arch9wavefront6targetE0EEEvSO_,"axG",@progbits,_ZN7rocprim17ROCPRIM_400000_NS6detail17trampoline_kernelINS0_14default_configENS1_38merge_sort_block_merge_config_selectorIjN6thrust23THRUST_200600_302600_NS5tupleIffNS6_9null_typeES8_S8_S8_S8_S8_S8_S8_EEEEZZNS1_27merge_sort_block_merge_implIS3_NS6_6detail15normal_iteratorINS6_10device_ptrIjEEEENSD_INSE_IS9_EEEEjNS1_19radix_merge_compareILb0ELb0EjNS0_19identity_decomposerEEEEE10hipError_tT0_T1_T2_jT3_P12ihipStream_tbPNSt15iterator_traitsISN_E10value_typeEPNST_ISO_E10value_typeEPSP_NS1_7vsmem_tEENKUlT_SN_SO_SP_E_clIPjSG_PS9_SI_EESM_S12_SN_SO_SP_EUlS12_E_NS1_11comp_targetILNS1_3genE4ELNS1_11target_archE910ELNS1_3gpuE8ELNS1_3repE0EEENS1_48merge_mergepath_partition_config_static_selectorELNS0_4arch9wavefront6targetE0EEEvSO_,comdat
	.protected	_ZN7rocprim17ROCPRIM_400000_NS6detail17trampoline_kernelINS0_14default_configENS1_38merge_sort_block_merge_config_selectorIjN6thrust23THRUST_200600_302600_NS5tupleIffNS6_9null_typeES8_S8_S8_S8_S8_S8_S8_EEEEZZNS1_27merge_sort_block_merge_implIS3_NS6_6detail15normal_iteratorINS6_10device_ptrIjEEEENSD_INSE_IS9_EEEEjNS1_19radix_merge_compareILb0ELb0EjNS0_19identity_decomposerEEEEE10hipError_tT0_T1_T2_jT3_P12ihipStream_tbPNSt15iterator_traitsISN_E10value_typeEPNST_ISO_E10value_typeEPSP_NS1_7vsmem_tEENKUlT_SN_SO_SP_E_clIPjSG_PS9_SI_EESM_S12_SN_SO_SP_EUlS12_E_NS1_11comp_targetILNS1_3genE4ELNS1_11target_archE910ELNS1_3gpuE8ELNS1_3repE0EEENS1_48merge_mergepath_partition_config_static_selectorELNS0_4arch9wavefront6targetE0EEEvSO_ ; -- Begin function _ZN7rocprim17ROCPRIM_400000_NS6detail17trampoline_kernelINS0_14default_configENS1_38merge_sort_block_merge_config_selectorIjN6thrust23THRUST_200600_302600_NS5tupleIffNS6_9null_typeES8_S8_S8_S8_S8_S8_S8_EEEEZZNS1_27merge_sort_block_merge_implIS3_NS6_6detail15normal_iteratorINS6_10device_ptrIjEEEENSD_INSE_IS9_EEEEjNS1_19radix_merge_compareILb0ELb0EjNS0_19identity_decomposerEEEEE10hipError_tT0_T1_T2_jT3_P12ihipStream_tbPNSt15iterator_traitsISN_E10value_typeEPNST_ISO_E10value_typeEPSP_NS1_7vsmem_tEENKUlT_SN_SO_SP_E_clIPjSG_PS9_SI_EESM_S12_SN_SO_SP_EUlS12_E_NS1_11comp_targetILNS1_3genE4ELNS1_11target_archE910ELNS1_3gpuE8ELNS1_3repE0EEENS1_48merge_mergepath_partition_config_static_selectorELNS0_4arch9wavefront6targetE0EEEvSO_
	.globl	_ZN7rocprim17ROCPRIM_400000_NS6detail17trampoline_kernelINS0_14default_configENS1_38merge_sort_block_merge_config_selectorIjN6thrust23THRUST_200600_302600_NS5tupleIffNS6_9null_typeES8_S8_S8_S8_S8_S8_S8_EEEEZZNS1_27merge_sort_block_merge_implIS3_NS6_6detail15normal_iteratorINS6_10device_ptrIjEEEENSD_INSE_IS9_EEEEjNS1_19radix_merge_compareILb0ELb0EjNS0_19identity_decomposerEEEEE10hipError_tT0_T1_T2_jT3_P12ihipStream_tbPNSt15iterator_traitsISN_E10value_typeEPNST_ISO_E10value_typeEPSP_NS1_7vsmem_tEENKUlT_SN_SO_SP_E_clIPjSG_PS9_SI_EESM_S12_SN_SO_SP_EUlS12_E_NS1_11comp_targetILNS1_3genE4ELNS1_11target_archE910ELNS1_3gpuE8ELNS1_3repE0EEENS1_48merge_mergepath_partition_config_static_selectorELNS0_4arch9wavefront6targetE0EEEvSO_
	.p2align	8
	.type	_ZN7rocprim17ROCPRIM_400000_NS6detail17trampoline_kernelINS0_14default_configENS1_38merge_sort_block_merge_config_selectorIjN6thrust23THRUST_200600_302600_NS5tupleIffNS6_9null_typeES8_S8_S8_S8_S8_S8_S8_EEEEZZNS1_27merge_sort_block_merge_implIS3_NS6_6detail15normal_iteratorINS6_10device_ptrIjEEEENSD_INSE_IS9_EEEEjNS1_19radix_merge_compareILb0ELb0EjNS0_19identity_decomposerEEEEE10hipError_tT0_T1_T2_jT3_P12ihipStream_tbPNSt15iterator_traitsISN_E10value_typeEPNST_ISO_E10value_typeEPSP_NS1_7vsmem_tEENKUlT_SN_SO_SP_E_clIPjSG_PS9_SI_EESM_S12_SN_SO_SP_EUlS12_E_NS1_11comp_targetILNS1_3genE4ELNS1_11target_archE910ELNS1_3gpuE8ELNS1_3repE0EEENS1_48merge_mergepath_partition_config_static_selectorELNS0_4arch9wavefront6targetE0EEEvSO_,@function
_ZN7rocprim17ROCPRIM_400000_NS6detail17trampoline_kernelINS0_14default_configENS1_38merge_sort_block_merge_config_selectorIjN6thrust23THRUST_200600_302600_NS5tupleIffNS6_9null_typeES8_S8_S8_S8_S8_S8_S8_EEEEZZNS1_27merge_sort_block_merge_implIS3_NS6_6detail15normal_iteratorINS6_10device_ptrIjEEEENSD_INSE_IS9_EEEEjNS1_19radix_merge_compareILb0ELb0EjNS0_19identity_decomposerEEEEE10hipError_tT0_T1_T2_jT3_P12ihipStream_tbPNSt15iterator_traitsISN_E10value_typeEPNST_ISO_E10value_typeEPSP_NS1_7vsmem_tEENKUlT_SN_SO_SP_E_clIPjSG_PS9_SI_EESM_S12_SN_SO_SP_EUlS12_E_NS1_11comp_targetILNS1_3genE4ELNS1_11target_archE910ELNS1_3gpuE8ELNS1_3repE0EEENS1_48merge_mergepath_partition_config_static_selectorELNS0_4arch9wavefront6targetE0EEEvSO_: ; @_ZN7rocprim17ROCPRIM_400000_NS6detail17trampoline_kernelINS0_14default_configENS1_38merge_sort_block_merge_config_selectorIjN6thrust23THRUST_200600_302600_NS5tupleIffNS6_9null_typeES8_S8_S8_S8_S8_S8_S8_EEEEZZNS1_27merge_sort_block_merge_implIS3_NS6_6detail15normal_iteratorINS6_10device_ptrIjEEEENSD_INSE_IS9_EEEEjNS1_19radix_merge_compareILb0ELb0EjNS0_19identity_decomposerEEEEE10hipError_tT0_T1_T2_jT3_P12ihipStream_tbPNSt15iterator_traitsISN_E10value_typeEPNST_ISO_E10value_typeEPSP_NS1_7vsmem_tEENKUlT_SN_SO_SP_E_clIPjSG_PS9_SI_EESM_S12_SN_SO_SP_EUlS12_E_NS1_11comp_targetILNS1_3genE4ELNS1_11target_archE910ELNS1_3gpuE8ELNS1_3repE0EEENS1_48merge_mergepath_partition_config_static_selectorELNS0_4arch9wavefront6targetE0EEEvSO_
; %bb.0:
	.section	.rodata,"a",@progbits
	.p2align	6, 0x0
	.amdhsa_kernel _ZN7rocprim17ROCPRIM_400000_NS6detail17trampoline_kernelINS0_14default_configENS1_38merge_sort_block_merge_config_selectorIjN6thrust23THRUST_200600_302600_NS5tupleIffNS6_9null_typeES8_S8_S8_S8_S8_S8_S8_EEEEZZNS1_27merge_sort_block_merge_implIS3_NS6_6detail15normal_iteratorINS6_10device_ptrIjEEEENSD_INSE_IS9_EEEEjNS1_19radix_merge_compareILb0ELb0EjNS0_19identity_decomposerEEEEE10hipError_tT0_T1_T2_jT3_P12ihipStream_tbPNSt15iterator_traitsISN_E10value_typeEPNST_ISO_E10value_typeEPSP_NS1_7vsmem_tEENKUlT_SN_SO_SP_E_clIPjSG_PS9_SI_EESM_S12_SN_SO_SP_EUlS12_E_NS1_11comp_targetILNS1_3genE4ELNS1_11target_archE910ELNS1_3gpuE8ELNS1_3repE0EEENS1_48merge_mergepath_partition_config_static_selectorELNS0_4arch9wavefront6targetE0EEEvSO_
		.amdhsa_group_segment_fixed_size 0
		.amdhsa_private_segment_fixed_size 0
		.amdhsa_kernarg_size 40
		.amdhsa_user_sgpr_count 2
		.amdhsa_user_sgpr_dispatch_ptr 0
		.amdhsa_user_sgpr_queue_ptr 0
		.amdhsa_user_sgpr_kernarg_segment_ptr 1
		.amdhsa_user_sgpr_dispatch_id 0
		.amdhsa_user_sgpr_private_segment_size 0
		.amdhsa_wavefront_size32 1
		.amdhsa_uses_dynamic_stack 0
		.amdhsa_enable_private_segment 0
		.amdhsa_system_sgpr_workgroup_id_x 1
		.amdhsa_system_sgpr_workgroup_id_y 0
		.amdhsa_system_sgpr_workgroup_id_z 0
		.amdhsa_system_sgpr_workgroup_info 0
		.amdhsa_system_vgpr_workitem_id 0
		.amdhsa_next_free_vgpr 1
		.amdhsa_next_free_sgpr 1
		.amdhsa_reserve_vcc 0
		.amdhsa_float_round_mode_32 0
		.amdhsa_float_round_mode_16_64 0
		.amdhsa_float_denorm_mode_32 3
		.amdhsa_float_denorm_mode_16_64 3
		.amdhsa_fp16_overflow 0
		.amdhsa_workgroup_processor_mode 1
		.amdhsa_memory_ordered 1
		.amdhsa_forward_progress 1
		.amdhsa_inst_pref_size 0
		.amdhsa_round_robin_scheduling 0
		.amdhsa_exception_fp_ieee_invalid_op 0
		.amdhsa_exception_fp_denorm_src 0
		.amdhsa_exception_fp_ieee_div_zero 0
		.amdhsa_exception_fp_ieee_overflow 0
		.amdhsa_exception_fp_ieee_underflow 0
		.amdhsa_exception_fp_ieee_inexact 0
		.amdhsa_exception_int_div_zero 0
	.end_amdhsa_kernel
	.section	.text._ZN7rocprim17ROCPRIM_400000_NS6detail17trampoline_kernelINS0_14default_configENS1_38merge_sort_block_merge_config_selectorIjN6thrust23THRUST_200600_302600_NS5tupleIffNS6_9null_typeES8_S8_S8_S8_S8_S8_S8_EEEEZZNS1_27merge_sort_block_merge_implIS3_NS6_6detail15normal_iteratorINS6_10device_ptrIjEEEENSD_INSE_IS9_EEEEjNS1_19radix_merge_compareILb0ELb0EjNS0_19identity_decomposerEEEEE10hipError_tT0_T1_T2_jT3_P12ihipStream_tbPNSt15iterator_traitsISN_E10value_typeEPNST_ISO_E10value_typeEPSP_NS1_7vsmem_tEENKUlT_SN_SO_SP_E_clIPjSG_PS9_SI_EESM_S12_SN_SO_SP_EUlS12_E_NS1_11comp_targetILNS1_3genE4ELNS1_11target_archE910ELNS1_3gpuE8ELNS1_3repE0EEENS1_48merge_mergepath_partition_config_static_selectorELNS0_4arch9wavefront6targetE0EEEvSO_,"axG",@progbits,_ZN7rocprim17ROCPRIM_400000_NS6detail17trampoline_kernelINS0_14default_configENS1_38merge_sort_block_merge_config_selectorIjN6thrust23THRUST_200600_302600_NS5tupleIffNS6_9null_typeES8_S8_S8_S8_S8_S8_S8_EEEEZZNS1_27merge_sort_block_merge_implIS3_NS6_6detail15normal_iteratorINS6_10device_ptrIjEEEENSD_INSE_IS9_EEEEjNS1_19radix_merge_compareILb0ELb0EjNS0_19identity_decomposerEEEEE10hipError_tT0_T1_T2_jT3_P12ihipStream_tbPNSt15iterator_traitsISN_E10value_typeEPNST_ISO_E10value_typeEPSP_NS1_7vsmem_tEENKUlT_SN_SO_SP_E_clIPjSG_PS9_SI_EESM_S12_SN_SO_SP_EUlS12_E_NS1_11comp_targetILNS1_3genE4ELNS1_11target_archE910ELNS1_3gpuE8ELNS1_3repE0EEENS1_48merge_mergepath_partition_config_static_selectorELNS0_4arch9wavefront6targetE0EEEvSO_,comdat
.Lfunc_end28:
	.size	_ZN7rocprim17ROCPRIM_400000_NS6detail17trampoline_kernelINS0_14default_configENS1_38merge_sort_block_merge_config_selectorIjN6thrust23THRUST_200600_302600_NS5tupleIffNS6_9null_typeES8_S8_S8_S8_S8_S8_S8_EEEEZZNS1_27merge_sort_block_merge_implIS3_NS6_6detail15normal_iteratorINS6_10device_ptrIjEEEENSD_INSE_IS9_EEEEjNS1_19radix_merge_compareILb0ELb0EjNS0_19identity_decomposerEEEEE10hipError_tT0_T1_T2_jT3_P12ihipStream_tbPNSt15iterator_traitsISN_E10value_typeEPNST_ISO_E10value_typeEPSP_NS1_7vsmem_tEENKUlT_SN_SO_SP_E_clIPjSG_PS9_SI_EESM_S12_SN_SO_SP_EUlS12_E_NS1_11comp_targetILNS1_3genE4ELNS1_11target_archE910ELNS1_3gpuE8ELNS1_3repE0EEENS1_48merge_mergepath_partition_config_static_selectorELNS0_4arch9wavefront6targetE0EEEvSO_, .Lfunc_end28-_ZN7rocprim17ROCPRIM_400000_NS6detail17trampoline_kernelINS0_14default_configENS1_38merge_sort_block_merge_config_selectorIjN6thrust23THRUST_200600_302600_NS5tupleIffNS6_9null_typeES8_S8_S8_S8_S8_S8_S8_EEEEZZNS1_27merge_sort_block_merge_implIS3_NS6_6detail15normal_iteratorINS6_10device_ptrIjEEEENSD_INSE_IS9_EEEEjNS1_19radix_merge_compareILb0ELb0EjNS0_19identity_decomposerEEEEE10hipError_tT0_T1_T2_jT3_P12ihipStream_tbPNSt15iterator_traitsISN_E10value_typeEPNST_ISO_E10value_typeEPSP_NS1_7vsmem_tEENKUlT_SN_SO_SP_E_clIPjSG_PS9_SI_EESM_S12_SN_SO_SP_EUlS12_E_NS1_11comp_targetILNS1_3genE4ELNS1_11target_archE910ELNS1_3gpuE8ELNS1_3repE0EEENS1_48merge_mergepath_partition_config_static_selectorELNS0_4arch9wavefront6targetE0EEEvSO_
                                        ; -- End function
	.set _ZN7rocprim17ROCPRIM_400000_NS6detail17trampoline_kernelINS0_14default_configENS1_38merge_sort_block_merge_config_selectorIjN6thrust23THRUST_200600_302600_NS5tupleIffNS6_9null_typeES8_S8_S8_S8_S8_S8_S8_EEEEZZNS1_27merge_sort_block_merge_implIS3_NS6_6detail15normal_iteratorINS6_10device_ptrIjEEEENSD_INSE_IS9_EEEEjNS1_19radix_merge_compareILb0ELb0EjNS0_19identity_decomposerEEEEE10hipError_tT0_T1_T2_jT3_P12ihipStream_tbPNSt15iterator_traitsISN_E10value_typeEPNST_ISO_E10value_typeEPSP_NS1_7vsmem_tEENKUlT_SN_SO_SP_E_clIPjSG_PS9_SI_EESM_S12_SN_SO_SP_EUlS12_E_NS1_11comp_targetILNS1_3genE4ELNS1_11target_archE910ELNS1_3gpuE8ELNS1_3repE0EEENS1_48merge_mergepath_partition_config_static_selectorELNS0_4arch9wavefront6targetE0EEEvSO_.num_vgpr, 0
	.set _ZN7rocprim17ROCPRIM_400000_NS6detail17trampoline_kernelINS0_14default_configENS1_38merge_sort_block_merge_config_selectorIjN6thrust23THRUST_200600_302600_NS5tupleIffNS6_9null_typeES8_S8_S8_S8_S8_S8_S8_EEEEZZNS1_27merge_sort_block_merge_implIS3_NS6_6detail15normal_iteratorINS6_10device_ptrIjEEEENSD_INSE_IS9_EEEEjNS1_19radix_merge_compareILb0ELb0EjNS0_19identity_decomposerEEEEE10hipError_tT0_T1_T2_jT3_P12ihipStream_tbPNSt15iterator_traitsISN_E10value_typeEPNST_ISO_E10value_typeEPSP_NS1_7vsmem_tEENKUlT_SN_SO_SP_E_clIPjSG_PS9_SI_EESM_S12_SN_SO_SP_EUlS12_E_NS1_11comp_targetILNS1_3genE4ELNS1_11target_archE910ELNS1_3gpuE8ELNS1_3repE0EEENS1_48merge_mergepath_partition_config_static_selectorELNS0_4arch9wavefront6targetE0EEEvSO_.num_agpr, 0
	.set _ZN7rocprim17ROCPRIM_400000_NS6detail17trampoline_kernelINS0_14default_configENS1_38merge_sort_block_merge_config_selectorIjN6thrust23THRUST_200600_302600_NS5tupleIffNS6_9null_typeES8_S8_S8_S8_S8_S8_S8_EEEEZZNS1_27merge_sort_block_merge_implIS3_NS6_6detail15normal_iteratorINS6_10device_ptrIjEEEENSD_INSE_IS9_EEEEjNS1_19radix_merge_compareILb0ELb0EjNS0_19identity_decomposerEEEEE10hipError_tT0_T1_T2_jT3_P12ihipStream_tbPNSt15iterator_traitsISN_E10value_typeEPNST_ISO_E10value_typeEPSP_NS1_7vsmem_tEENKUlT_SN_SO_SP_E_clIPjSG_PS9_SI_EESM_S12_SN_SO_SP_EUlS12_E_NS1_11comp_targetILNS1_3genE4ELNS1_11target_archE910ELNS1_3gpuE8ELNS1_3repE0EEENS1_48merge_mergepath_partition_config_static_selectorELNS0_4arch9wavefront6targetE0EEEvSO_.numbered_sgpr, 0
	.set _ZN7rocprim17ROCPRIM_400000_NS6detail17trampoline_kernelINS0_14default_configENS1_38merge_sort_block_merge_config_selectorIjN6thrust23THRUST_200600_302600_NS5tupleIffNS6_9null_typeES8_S8_S8_S8_S8_S8_S8_EEEEZZNS1_27merge_sort_block_merge_implIS3_NS6_6detail15normal_iteratorINS6_10device_ptrIjEEEENSD_INSE_IS9_EEEEjNS1_19radix_merge_compareILb0ELb0EjNS0_19identity_decomposerEEEEE10hipError_tT0_T1_T2_jT3_P12ihipStream_tbPNSt15iterator_traitsISN_E10value_typeEPNST_ISO_E10value_typeEPSP_NS1_7vsmem_tEENKUlT_SN_SO_SP_E_clIPjSG_PS9_SI_EESM_S12_SN_SO_SP_EUlS12_E_NS1_11comp_targetILNS1_3genE4ELNS1_11target_archE910ELNS1_3gpuE8ELNS1_3repE0EEENS1_48merge_mergepath_partition_config_static_selectorELNS0_4arch9wavefront6targetE0EEEvSO_.num_named_barrier, 0
	.set _ZN7rocprim17ROCPRIM_400000_NS6detail17trampoline_kernelINS0_14default_configENS1_38merge_sort_block_merge_config_selectorIjN6thrust23THRUST_200600_302600_NS5tupleIffNS6_9null_typeES8_S8_S8_S8_S8_S8_S8_EEEEZZNS1_27merge_sort_block_merge_implIS3_NS6_6detail15normal_iteratorINS6_10device_ptrIjEEEENSD_INSE_IS9_EEEEjNS1_19radix_merge_compareILb0ELb0EjNS0_19identity_decomposerEEEEE10hipError_tT0_T1_T2_jT3_P12ihipStream_tbPNSt15iterator_traitsISN_E10value_typeEPNST_ISO_E10value_typeEPSP_NS1_7vsmem_tEENKUlT_SN_SO_SP_E_clIPjSG_PS9_SI_EESM_S12_SN_SO_SP_EUlS12_E_NS1_11comp_targetILNS1_3genE4ELNS1_11target_archE910ELNS1_3gpuE8ELNS1_3repE0EEENS1_48merge_mergepath_partition_config_static_selectorELNS0_4arch9wavefront6targetE0EEEvSO_.private_seg_size, 0
	.set _ZN7rocprim17ROCPRIM_400000_NS6detail17trampoline_kernelINS0_14default_configENS1_38merge_sort_block_merge_config_selectorIjN6thrust23THRUST_200600_302600_NS5tupleIffNS6_9null_typeES8_S8_S8_S8_S8_S8_S8_EEEEZZNS1_27merge_sort_block_merge_implIS3_NS6_6detail15normal_iteratorINS6_10device_ptrIjEEEENSD_INSE_IS9_EEEEjNS1_19radix_merge_compareILb0ELb0EjNS0_19identity_decomposerEEEEE10hipError_tT0_T1_T2_jT3_P12ihipStream_tbPNSt15iterator_traitsISN_E10value_typeEPNST_ISO_E10value_typeEPSP_NS1_7vsmem_tEENKUlT_SN_SO_SP_E_clIPjSG_PS9_SI_EESM_S12_SN_SO_SP_EUlS12_E_NS1_11comp_targetILNS1_3genE4ELNS1_11target_archE910ELNS1_3gpuE8ELNS1_3repE0EEENS1_48merge_mergepath_partition_config_static_selectorELNS0_4arch9wavefront6targetE0EEEvSO_.uses_vcc, 0
	.set _ZN7rocprim17ROCPRIM_400000_NS6detail17trampoline_kernelINS0_14default_configENS1_38merge_sort_block_merge_config_selectorIjN6thrust23THRUST_200600_302600_NS5tupleIffNS6_9null_typeES8_S8_S8_S8_S8_S8_S8_EEEEZZNS1_27merge_sort_block_merge_implIS3_NS6_6detail15normal_iteratorINS6_10device_ptrIjEEEENSD_INSE_IS9_EEEEjNS1_19radix_merge_compareILb0ELb0EjNS0_19identity_decomposerEEEEE10hipError_tT0_T1_T2_jT3_P12ihipStream_tbPNSt15iterator_traitsISN_E10value_typeEPNST_ISO_E10value_typeEPSP_NS1_7vsmem_tEENKUlT_SN_SO_SP_E_clIPjSG_PS9_SI_EESM_S12_SN_SO_SP_EUlS12_E_NS1_11comp_targetILNS1_3genE4ELNS1_11target_archE910ELNS1_3gpuE8ELNS1_3repE0EEENS1_48merge_mergepath_partition_config_static_selectorELNS0_4arch9wavefront6targetE0EEEvSO_.uses_flat_scratch, 0
	.set _ZN7rocprim17ROCPRIM_400000_NS6detail17trampoline_kernelINS0_14default_configENS1_38merge_sort_block_merge_config_selectorIjN6thrust23THRUST_200600_302600_NS5tupleIffNS6_9null_typeES8_S8_S8_S8_S8_S8_S8_EEEEZZNS1_27merge_sort_block_merge_implIS3_NS6_6detail15normal_iteratorINS6_10device_ptrIjEEEENSD_INSE_IS9_EEEEjNS1_19radix_merge_compareILb0ELb0EjNS0_19identity_decomposerEEEEE10hipError_tT0_T1_T2_jT3_P12ihipStream_tbPNSt15iterator_traitsISN_E10value_typeEPNST_ISO_E10value_typeEPSP_NS1_7vsmem_tEENKUlT_SN_SO_SP_E_clIPjSG_PS9_SI_EESM_S12_SN_SO_SP_EUlS12_E_NS1_11comp_targetILNS1_3genE4ELNS1_11target_archE910ELNS1_3gpuE8ELNS1_3repE0EEENS1_48merge_mergepath_partition_config_static_selectorELNS0_4arch9wavefront6targetE0EEEvSO_.has_dyn_sized_stack, 0
	.set _ZN7rocprim17ROCPRIM_400000_NS6detail17trampoline_kernelINS0_14default_configENS1_38merge_sort_block_merge_config_selectorIjN6thrust23THRUST_200600_302600_NS5tupleIffNS6_9null_typeES8_S8_S8_S8_S8_S8_S8_EEEEZZNS1_27merge_sort_block_merge_implIS3_NS6_6detail15normal_iteratorINS6_10device_ptrIjEEEENSD_INSE_IS9_EEEEjNS1_19radix_merge_compareILb0ELb0EjNS0_19identity_decomposerEEEEE10hipError_tT0_T1_T2_jT3_P12ihipStream_tbPNSt15iterator_traitsISN_E10value_typeEPNST_ISO_E10value_typeEPSP_NS1_7vsmem_tEENKUlT_SN_SO_SP_E_clIPjSG_PS9_SI_EESM_S12_SN_SO_SP_EUlS12_E_NS1_11comp_targetILNS1_3genE4ELNS1_11target_archE910ELNS1_3gpuE8ELNS1_3repE0EEENS1_48merge_mergepath_partition_config_static_selectorELNS0_4arch9wavefront6targetE0EEEvSO_.has_recursion, 0
	.set _ZN7rocprim17ROCPRIM_400000_NS6detail17trampoline_kernelINS0_14default_configENS1_38merge_sort_block_merge_config_selectorIjN6thrust23THRUST_200600_302600_NS5tupleIffNS6_9null_typeES8_S8_S8_S8_S8_S8_S8_EEEEZZNS1_27merge_sort_block_merge_implIS3_NS6_6detail15normal_iteratorINS6_10device_ptrIjEEEENSD_INSE_IS9_EEEEjNS1_19radix_merge_compareILb0ELb0EjNS0_19identity_decomposerEEEEE10hipError_tT0_T1_T2_jT3_P12ihipStream_tbPNSt15iterator_traitsISN_E10value_typeEPNST_ISO_E10value_typeEPSP_NS1_7vsmem_tEENKUlT_SN_SO_SP_E_clIPjSG_PS9_SI_EESM_S12_SN_SO_SP_EUlS12_E_NS1_11comp_targetILNS1_3genE4ELNS1_11target_archE910ELNS1_3gpuE8ELNS1_3repE0EEENS1_48merge_mergepath_partition_config_static_selectorELNS0_4arch9wavefront6targetE0EEEvSO_.has_indirect_call, 0
	.section	.AMDGPU.csdata,"",@progbits
; Kernel info:
; codeLenInByte = 0
; TotalNumSgprs: 0
; NumVgprs: 0
; ScratchSize: 0
; MemoryBound: 0
; FloatMode: 240
; IeeeMode: 1
; LDSByteSize: 0 bytes/workgroup (compile time only)
; SGPRBlocks: 0
; VGPRBlocks: 0
; NumSGPRsForWavesPerEU: 1
; NumVGPRsForWavesPerEU: 1
; Occupancy: 16
; WaveLimiterHint : 0
; COMPUTE_PGM_RSRC2:SCRATCH_EN: 0
; COMPUTE_PGM_RSRC2:USER_SGPR: 2
; COMPUTE_PGM_RSRC2:TRAP_HANDLER: 0
; COMPUTE_PGM_RSRC2:TGID_X_EN: 1
; COMPUTE_PGM_RSRC2:TGID_Y_EN: 0
; COMPUTE_PGM_RSRC2:TGID_Z_EN: 0
; COMPUTE_PGM_RSRC2:TIDIG_COMP_CNT: 0
	.section	.text._ZN7rocprim17ROCPRIM_400000_NS6detail17trampoline_kernelINS0_14default_configENS1_38merge_sort_block_merge_config_selectorIjN6thrust23THRUST_200600_302600_NS5tupleIffNS6_9null_typeES8_S8_S8_S8_S8_S8_S8_EEEEZZNS1_27merge_sort_block_merge_implIS3_NS6_6detail15normal_iteratorINS6_10device_ptrIjEEEENSD_INSE_IS9_EEEEjNS1_19radix_merge_compareILb0ELb0EjNS0_19identity_decomposerEEEEE10hipError_tT0_T1_T2_jT3_P12ihipStream_tbPNSt15iterator_traitsISN_E10value_typeEPNST_ISO_E10value_typeEPSP_NS1_7vsmem_tEENKUlT_SN_SO_SP_E_clIPjSG_PS9_SI_EESM_S12_SN_SO_SP_EUlS12_E_NS1_11comp_targetILNS1_3genE3ELNS1_11target_archE908ELNS1_3gpuE7ELNS1_3repE0EEENS1_48merge_mergepath_partition_config_static_selectorELNS0_4arch9wavefront6targetE0EEEvSO_,"axG",@progbits,_ZN7rocprim17ROCPRIM_400000_NS6detail17trampoline_kernelINS0_14default_configENS1_38merge_sort_block_merge_config_selectorIjN6thrust23THRUST_200600_302600_NS5tupleIffNS6_9null_typeES8_S8_S8_S8_S8_S8_S8_EEEEZZNS1_27merge_sort_block_merge_implIS3_NS6_6detail15normal_iteratorINS6_10device_ptrIjEEEENSD_INSE_IS9_EEEEjNS1_19radix_merge_compareILb0ELb0EjNS0_19identity_decomposerEEEEE10hipError_tT0_T1_T2_jT3_P12ihipStream_tbPNSt15iterator_traitsISN_E10value_typeEPNST_ISO_E10value_typeEPSP_NS1_7vsmem_tEENKUlT_SN_SO_SP_E_clIPjSG_PS9_SI_EESM_S12_SN_SO_SP_EUlS12_E_NS1_11comp_targetILNS1_3genE3ELNS1_11target_archE908ELNS1_3gpuE7ELNS1_3repE0EEENS1_48merge_mergepath_partition_config_static_selectorELNS0_4arch9wavefront6targetE0EEEvSO_,comdat
	.protected	_ZN7rocprim17ROCPRIM_400000_NS6detail17trampoline_kernelINS0_14default_configENS1_38merge_sort_block_merge_config_selectorIjN6thrust23THRUST_200600_302600_NS5tupleIffNS6_9null_typeES8_S8_S8_S8_S8_S8_S8_EEEEZZNS1_27merge_sort_block_merge_implIS3_NS6_6detail15normal_iteratorINS6_10device_ptrIjEEEENSD_INSE_IS9_EEEEjNS1_19radix_merge_compareILb0ELb0EjNS0_19identity_decomposerEEEEE10hipError_tT0_T1_T2_jT3_P12ihipStream_tbPNSt15iterator_traitsISN_E10value_typeEPNST_ISO_E10value_typeEPSP_NS1_7vsmem_tEENKUlT_SN_SO_SP_E_clIPjSG_PS9_SI_EESM_S12_SN_SO_SP_EUlS12_E_NS1_11comp_targetILNS1_3genE3ELNS1_11target_archE908ELNS1_3gpuE7ELNS1_3repE0EEENS1_48merge_mergepath_partition_config_static_selectorELNS0_4arch9wavefront6targetE0EEEvSO_ ; -- Begin function _ZN7rocprim17ROCPRIM_400000_NS6detail17trampoline_kernelINS0_14default_configENS1_38merge_sort_block_merge_config_selectorIjN6thrust23THRUST_200600_302600_NS5tupleIffNS6_9null_typeES8_S8_S8_S8_S8_S8_S8_EEEEZZNS1_27merge_sort_block_merge_implIS3_NS6_6detail15normal_iteratorINS6_10device_ptrIjEEEENSD_INSE_IS9_EEEEjNS1_19radix_merge_compareILb0ELb0EjNS0_19identity_decomposerEEEEE10hipError_tT0_T1_T2_jT3_P12ihipStream_tbPNSt15iterator_traitsISN_E10value_typeEPNST_ISO_E10value_typeEPSP_NS1_7vsmem_tEENKUlT_SN_SO_SP_E_clIPjSG_PS9_SI_EESM_S12_SN_SO_SP_EUlS12_E_NS1_11comp_targetILNS1_3genE3ELNS1_11target_archE908ELNS1_3gpuE7ELNS1_3repE0EEENS1_48merge_mergepath_partition_config_static_selectorELNS0_4arch9wavefront6targetE0EEEvSO_
	.globl	_ZN7rocprim17ROCPRIM_400000_NS6detail17trampoline_kernelINS0_14default_configENS1_38merge_sort_block_merge_config_selectorIjN6thrust23THRUST_200600_302600_NS5tupleIffNS6_9null_typeES8_S8_S8_S8_S8_S8_S8_EEEEZZNS1_27merge_sort_block_merge_implIS3_NS6_6detail15normal_iteratorINS6_10device_ptrIjEEEENSD_INSE_IS9_EEEEjNS1_19radix_merge_compareILb0ELb0EjNS0_19identity_decomposerEEEEE10hipError_tT0_T1_T2_jT3_P12ihipStream_tbPNSt15iterator_traitsISN_E10value_typeEPNST_ISO_E10value_typeEPSP_NS1_7vsmem_tEENKUlT_SN_SO_SP_E_clIPjSG_PS9_SI_EESM_S12_SN_SO_SP_EUlS12_E_NS1_11comp_targetILNS1_3genE3ELNS1_11target_archE908ELNS1_3gpuE7ELNS1_3repE0EEENS1_48merge_mergepath_partition_config_static_selectorELNS0_4arch9wavefront6targetE0EEEvSO_
	.p2align	8
	.type	_ZN7rocprim17ROCPRIM_400000_NS6detail17trampoline_kernelINS0_14default_configENS1_38merge_sort_block_merge_config_selectorIjN6thrust23THRUST_200600_302600_NS5tupleIffNS6_9null_typeES8_S8_S8_S8_S8_S8_S8_EEEEZZNS1_27merge_sort_block_merge_implIS3_NS6_6detail15normal_iteratorINS6_10device_ptrIjEEEENSD_INSE_IS9_EEEEjNS1_19radix_merge_compareILb0ELb0EjNS0_19identity_decomposerEEEEE10hipError_tT0_T1_T2_jT3_P12ihipStream_tbPNSt15iterator_traitsISN_E10value_typeEPNST_ISO_E10value_typeEPSP_NS1_7vsmem_tEENKUlT_SN_SO_SP_E_clIPjSG_PS9_SI_EESM_S12_SN_SO_SP_EUlS12_E_NS1_11comp_targetILNS1_3genE3ELNS1_11target_archE908ELNS1_3gpuE7ELNS1_3repE0EEENS1_48merge_mergepath_partition_config_static_selectorELNS0_4arch9wavefront6targetE0EEEvSO_,@function
_ZN7rocprim17ROCPRIM_400000_NS6detail17trampoline_kernelINS0_14default_configENS1_38merge_sort_block_merge_config_selectorIjN6thrust23THRUST_200600_302600_NS5tupleIffNS6_9null_typeES8_S8_S8_S8_S8_S8_S8_EEEEZZNS1_27merge_sort_block_merge_implIS3_NS6_6detail15normal_iteratorINS6_10device_ptrIjEEEENSD_INSE_IS9_EEEEjNS1_19radix_merge_compareILb0ELb0EjNS0_19identity_decomposerEEEEE10hipError_tT0_T1_T2_jT3_P12ihipStream_tbPNSt15iterator_traitsISN_E10value_typeEPNST_ISO_E10value_typeEPSP_NS1_7vsmem_tEENKUlT_SN_SO_SP_E_clIPjSG_PS9_SI_EESM_S12_SN_SO_SP_EUlS12_E_NS1_11comp_targetILNS1_3genE3ELNS1_11target_archE908ELNS1_3gpuE7ELNS1_3repE0EEENS1_48merge_mergepath_partition_config_static_selectorELNS0_4arch9wavefront6targetE0EEEvSO_: ; @_ZN7rocprim17ROCPRIM_400000_NS6detail17trampoline_kernelINS0_14default_configENS1_38merge_sort_block_merge_config_selectorIjN6thrust23THRUST_200600_302600_NS5tupleIffNS6_9null_typeES8_S8_S8_S8_S8_S8_S8_EEEEZZNS1_27merge_sort_block_merge_implIS3_NS6_6detail15normal_iteratorINS6_10device_ptrIjEEEENSD_INSE_IS9_EEEEjNS1_19radix_merge_compareILb0ELb0EjNS0_19identity_decomposerEEEEE10hipError_tT0_T1_T2_jT3_P12ihipStream_tbPNSt15iterator_traitsISN_E10value_typeEPNST_ISO_E10value_typeEPSP_NS1_7vsmem_tEENKUlT_SN_SO_SP_E_clIPjSG_PS9_SI_EESM_S12_SN_SO_SP_EUlS12_E_NS1_11comp_targetILNS1_3genE3ELNS1_11target_archE908ELNS1_3gpuE7ELNS1_3repE0EEENS1_48merge_mergepath_partition_config_static_selectorELNS0_4arch9wavefront6targetE0EEEvSO_
; %bb.0:
	.section	.rodata,"a",@progbits
	.p2align	6, 0x0
	.amdhsa_kernel _ZN7rocprim17ROCPRIM_400000_NS6detail17trampoline_kernelINS0_14default_configENS1_38merge_sort_block_merge_config_selectorIjN6thrust23THRUST_200600_302600_NS5tupleIffNS6_9null_typeES8_S8_S8_S8_S8_S8_S8_EEEEZZNS1_27merge_sort_block_merge_implIS3_NS6_6detail15normal_iteratorINS6_10device_ptrIjEEEENSD_INSE_IS9_EEEEjNS1_19radix_merge_compareILb0ELb0EjNS0_19identity_decomposerEEEEE10hipError_tT0_T1_T2_jT3_P12ihipStream_tbPNSt15iterator_traitsISN_E10value_typeEPNST_ISO_E10value_typeEPSP_NS1_7vsmem_tEENKUlT_SN_SO_SP_E_clIPjSG_PS9_SI_EESM_S12_SN_SO_SP_EUlS12_E_NS1_11comp_targetILNS1_3genE3ELNS1_11target_archE908ELNS1_3gpuE7ELNS1_3repE0EEENS1_48merge_mergepath_partition_config_static_selectorELNS0_4arch9wavefront6targetE0EEEvSO_
		.amdhsa_group_segment_fixed_size 0
		.amdhsa_private_segment_fixed_size 0
		.amdhsa_kernarg_size 40
		.amdhsa_user_sgpr_count 2
		.amdhsa_user_sgpr_dispatch_ptr 0
		.amdhsa_user_sgpr_queue_ptr 0
		.amdhsa_user_sgpr_kernarg_segment_ptr 1
		.amdhsa_user_sgpr_dispatch_id 0
		.amdhsa_user_sgpr_private_segment_size 0
		.amdhsa_wavefront_size32 1
		.amdhsa_uses_dynamic_stack 0
		.amdhsa_enable_private_segment 0
		.amdhsa_system_sgpr_workgroup_id_x 1
		.amdhsa_system_sgpr_workgroup_id_y 0
		.amdhsa_system_sgpr_workgroup_id_z 0
		.amdhsa_system_sgpr_workgroup_info 0
		.amdhsa_system_vgpr_workitem_id 0
		.amdhsa_next_free_vgpr 1
		.amdhsa_next_free_sgpr 1
		.amdhsa_reserve_vcc 0
		.amdhsa_float_round_mode_32 0
		.amdhsa_float_round_mode_16_64 0
		.amdhsa_float_denorm_mode_32 3
		.amdhsa_float_denorm_mode_16_64 3
		.amdhsa_fp16_overflow 0
		.amdhsa_workgroup_processor_mode 1
		.amdhsa_memory_ordered 1
		.amdhsa_forward_progress 1
		.amdhsa_inst_pref_size 0
		.amdhsa_round_robin_scheduling 0
		.amdhsa_exception_fp_ieee_invalid_op 0
		.amdhsa_exception_fp_denorm_src 0
		.amdhsa_exception_fp_ieee_div_zero 0
		.amdhsa_exception_fp_ieee_overflow 0
		.amdhsa_exception_fp_ieee_underflow 0
		.amdhsa_exception_fp_ieee_inexact 0
		.amdhsa_exception_int_div_zero 0
	.end_amdhsa_kernel
	.section	.text._ZN7rocprim17ROCPRIM_400000_NS6detail17trampoline_kernelINS0_14default_configENS1_38merge_sort_block_merge_config_selectorIjN6thrust23THRUST_200600_302600_NS5tupleIffNS6_9null_typeES8_S8_S8_S8_S8_S8_S8_EEEEZZNS1_27merge_sort_block_merge_implIS3_NS6_6detail15normal_iteratorINS6_10device_ptrIjEEEENSD_INSE_IS9_EEEEjNS1_19radix_merge_compareILb0ELb0EjNS0_19identity_decomposerEEEEE10hipError_tT0_T1_T2_jT3_P12ihipStream_tbPNSt15iterator_traitsISN_E10value_typeEPNST_ISO_E10value_typeEPSP_NS1_7vsmem_tEENKUlT_SN_SO_SP_E_clIPjSG_PS9_SI_EESM_S12_SN_SO_SP_EUlS12_E_NS1_11comp_targetILNS1_3genE3ELNS1_11target_archE908ELNS1_3gpuE7ELNS1_3repE0EEENS1_48merge_mergepath_partition_config_static_selectorELNS0_4arch9wavefront6targetE0EEEvSO_,"axG",@progbits,_ZN7rocprim17ROCPRIM_400000_NS6detail17trampoline_kernelINS0_14default_configENS1_38merge_sort_block_merge_config_selectorIjN6thrust23THRUST_200600_302600_NS5tupleIffNS6_9null_typeES8_S8_S8_S8_S8_S8_S8_EEEEZZNS1_27merge_sort_block_merge_implIS3_NS6_6detail15normal_iteratorINS6_10device_ptrIjEEEENSD_INSE_IS9_EEEEjNS1_19radix_merge_compareILb0ELb0EjNS0_19identity_decomposerEEEEE10hipError_tT0_T1_T2_jT3_P12ihipStream_tbPNSt15iterator_traitsISN_E10value_typeEPNST_ISO_E10value_typeEPSP_NS1_7vsmem_tEENKUlT_SN_SO_SP_E_clIPjSG_PS9_SI_EESM_S12_SN_SO_SP_EUlS12_E_NS1_11comp_targetILNS1_3genE3ELNS1_11target_archE908ELNS1_3gpuE7ELNS1_3repE0EEENS1_48merge_mergepath_partition_config_static_selectorELNS0_4arch9wavefront6targetE0EEEvSO_,comdat
.Lfunc_end29:
	.size	_ZN7rocprim17ROCPRIM_400000_NS6detail17trampoline_kernelINS0_14default_configENS1_38merge_sort_block_merge_config_selectorIjN6thrust23THRUST_200600_302600_NS5tupleIffNS6_9null_typeES8_S8_S8_S8_S8_S8_S8_EEEEZZNS1_27merge_sort_block_merge_implIS3_NS6_6detail15normal_iteratorINS6_10device_ptrIjEEEENSD_INSE_IS9_EEEEjNS1_19radix_merge_compareILb0ELb0EjNS0_19identity_decomposerEEEEE10hipError_tT0_T1_T2_jT3_P12ihipStream_tbPNSt15iterator_traitsISN_E10value_typeEPNST_ISO_E10value_typeEPSP_NS1_7vsmem_tEENKUlT_SN_SO_SP_E_clIPjSG_PS9_SI_EESM_S12_SN_SO_SP_EUlS12_E_NS1_11comp_targetILNS1_3genE3ELNS1_11target_archE908ELNS1_3gpuE7ELNS1_3repE0EEENS1_48merge_mergepath_partition_config_static_selectorELNS0_4arch9wavefront6targetE0EEEvSO_, .Lfunc_end29-_ZN7rocprim17ROCPRIM_400000_NS6detail17trampoline_kernelINS0_14default_configENS1_38merge_sort_block_merge_config_selectorIjN6thrust23THRUST_200600_302600_NS5tupleIffNS6_9null_typeES8_S8_S8_S8_S8_S8_S8_EEEEZZNS1_27merge_sort_block_merge_implIS3_NS6_6detail15normal_iteratorINS6_10device_ptrIjEEEENSD_INSE_IS9_EEEEjNS1_19radix_merge_compareILb0ELb0EjNS0_19identity_decomposerEEEEE10hipError_tT0_T1_T2_jT3_P12ihipStream_tbPNSt15iterator_traitsISN_E10value_typeEPNST_ISO_E10value_typeEPSP_NS1_7vsmem_tEENKUlT_SN_SO_SP_E_clIPjSG_PS9_SI_EESM_S12_SN_SO_SP_EUlS12_E_NS1_11comp_targetILNS1_3genE3ELNS1_11target_archE908ELNS1_3gpuE7ELNS1_3repE0EEENS1_48merge_mergepath_partition_config_static_selectorELNS0_4arch9wavefront6targetE0EEEvSO_
                                        ; -- End function
	.set _ZN7rocprim17ROCPRIM_400000_NS6detail17trampoline_kernelINS0_14default_configENS1_38merge_sort_block_merge_config_selectorIjN6thrust23THRUST_200600_302600_NS5tupleIffNS6_9null_typeES8_S8_S8_S8_S8_S8_S8_EEEEZZNS1_27merge_sort_block_merge_implIS3_NS6_6detail15normal_iteratorINS6_10device_ptrIjEEEENSD_INSE_IS9_EEEEjNS1_19radix_merge_compareILb0ELb0EjNS0_19identity_decomposerEEEEE10hipError_tT0_T1_T2_jT3_P12ihipStream_tbPNSt15iterator_traitsISN_E10value_typeEPNST_ISO_E10value_typeEPSP_NS1_7vsmem_tEENKUlT_SN_SO_SP_E_clIPjSG_PS9_SI_EESM_S12_SN_SO_SP_EUlS12_E_NS1_11comp_targetILNS1_3genE3ELNS1_11target_archE908ELNS1_3gpuE7ELNS1_3repE0EEENS1_48merge_mergepath_partition_config_static_selectorELNS0_4arch9wavefront6targetE0EEEvSO_.num_vgpr, 0
	.set _ZN7rocprim17ROCPRIM_400000_NS6detail17trampoline_kernelINS0_14default_configENS1_38merge_sort_block_merge_config_selectorIjN6thrust23THRUST_200600_302600_NS5tupleIffNS6_9null_typeES8_S8_S8_S8_S8_S8_S8_EEEEZZNS1_27merge_sort_block_merge_implIS3_NS6_6detail15normal_iteratorINS6_10device_ptrIjEEEENSD_INSE_IS9_EEEEjNS1_19radix_merge_compareILb0ELb0EjNS0_19identity_decomposerEEEEE10hipError_tT0_T1_T2_jT3_P12ihipStream_tbPNSt15iterator_traitsISN_E10value_typeEPNST_ISO_E10value_typeEPSP_NS1_7vsmem_tEENKUlT_SN_SO_SP_E_clIPjSG_PS9_SI_EESM_S12_SN_SO_SP_EUlS12_E_NS1_11comp_targetILNS1_3genE3ELNS1_11target_archE908ELNS1_3gpuE7ELNS1_3repE0EEENS1_48merge_mergepath_partition_config_static_selectorELNS0_4arch9wavefront6targetE0EEEvSO_.num_agpr, 0
	.set _ZN7rocprim17ROCPRIM_400000_NS6detail17trampoline_kernelINS0_14default_configENS1_38merge_sort_block_merge_config_selectorIjN6thrust23THRUST_200600_302600_NS5tupleIffNS6_9null_typeES8_S8_S8_S8_S8_S8_S8_EEEEZZNS1_27merge_sort_block_merge_implIS3_NS6_6detail15normal_iteratorINS6_10device_ptrIjEEEENSD_INSE_IS9_EEEEjNS1_19radix_merge_compareILb0ELb0EjNS0_19identity_decomposerEEEEE10hipError_tT0_T1_T2_jT3_P12ihipStream_tbPNSt15iterator_traitsISN_E10value_typeEPNST_ISO_E10value_typeEPSP_NS1_7vsmem_tEENKUlT_SN_SO_SP_E_clIPjSG_PS9_SI_EESM_S12_SN_SO_SP_EUlS12_E_NS1_11comp_targetILNS1_3genE3ELNS1_11target_archE908ELNS1_3gpuE7ELNS1_3repE0EEENS1_48merge_mergepath_partition_config_static_selectorELNS0_4arch9wavefront6targetE0EEEvSO_.numbered_sgpr, 0
	.set _ZN7rocprim17ROCPRIM_400000_NS6detail17trampoline_kernelINS0_14default_configENS1_38merge_sort_block_merge_config_selectorIjN6thrust23THRUST_200600_302600_NS5tupleIffNS6_9null_typeES8_S8_S8_S8_S8_S8_S8_EEEEZZNS1_27merge_sort_block_merge_implIS3_NS6_6detail15normal_iteratorINS6_10device_ptrIjEEEENSD_INSE_IS9_EEEEjNS1_19radix_merge_compareILb0ELb0EjNS0_19identity_decomposerEEEEE10hipError_tT0_T1_T2_jT3_P12ihipStream_tbPNSt15iterator_traitsISN_E10value_typeEPNST_ISO_E10value_typeEPSP_NS1_7vsmem_tEENKUlT_SN_SO_SP_E_clIPjSG_PS9_SI_EESM_S12_SN_SO_SP_EUlS12_E_NS1_11comp_targetILNS1_3genE3ELNS1_11target_archE908ELNS1_3gpuE7ELNS1_3repE0EEENS1_48merge_mergepath_partition_config_static_selectorELNS0_4arch9wavefront6targetE0EEEvSO_.num_named_barrier, 0
	.set _ZN7rocprim17ROCPRIM_400000_NS6detail17trampoline_kernelINS0_14default_configENS1_38merge_sort_block_merge_config_selectorIjN6thrust23THRUST_200600_302600_NS5tupleIffNS6_9null_typeES8_S8_S8_S8_S8_S8_S8_EEEEZZNS1_27merge_sort_block_merge_implIS3_NS6_6detail15normal_iteratorINS6_10device_ptrIjEEEENSD_INSE_IS9_EEEEjNS1_19radix_merge_compareILb0ELb0EjNS0_19identity_decomposerEEEEE10hipError_tT0_T1_T2_jT3_P12ihipStream_tbPNSt15iterator_traitsISN_E10value_typeEPNST_ISO_E10value_typeEPSP_NS1_7vsmem_tEENKUlT_SN_SO_SP_E_clIPjSG_PS9_SI_EESM_S12_SN_SO_SP_EUlS12_E_NS1_11comp_targetILNS1_3genE3ELNS1_11target_archE908ELNS1_3gpuE7ELNS1_3repE0EEENS1_48merge_mergepath_partition_config_static_selectorELNS0_4arch9wavefront6targetE0EEEvSO_.private_seg_size, 0
	.set _ZN7rocprim17ROCPRIM_400000_NS6detail17trampoline_kernelINS0_14default_configENS1_38merge_sort_block_merge_config_selectorIjN6thrust23THRUST_200600_302600_NS5tupleIffNS6_9null_typeES8_S8_S8_S8_S8_S8_S8_EEEEZZNS1_27merge_sort_block_merge_implIS3_NS6_6detail15normal_iteratorINS6_10device_ptrIjEEEENSD_INSE_IS9_EEEEjNS1_19radix_merge_compareILb0ELb0EjNS0_19identity_decomposerEEEEE10hipError_tT0_T1_T2_jT3_P12ihipStream_tbPNSt15iterator_traitsISN_E10value_typeEPNST_ISO_E10value_typeEPSP_NS1_7vsmem_tEENKUlT_SN_SO_SP_E_clIPjSG_PS9_SI_EESM_S12_SN_SO_SP_EUlS12_E_NS1_11comp_targetILNS1_3genE3ELNS1_11target_archE908ELNS1_3gpuE7ELNS1_3repE0EEENS1_48merge_mergepath_partition_config_static_selectorELNS0_4arch9wavefront6targetE0EEEvSO_.uses_vcc, 0
	.set _ZN7rocprim17ROCPRIM_400000_NS6detail17trampoline_kernelINS0_14default_configENS1_38merge_sort_block_merge_config_selectorIjN6thrust23THRUST_200600_302600_NS5tupleIffNS6_9null_typeES8_S8_S8_S8_S8_S8_S8_EEEEZZNS1_27merge_sort_block_merge_implIS3_NS6_6detail15normal_iteratorINS6_10device_ptrIjEEEENSD_INSE_IS9_EEEEjNS1_19radix_merge_compareILb0ELb0EjNS0_19identity_decomposerEEEEE10hipError_tT0_T1_T2_jT3_P12ihipStream_tbPNSt15iterator_traitsISN_E10value_typeEPNST_ISO_E10value_typeEPSP_NS1_7vsmem_tEENKUlT_SN_SO_SP_E_clIPjSG_PS9_SI_EESM_S12_SN_SO_SP_EUlS12_E_NS1_11comp_targetILNS1_3genE3ELNS1_11target_archE908ELNS1_3gpuE7ELNS1_3repE0EEENS1_48merge_mergepath_partition_config_static_selectorELNS0_4arch9wavefront6targetE0EEEvSO_.uses_flat_scratch, 0
	.set _ZN7rocprim17ROCPRIM_400000_NS6detail17trampoline_kernelINS0_14default_configENS1_38merge_sort_block_merge_config_selectorIjN6thrust23THRUST_200600_302600_NS5tupleIffNS6_9null_typeES8_S8_S8_S8_S8_S8_S8_EEEEZZNS1_27merge_sort_block_merge_implIS3_NS6_6detail15normal_iteratorINS6_10device_ptrIjEEEENSD_INSE_IS9_EEEEjNS1_19radix_merge_compareILb0ELb0EjNS0_19identity_decomposerEEEEE10hipError_tT0_T1_T2_jT3_P12ihipStream_tbPNSt15iterator_traitsISN_E10value_typeEPNST_ISO_E10value_typeEPSP_NS1_7vsmem_tEENKUlT_SN_SO_SP_E_clIPjSG_PS9_SI_EESM_S12_SN_SO_SP_EUlS12_E_NS1_11comp_targetILNS1_3genE3ELNS1_11target_archE908ELNS1_3gpuE7ELNS1_3repE0EEENS1_48merge_mergepath_partition_config_static_selectorELNS0_4arch9wavefront6targetE0EEEvSO_.has_dyn_sized_stack, 0
	.set _ZN7rocprim17ROCPRIM_400000_NS6detail17trampoline_kernelINS0_14default_configENS1_38merge_sort_block_merge_config_selectorIjN6thrust23THRUST_200600_302600_NS5tupleIffNS6_9null_typeES8_S8_S8_S8_S8_S8_S8_EEEEZZNS1_27merge_sort_block_merge_implIS3_NS6_6detail15normal_iteratorINS6_10device_ptrIjEEEENSD_INSE_IS9_EEEEjNS1_19radix_merge_compareILb0ELb0EjNS0_19identity_decomposerEEEEE10hipError_tT0_T1_T2_jT3_P12ihipStream_tbPNSt15iterator_traitsISN_E10value_typeEPNST_ISO_E10value_typeEPSP_NS1_7vsmem_tEENKUlT_SN_SO_SP_E_clIPjSG_PS9_SI_EESM_S12_SN_SO_SP_EUlS12_E_NS1_11comp_targetILNS1_3genE3ELNS1_11target_archE908ELNS1_3gpuE7ELNS1_3repE0EEENS1_48merge_mergepath_partition_config_static_selectorELNS0_4arch9wavefront6targetE0EEEvSO_.has_recursion, 0
	.set _ZN7rocprim17ROCPRIM_400000_NS6detail17trampoline_kernelINS0_14default_configENS1_38merge_sort_block_merge_config_selectorIjN6thrust23THRUST_200600_302600_NS5tupleIffNS6_9null_typeES8_S8_S8_S8_S8_S8_S8_EEEEZZNS1_27merge_sort_block_merge_implIS3_NS6_6detail15normal_iteratorINS6_10device_ptrIjEEEENSD_INSE_IS9_EEEEjNS1_19radix_merge_compareILb0ELb0EjNS0_19identity_decomposerEEEEE10hipError_tT0_T1_T2_jT3_P12ihipStream_tbPNSt15iterator_traitsISN_E10value_typeEPNST_ISO_E10value_typeEPSP_NS1_7vsmem_tEENKUlT_SN_SO_SP_E_clIPjSG_PS9_SI_EESM_S12_SN_SO_SP_EUlS12_E_NS1_11comp_targetILNS1_3genE3ELNS1_11target_archE908ELNS1_3gpuE7ELNS1_3repE0EEENS1_48merge_mergepath_partition_config_static_selectorELNS0_4arch9wavefront6targetE0EEEvSO_.has_indirect_call, 0
	.section	.AMDGPU.csdata,"",@progbits
; Kernel info:
; codeLenInByte = 0
; TotalNumSgprs: 0
; NumVgprs: 0
; ScratchSize: 0
; MemoryBound: 0
; FloatMode: 240
; IeeeMode: 1
; LDSByteSize: 0 bytes/workgroup (compile time only)
; SGPRBlocks: 0
; VGPRBlocks: 0
; NumSGPRsForWavesPerEU: 1
; NumVGPRsForWavesPerEU: 1
; Occupancy: 16
; WaveLimiterHint : 0
; COMPUTE_PGM_RSRC2:SCRATCH_EN: 0
; COMPUTE_PGM_RSRC2:USER_SGPR: 2
; COMPUTE_PGM_RSRC2:TRAP_HANDLER: 0
; COMPUTE_PGM_RSRC2:TGID_X_EN: 1
; COMPUTE_PGM_RSRC2:TGID_Y_EN: 0
; COMPUTE_PGM_RSRC2:TGID_Z_EN: 0
; COMPUTE_PGM_RSRC2:TIDIG_COMP_CNT: 0
	.section	.text._ZN7rocprim17ROCPRIM_400000_NS6detail17trampoline_kernelINS0_14default_configENS1_38merge_sort_block_merge_config_selectorIjN6thrust23THRUST_200600_302600_NS5tupleIffNS6_9null_typeES8_S8_S8_S8_S8_S8_S8_EEEEZZNS1_27merge_sort_block_merge_implIS3_NS6_6detail15normal_iteratorINS6_10device_ptrIjEEEENSD_INSE_IS9_EEEEjNS1_19radix_merge_compareILb0ELb0EjNS0_19identity_decomposerEEEEE10hipError_tT0_T1_T2_jT3_P12ihipStream_tbPNSt15iterator_traitsISN_E10value_typeEPNST_ISO_E10value_typeEPSP_NS1_7vsmem_tEENKUlT_SN_SO_SP_E_clIPjSG_PS9_SI_EESM_S12_SN_SO_SP_EUlS12_E_NS1_11comp_targetILNS1_3genE2ELNS1_11target_archE906ELNS1_3gpuE6ELNS1_3repE0EEENS1_48merge_mergepath_partition_config_static_selectorELNS0_4arch9wavefront6targetE0EEEvSO_,"axG",@progbits,_ZN7rocprim17ROCPRIM_400000_NS6detail17trampoline_kernelINS0_14default_configENS1_38merge_sort_block_merge_config_selectorIjN6thrust23THRUST_200600_302600_NS5tupleIffNS6_9null_typeES8_S8_S8_S8_S8_S8_S8_EEEEZZNS1_27merge_sort_block_merge_implIS3_NS6_6detail15normal_iteratorINS6_10device_ptrIjEEEENSD_INSE_IS9_EEEEjNS1_19radix_merge_compareILb0ELb0EjNS0_19identity_decomposerEEEEE10hipError_tT0_T1_T2_jT3_P12ihipStream_tbPNSt15iterator_traitsISN_E10value_typeEPNST_ISO_E10value_typeEPSP_NS1_7vsmem_tEENKUlT_SN_SO_SP_E_clIPjSG_PS9_SI_EESM_S12_SN_SO_SP_EUlS12_E_NS1_11comp_targetILNS1_3genE2ELNS1_11target_archE906ELNS1_3gpuE6ELNS1_3repE0EEENS1_48merge_mergepath_partition_config_static_selectorELNS0_4arch9wavefront6targetE0EEEvSO_,comdat
	.protected	_ZN7rocprim17ROCPRIM_400000_NS6detail17trampoline_kernelINS0_14default_configENS1_38merge_sort_block_merge_config_selectorIjN6thrust23THRUST_200600_302600_NS5tupleIffNS6_9null_typeES8_S8_S8_S8_S8_S8_S8_EEEEZZNS1_27merge_sort_block_merge_implIS3_NS6_6detail15normal_iteratorINS6_10device_ptrIjEEEENSD_INSE_IS9_EEEEjNS1_19radix_merge_compareILb0ELb0EjNS0_19identity_decomposerEEEEE10hipError_tT0_T1_T2_jT3_P12ihipStream_tbPNSt15iterator_traitsISN_E10value_typeEPNST_ISO_E10value_typeEPSP_NS1_7vsmem_tEENKUlT_SN_SO_SP_E_clIPjSG_PS9_SI_EESM_S12_SN_SO_SP_EUlS12_E_NS1_11comp_targetILNS1_3genE2ELNS1_11target_archE906ELNS1_3gpuE6ELNS1_3repE0EEENS1_48merge_mergepath_partition_config_static_selectorELNS0_4arch9wavefront6targetE0EEEvSO_ ; -- Begin function _ZN7rocprim17ROCPRIM_400000_NS6detail17trampoline_kernelINS0_14default_configENS1_38merge_sort_block_merge_config_selectorIjN6thrust23THRUST_200600_302600_NS5tupleIffNS6_9null_typeES8_S8_S8_S8_S8_S8_S8_EEEEZZNS1_27merge_sort_block_merge_implIS3_NS6_6detail15normal_iteratorINS6_10device_ptrIjEEEENSD_INSE_IS9_EEEEjNS1_19radix_merge_compareILb0ELb0EjNS0_19identity_decomposerEEEEE10hipError_tT0_T1_T2_jT3_P12ihipStream_tbPNSt15iterator_traitsISN_E10value_typeEPNST_ISO_E10value_typeEPSP_NS1_7vsmem_tEENKUlT_SN_SO_SP_E_clIPjSG_PS9_SI_EESM_S12_SN_SO_SP_EUlS12_E_NS1_11comp_targetILNS1_3genE2ELNS1_11target_archE906ELNS1_3gpuE6ELNS1_3repE0EEENS1_48merge_mergepath_partition_config_static_selectorELNS0_4arch9wavefront6targetE0EEEvSO_
	.globl	_ZN7rocprim17ROCPRIM_400000_NS6detail17trampoline_kernelINS0_14default_configENS1_38merge_sort_block_merge_config_selectorIjN6thrust23THRUST_200600_302600_NS5tupleIffNS6_9null_typeES8_S8_S8_S8_S8_S8_S8_EEEEZZNS1_27merge_sort_block_merge_implIS3_NS6_6detail15normal_iteratorINS6_10device_ptrIjEEEENSD_INSE_IS9_EEEEjNS1_19radix_merge_compareILb0ELb0EjNS0_19identity_decomposerEEEEE10hipError_tT0_T1_T2_jT3_P12ihipStream_tbPNSt15iterator_traitsISN_E10value_typeEPNST_ISO_E10value_typeEPSP_NS1_7vsmem_tEENKUlT_SN_SO_SP_E_clIPjSG_PS9_SI_EESM_S12_SN_SO_SP_EUlS12_E_NS1_11comp_targetILNS1_3genE2ELNS1_11target_archE906ELNS1_3gpuE6ELNS1_3repE0EEENS1_48merge_mergepath_partition_config_static_selectorELNS0_4arch9wavefront6targetE0EEEvSO_
	.p2align	8
	.type	_ZN7rocprim17ROCPRIM_400000_NS6detail17trampoline_kernelINS0_14default_configENS1_38merge_sort_block_merge_config_selectorIjN6thrust23THRUST_200600_302600_NS5tupleIffNS6_9null_typeES8_S8_S8_S8_S8_S8_S8_EEEEZZNS1_27merge_sort_block_merge_implIS3_NS6_6detail15normal_iteratorINS6_10device_ptrIjEEEENSD_INSE_IS9_EEEEjNS1_19radix_merge_compareILb0ELb0EjNS0_19identity_decomposerEEEEE10hipError_tT0_T1_T2_jT3_P12ihipStream_tbPNSt15iterator_traitsISN_E10value_typeEPNST_ISO_E10value_typeEPSP_NS1_7vsmem_tEENKUlT_SN_SO_SP_E_clIPjSG_PS9_SI_EESM_S12_SN_SO_SP_EUlS12_E_NS1_11comp_targetILNS1_3genE2ELNS1_11target_archE906ELNS1_3gpuE6ELNS1_3repE0EEENS1_48merge_mergepath_partition_config_static_selectorELNS0_4arch9wavefront6targetE0EEEvSO_,@function
_ZN7rocprim17ROCPRIM_400000_NS6detail17trampoline_kernelINS0_14default_configENS1_38merge_sort_block_merge_config_selectorIjN6thrust23THRUST_200600_302600_NS5tupleIffNS6_9null_typeES8_S8_S8_S8_S8_S8_S8_EEEEZZNS1_27merge_sort_block_merge_implIS3_NS6_6detail15normal_iteratorINS6_10device_ptrIjEEEENSD_INSE_IS9_EEEEjNS1_19radix_merge_compareILb0ELb0EjNS0_19identity_decomposerEEEEE10hipError_tT0_T1_T2_jT3_P12ihipStream_tbPNSt15iterator_traitsISN_E10value_typeEPNST_ISO_E10value_typeEPSP_NS1_7vsmem_tEENKUlT_SN_SO_SP_E_clIPjSG_PS9_SI_EESM_S12_SN_SO_SP_EUlS12_E_NS1_11comp_targetILNS1_3genE2ELNS1_11target_archE906ELNS1_3gpuE6ELNS1_3repE0EEENS1_48merge_mergepath_partition_config_static_selectorELNS0_4arch9wavefront6targetE0EEEvSO_: ; @_ZN7rocprim17ROCPRIM_400000_NS6detail17trampoline_kernelINS0_14default_configENS1_38merge_sort_block_merge_config_selectorIjN6thrust23THRUST_200600_302600_NS5tupleIffNS6_9null_typeES8_S8_S8_S8_S8_S8_S8_EEEEZZNS1_27merge_sort_block_merge_implIS3_NS6_6detail15normal_iteratorINS6_10device_ptrIjEEEENSD_INSE_IS9_EEEEjNS1_19radix_merge_compareILb0ELb0EjNS0_19identity_decomposerEEEEE10hipError_tT0_T1_T2_jT3_P12ihipStream_tbPNSt15iterator_traitsISN_E10value_typeEPNST_ISO_E10value_typeEPSP_NS1_7vsmem_tEENKUlT_SN_SO_SP_E_clIPjSG_PS9_SI_EESM_S12_SN_SO_SP_EUlS12_E_NS1_11comp_targetILNS1_3genE2ELNS1_11target_archE906ELNS1_3gpuE6ELNS1_3repE0EEENS1_48merge_mergepath_partition_config_static_selectorELNS0_4arch9wavefront6targetE0EEEvSO_
; %bb.0:
	.section	.rodata,"a",@progbits
	.p2align	6, 0x0
	.amdhsa_kernel _ZN7rocprim17ROCPRIM_400000_NS6detail17trampoline_kernelINS0_14default_configENS1_38merge_sort_block_merge_config_selectorIjN6thrust23THRUST_200600_302600_NS5tupleIffNS6_9null_typeES8_S8_S8_S8_S8_S8_S8_EEEEZZNS1_27merge_sort_block_merge_implIS3_NS6_6detail15normal_iteratorINS6_10device_ptrIjEEEENSD_INSE_IS9_EEEEjNS1_19radix_merge_compareILb0ELb0EjNS0_19identity_decomposerEEEEE10hipError_tT0_T1_T2_jT3_P12ihipStream_tbPNSt15iterator_traitsISN_E10value_typeEPNST_ISO_E10value_typeEPSP_NS1_7vsmem_tEENKUlT_SN_SO_SP_E_clIPjSG_PS9_SI_EESM_S12_SN_SO_SP_EUlS12_E_NS1_11comp_targetILNS1_3genE2ELNS1_11target_archE906ELNS1_3gpuE6ELNS1_3repE0EEENS1_48merge_mergepath_partition_config_static_selectorELNS0_4arch9wavefront6targetE0EEEvSO_
		.amdhsa_group_segment_fixed_size 0
		.amdhsa_private_segment_fixed_size 0
		.amdhsa_kernarg_size 40
		.amdhsa_user_sgpr_count 2
		.amdhsa_user_sgpr_dispatch_ptr 0
		.amdhsa_user_sgpr_queue_ptr 0
		.amdhsa_user_sgpr_kernarg_segment_ptr 1
		.amdhsa_user_sgpr_dispatch_id 0
		.amdhsa_user_sgpr_private_segment_size 0
		.amdhsa_wavefront_size32 1
		.amdhsa_uses_dynamic_stack 0
		.amdhsa_enable_private_segment 0
		.amdhsa_system_sgpr_workgroup_id_x 1
		.amdhsa_system_sgpr_workgroup_id_y 0
		.amdhsa_system_sgpr_workgroup_id_z 0
		.amdhsa_system_sgpr_workgroup_info 0
		.amdhsa_system_vgpr_workitem_id 0
		.amdhsa_next_free_vgpr 1
		.amdhsa_next_free_sgpr 1
		.amdhsa_reserve_vcc 0
		.amdhsa_float_round_mode_32 0
		.amdhsa_float_round_mode_16_64 0
		.amdhsa_float_denorm_mode_32 3
		.amdhsa_float_denorm_mode_16_64 3
		.amdhsa_fp16_overflow 0
		.amdhsa_workgroup_processor_mode 1
		.amdhsa_memory_ordered 1
		.amdhsa_forward_progress 1
		.amdhsa_inst_pref_size 0
		.amdhsa_round_robin_scheduling 0
		.amdhsa_exception_fp_ieee_invalid_op 0
		.amdhsa_exception_fp_denorm_src 0
		.amdhsa_exception_fp_ieee_div_zero 0
		.amdhsa_exception_fp_ieee_overflow 0
		.amdhsa_exception_fp_ieee_underflow 0
		.amdhsa_exception_fp_ieee_inexact 0
		.amdhsa_exception_int_div_zero 0
	.end_amdhsa_kernel
	.section	.text._ZN7rocprim17ROCPRIM_400000_NS6detail17trampoline_kernelINS0_14default_configENS1_38merge_sort_block_merge_config_selectorIjN6thrust23THRUST_200600_302600_NS5tupleIffNS6_9null_typeES8_S8_S8_S8_S8_S8_S8_EEEEZZNS1_27merge_sort_block_merge_implIS3_NS6_6detail15normal_iteratorINS6_10device_ptrIjEEEENSD_INSE_IS9_EEEEjNS1_19radix_merge_compareILb0ELb0EjNS0_19identity_decomposerEEEEE10hipError_tT0_T1_T2_jT3_P12ihipStream_tbPNSt15iterator_traitsISN_E10value_typeEPNST_ISO_E10value_typeEPSP_NS1_7vsmem_tEENKUlT_SN_SO_SP_E_clIPjSG_PS9_SI_EESM_S12_SN_SO_SP_EUlS12_E_NS1_11comp_targetILNS1_3genE2ELNS1_11target_archE906ELNS1_3gpuE6ELNS1_3repE0EEENS1_48merge_mergepath_partition_config_static_selectorELNS0_4arch9wavefront6targetE0EEEvSO_,"axG",@progbits,_ZN7rocprim17ROCPRIM_400000_NS6detail17trampoline_kernelINS0_14default_configENS1_38merge_sort_block_merge_config_selectorIjN6thrust23THRUST_200600_302600_NS5tupleIffNS6_9null_typeES8_S8_S8_S8_S8_S8_S8_EEEEZZNS1_27merge_sort_block_merge_implIS3_NS6_6detail15normal_iteratorINS6_10device_ptrIjEEEENSD_INSE_IS9_EEEEjNS1_19radix_merge_compareILb0ELb0EjNS0_19identity_decomposerEEEEE10hipError_tT0_T1_T2_jT3_P12ihipStream_tbPNSt15iterator_traitsISN_E10value_typeEPNST_ISO_E10value_typeEPSP_NS1_7vsmem_tEENKUlT_SN_SO_SP_E_clIPjSG_PS9_SI_EESM_S12_SN_SO_SP_EUlS12_E_NS1_11comp_targetILNS1_3genE2ELNS1_11target_archE906ELNS1_3gpuE6ELNS1_3repE0EEENS1_48merge_mergepath_partition_config_static_selectorELNS0_4arch9wavefront6targetE0EEEvSO_,comdat
.Lfunc_end30:
	.size	_ZN7rocprim17ROCPRIM_400000_NS6detail17trampoline_kernelINS0_14default_configENS1_38merge_sort_block_merge_config_selectorIjN6thrust23THRUST_200600_302600_NS5tupleIffNS6_9null_typeES8_S8_S8_S8_S8_S8_S8_EEEEZZNS1_27merge_sort_block_merge_implIS3_NS6_6detail15normal_iteratorINS6_10device_ptrIjEEEENSD_INSE_IS9_EEEEjNS1_19radix_merge_compareILb0ELb0EjNS0_19identity_decomposerEEEEE10hipError_tT0_T1_T2_jT3_P12ihipStream_tbPNSt15iterator_traitsISN_E10value_typeEPNST_ISO_E10value_typeEPSP_NS1_7vsmem_tEENKUlT_SN_SO_SP_E_clIPjSG_PS9_SI_EESM_S12_SN_SO_SP_EUlS12_E_NS1_11comp_targetILNS1_3genE2ELNS1_11target_archE906ELNS1_3gpuE6ELNS1_3repE0EEENS1_48merge_mergepath_partition_config_static_selectorELNS0_4arch9wavefront6targetE0EEEvSO_, .Lfunc_end30-_ZN7rocprim17ROCPRIM_400000_NS6detail17trampoline_kernelINS0_14default_configENS1_38merge_sort_block_merge_config_selectorIjN6thrust23THRUST_200600_302600_NS5tupleIffNS6_9null_typeES8_S8_S8_S8_S8_S8_S8_EEEEZZNS1_27merge_sort_block_merge_implIS3_NS6_6detail15normal_iteratorINS6_10device_ptrIjEEEENSD_INSE_IS9_EEEEjNS1_19radix_merge_compareILb0ELb0EjNS0_19identity_decomposerEEEEE10hipError_tT0_T1_T2_jT3_P12ihipStream_tbPNSt15iterator_traitsISN_E10value_typeEPNST_ISO_E10value_typeEPSP_NS1_7vsmem_tEENKUlT_SN_SO_SP_E_clIPjSG_PS9_SI_EESM_S12_SN_SO_SP_EUlS12_E_NS1_11comp_targetILNS1_3genE2ELNS1_11target_archE906ELNS1_3gpuE6ELNS1_3repE0EEENS1_48merge_mergepath_partition_config_static_selectorELNS0_4arch9wavefront6targetE0EEEvSO_
                                        ; -- End function
	.set _ZN7rocprim17ROCPRIM_400000_NS6detail17trampoline_kernelINS0_14default_configENS1_38merge_sort_block_merge_config_selectorIjN6thrust23THRUST_200600_302600_NS5tupleIffNS6_9null_typeES8_S8_S8_S8_S8_S8_S8_EEEEZZNS1_27merge_sort_block_merge_implIS3_NS6_6detail15normal_iteratorINS6_10device_ptrIjEEEENSD_INSE_IS9_EEEEjNS1_19radix_merge_compareILb0ELb0EjNS0_19identity_decomposerEEEEE10hipError_tT0_T1_T2_jT3_P12ihipStream_tbPNSt15iterator_traitsISN_E10value_typeEPNST_ISO_E10value_typeEPSP_NS1_7vsmem_tEENKUlT_SN_SO_SP_E_clIPjSG_PS9_SI_EESM_S12_SN_SO_SP_EUlS12_E_NS1_11comp_targetILNS1_3genE2ELNS1_11target_archE906ELNS1_3gpuE6ELNS1_3repE0EEENS1_48merge_mergepath_partition_config_static_selectorELNS0_4arch9wavefront6targetE0EEEvSO_.num_vgpr, 0
	.set _ZN7rocprim17ROCPRIM_400000_NS6detail17trampoline_kernelINS0_14default_configENS1_38merge_sort_block_merge_config_selectorIjN6thrust23THRUST_200600_302600_NS5tupleIffNS6_9null_typeES8_S8_S8_S8_S8_S8_S8_EEEEZZNS1_27merge_sort_block_merge_implIS3_NS6_6detail15normal_iteratorINS6_10device_ptrIjEEEENSD_INSE_IS9_EEEEjNS1_19radix_merge_compareILb0ELb0EjNS0_19identity_decomposerEEEEE10hipError_tT0_T1_T2_jT3_P12ihipStream_tbPNSt15iterator_traitsISN_E10value_typeEPNST_ISO_E10value_typeEPSP_NS1_7vsmem_tEENKUlT_SN_SO_SP_E_clIPjSG_PS9_SI_EESM_S12_SN_SO_SP_EUlS12_E_NS1_11comp_targetILNS1_3genE2ELNS1_11target_archE906ELNS1_3gpuE6ELNS1_3repE0EEENS1_48merge_mergepath_partition_config_static_selectorELNS0_4arch9wavefront6targetE0EEEvSO_.num_agpr, 0
	.set _ZN7rocprim17ROCPRIM_400000_NS6detail17trampoline_kernelINS0_14default_configENS1_38merge_sort_block_merge_config_selectorIjN6thrust23THRUST_200600_302600_NS5tupleIffNS6_9null_typeES8_S8_S8_S8_S8_S8_S8_EEEEZZNS1_27merge_sort_block_merge_implIS3_NS6_6detail15normal_iteratorINS6_10device_ptrIjEEEENSD_INSE_IS9_EEEEjNS1_19radix_merge_compareILb0ELb0EjNS0_19identity_decomposerEEEEE10hipError_tT0_T1_T2_jT3_P12ihipStream_tbPNSt15iterator_traitsISN_E10value_typeEPNST_ISO_E10value_typeEPSP_NS1_7vsmem_tEENKUlT_SN_SO_SP_E_clIPjSG_PS9_SI_EESM_S12_SN_SO_SP_EUlS12_E_NS1_11comp_targetILNS1_3genE2ELNS1_11target_archE906ELNS1_3gpuE6ELNS1_3repE0EEENS1_48merge_mergepath_partition_config_static_selectorELNS0_4arch9wavefront6targetE0EEEvSO_.numbered_sgpr, 0
	.set _ZN7rocprim17ROCPRIM_400000_NS6detail17trampoline_kernelINS0_14default_configENS1_38merge_sort_block_merge_config_selectorIjN6thrust23THRUST_200600_302600_NS5tupleIffNS6_9null_typeES8_S8_S8_S8_S8_S8_S8_EEEEZZNS1_27merge_sort_block_merge_implIS3_NS6_6detail15normal_iteratorINS6_10device_ptrIjEEEENSD_INSE_IS9_EEEEjNS1_19radix_merge_compareILb0ELb0EjNS0_19identity_decomposerEEEEE10hipError_tT0_T1_T2_jT3_P12ihipStream_tbPNSt15iterator_traitsISN_E10value_typeEPNST_ISO_E10value_typeEPSP_NS1_7vsmem_tEENKUlT_SN_SO_SP_E_clIPjSG_PS9_SI_EESM_S12_SN_SO_SP_EUlS12_E_NS1_11comp_targetILNS1_3genE2ELNS1_11target_archE906ELNS1_3gpuE6ELNS1_3repE0EEENS1_48merge_mergepath_partition_config_static_selectorELNS0_4arch9wavefront6targetE0EEEvSO_.num_named_barrier, 0
	.set _ZN7rocprim17ROCPRIM_400000_NS6detail17trampoline_kernelINS0_14default_configENS1_38merge_sort_block_merge_config_selectorIjN6thrust23THRUST_200600_302600_NS5tupleIffNS6_9null_typeES8_S8_S8_S8_S8_S8_S8_EEEEZZNS1_27merge_sort_block_merge_implIS3_NS6_6detail15normal_iteratorINS6_10device_ptrIjEEEENSD_INSE_IS9_EEEEjNS1_19radix_merge_compareILb0ELb0EjNS0_19identity_decomposerEEEEE10hipError_tT0_T1_T2_jT3_P12ihipStream_tbPNSt15iterator_traitsISN_E10value_typeEPNST_ISO_E10value_typeEPSP_NS1_7vsmem_tEENKUlT_SN_SO_SP_E_clIPjSG_PS9_SI_EESM_S12_SN_SO_SP_EUlS12_E_NS1_11comp_targetILNS1_3genE2ELNS1_11target_archE906ELNS1_3gpuE6ELNS1_3repE0EEENS1_48merge_mergepath_partition_config_static_selectorELNS0_4arch9wavefront6targetE0EEEvSO_.private_seg_size, 0
	.set _ZN7rocprim17ROCPRIM_400000_NS6detail17trampoline_kernelINS0_14default_configENS1_38merge_sort_block_merge_config_selectorIjN6thrust23THRUST_200600_302600_NS5tupleIffNS6_9null_typeES8_S8_S8_S8_S8_S8_S8_EEEEZZNS1_27merge_sort_block_merge_implIS3_NS6_6detail15normal_iteratorINS6_10device_ptrIjEEEENSD_INSE_IS9_EEEEjNS1_19radix_merge_compareILb0ELb0EjNS0_19identity_decomposerEEEEE10hipError_tT0_T1_T2_jT3_P12ihipStream_tbPNSt15iterator_traitsISN_E10value_typeEPNST_ISO_E10value_typeEPSP_NS1_7vsmem_tEENKUlT_SN_SO_SP_E_clIPjSG_PS9_SI_EESM_S12_SN_SO_SP_EUlS12_E_NS1_11comp_targetILNS1_3genE2ELNS1_11target_archE906ELNS1_3gpuE6ELNS1_3repE0EEENS1_48merge_mergepath_partition_config_static_selectorELNS0_4arch9wavefront6targetE0EEEvSO_.uses_vcc, 0
	.set _ZN7rocprim17ROCPRIM_400000_NS6detail17trampoline_kernelINS0_14default_configENS1_38merge_sort_block_merge_config_selectorIjN6thrust23THRUST_200600_302600_NS5tupleIffNS6_9null_typeES8_S8_S8_S8_S8_S8_S8_EEEEZZNS1_27merge_sort_block_merge_implIS3_NS6_6detail15normal_iteratorINS6_10device_ptrIjEEEENSD_INSE_IS9_EEEEjNS1_19radix_merge_compareILb0ELb0EjNS0_19identity_decomposerEEEEE10hipError_tT0_T1_T2_jT3_P12ihipStream_tbPNSt15iterator_traitsISN_E10value_typeEPNST_ISO_E10value_typeEPSP_NS1_7vsmem_tEENKUlT_SN_SO_SP_E_clIPjSG_PS9_SI_EESM_S12_SN_SO_SP_EUlS12_E_NS1_11comp_targetILNS1_3genE2ELNS1_11target_archE906ELNS1_3gpuE6ELNS1_3repE0EEENS1_48merge_mergepath_partition_config_static_selectorELNS0_4arch9wavefront6targetE0EEEvSO_.uses_flat_scratch, 0
	.set _ZN7rocprim17ROCPRIM_400000_NS6detail17trampoline_kernelINS0_14default_configENS1_38merge_sort_block_merge_config_selectorIjN6thrust23THRUST_200600_302600_NS5tupleIffNS6_9null_typeES8_S8_S8_S8_S8_S8_S8_EEEEZZNS1_27merge_sort_block_merge_implIS3_NS6_6detail15normal_iteratorINS6_10device_ptrIjEEEENSD_INSE_IS9_EEEEjNS1_19radix_merge_compareILb0ELb0EjNS0_19identity_decomposerEEEEE10hipError_tT0_T1_T2_jT3_P12ihipStream_tbPNSt15iterator_traitsISN_E10value_typeEPNST_ISO_E10value_typeEPSP_NS1_7vsmem_tEENKUlT_SN_SO_SP_E_clIPjSG_PS9_SI_EESM_S12_SN_SO_SP_EUlS12_E_NS1_11comp_targetILNS1_3genE2ELNS1_11target_archE906ELNS1_3gpuE6ELNS1_3repE0EEENS1_48merge_mergepath_partition_config_static_selectorELNS0_4arch9wavefront6targetE0EEEvSO_.has_dyn_sized_stack, 0
	.set _ZN7rocprim17ROCPRIM_400000_NS6detail17trampoline_kernelINS0_14default_configENS1_38merge_sort_block_merge_config_selectorIjN6thrust23THRUST_200600_302600_NS5tupleIffNS6_9null_typeES8_S8_S8_S8_S8_S8_S8_EEEEZZNS1_27merge_sort_block_merge_implIS3_NS6_6detail15normal_iteratorINS6_10device_ptrIjEEEENSD_INSE_IS9_EEEEjNS1_19radix_merge_compareILb0ELb0EjNS0_19identity_decomposerEEEEE10hipError_tT0_T1_T2_jT3_P12ihipStream_tbPNSt15iterator_traitsISN_E10value_typeEPNST_ISO_E10value_typeEPSP_NS1_7vsmem_tEENKUlT_SN_SO_SP_E_clIPjSG_PS9_SI_EESM_S12_SN_SO_SP_EUlS12_E_NS1_11comp_targetILNS1_3genE2ELNS1_11target_archE906ELNS1_3gpuE6ELNS1_3repE0EEENS1_48merge_mergepath_partition_config_static_selectorELNS0_4arch9wavefront6targetE0EEEvSO_.has_recursion, 0
	.set _ZN7rocprim17ROCPRIM_400000_NS6detail17trampoline_kernelINS0_14default_configENS1_38merge_sort_block_merge_config_selectorIjN6thrust23THRUST_200600_302600_NS5tupleIffNS6_9null_typeES8_S8_S8_S8_S8_S8_S8_EEEEZZNS1_27merge_sort_block_merge_implIS3_NS6_6detail15normal_iteratorINS6_10device_ptrIjEEEENSD_INSE_IS9_EEEEjNS1_19radix_merge_compareILb0ELb0EjNS0_19identity_decomposerEEEEE10hipError_tT0_T1_T2_jT3_P12ihipStream_tbPNSt15iterator_traitsISN_E10value_typeEPNST_ISO_E10value_typeEPSP_NS1_7vsmem_tEENKUlT_SN_SO_SP_E_clIPjSG_PS9_SI_EESM_S12_SN_SO_SP_EUlS12_E_NS1_11comp_targetILNS1_3genE2ELNS1_11target_archE906ELNS1_3gpuE6ELNS1_3repE0EEENS1_48merge_mergepath_partition_config_static_selectorELNS0_4arch9wavefront6targetE0EEEvSO_.has_indirect_call, 0
	.section	.AMDGPU.csdata,"",@progbits
; Kernel info:
; codeLenInByte = 0
; TotalNumSgprs: 0
; NumVgprs: 0
; ScratchSize: 0
; MemoryBound: 0
; FloatMode: 240
; IeeeMode: 1
; LDSByteSize: 0 bytes/workgroup (compile time only)
; SGPRBlocks: 0
; VGPRBlocks: 0
; NumSGPRsForWavesPerEU: 1
; NumVGPRsForWavesPerEU: 1
; Occupancy: 16
; WaveLimiterHint : 0
; COMPUTE_PGM_RSRC2:SCRATCH_EN: 0
; COMPUTE_PGM_RSRC2:USER_SGPR: 2
; COMPUTE_PGM_RSRC2:TRAP_HANDLER: 0
; COMPUTE_PGM_RSRC2:TGID_X_EN: 1
; COMPUTE_PGM_RSRC2:TGID_Y_EN: 0
; COMPUTE_PGM_RSRC2:TGID_Z_EN: 0
; COMPUTE_PGM_RSRC2:TIDIG_COMP_CNT: 0
	.section	.text._ZN7rocprim17ROCPRIM_400000_NS6detail17trampoline_kernelINS0_14default_configENS1_38merge_sort_block_merge_config_selectorIjN6thrust23THRUST_200600_302600_NS5tupleIffNS6_9null_typeES8_S8_S8_S8_S8_S8_S8_EEEEZZNS1_27merge_sort_block_merge_implIS3_NS6_6detail15normal_iteratorINS6_10device_ptrIjEEEENSD_INSE_IS9_EEEEjNS1_19radix_merge_compareILb0ELb0EjNS0_19identity_decomposerEEEEE10hipError_tT0_T1_T2_jT3_P12ihipStream_tbPNSt15iterator_traitsISN_E10value_typeEPNST_ISO_E10value_typeEPSP_NS1_7vsmem_tEENKUlT_SN_SO_SP_E_clIPjSG_PS9_SI_EESM_S12_SN_SO_SP_EUlS12_E_NS1_11comp_targetILNS1_3genE9ELNS1_11target_archE1100ELNS1_3gpuE3ELNS1_3repE0EEENS1_48merge_mergepath_partition_config_static_selectorELNS0_4arch9wavefront6targetE0EEEvSO_,"axG",@progbits,_ZN7rocprim17ROCPRIM_400000_NS6detail17trampoline_kernelINS0_14default_configENS1_38merge_sort_block_merge_config_selectorIjN6thrust23THRUST_200600_302600_NS5tupleIffNS6_9null_typeES8_S8_S8_S8_S8_S8_S8_EEEEZZNS1_27merge_sort_block_merge_implIS3_NS6_6detail15normal_iteratorINS6_10device_ptrIjEEEENSD_INSE_IS9_EEEEjNS1_19radix_merge_compareILb0ELb0EjNS0_19identity_decomposerEEEEE10hipError_tT0_T1_T2_jT3_P12ihipStream_tbPNSt15iterator_traitsISN_E10value_typeEPNST_ISO_E10value_typeEPSP_NS1_7vsmem_tEENKUlT_SN_SO_SP_E_clIPjSG_PS9_SI_EESM_S12_SN_SO_SP_EUlS12_E_NS1_11comp_targetILNS1_3genE9ELNS1_11target_archE1100ELNS1_3gpuE3ELNS1_3repE0EEENS1_48merge_mergepath_partition_config_static_selectorELNS0_4arch9wavefront6targetE0EEEvSO_,comdat
	.protected	_ZN7rocprim17ROCPRIM_400000_NS6detail17trampoline_kernelINS0_14default_configENS1_38merge_sort_block_merge_config_selectorIjN6thrust23THRUST_200600_302600_NS5tupleIffNS6_9null_typeES8_S8_S8_S8_S8_S8_S8_EEEEZZNS1_27merge_sort_block_merge_implIS3_NS6_6detail15normal_iteratorINS6_10device_ptrIjEEEENSD_INSE_IS9_EEEEjNS1_19radix_merge_compareILb0ELb0EjNS0_19identity_decomposerEEEEE10hipError_tT0_T1_T2_jT3_P12ihipStream_tbPNSt15iterator_traitsISN_E10value_typeEPNST_ISO_E10value_typeEPSP_NS1_7vsmem_tEENKUlT_SN_SO_SP_E_clIPjSG_PS9_SI_EESM_S12_SN_SO_SP_EUlS12_E_NS1_11comp_targetILNS1_3genE9ELNS1_11target_archE1100ELNS1_3gpuE3ELNS1_3repE0EEENS1_48merge_mergepath_partition_config_static_selectorELNS0_4arch9wavefront6targetE0EEEvSO_ ; -- Begin function _ZN7rocprim17ROCPRIM_400000_NS6detail17trampoline_kernelINS0_14default_configENS1_38merge_sort_block_merge_config_selectorIjN6thrust23THRUST_200600_302600_NS5tupleIffNS6_9null_typeES8_S8_S8_S8_S8_S8_S8_EEEEZZNS1_27merge_sort_block_merge_implIS3_NS6_6detail15normal_iteratorINS6_10device_ptrIjEEEENSD_INSE_IS9_EEEEjNS1_19radix_merge_compareILb0ELb0EjNS0_19identity_decomposerEEEEE10hipError_tT0_T1_T2_jT3_P12ihipStream_tbPNSt15iterator_traitsISN_E10value_typeEPNST_ISO_E10value_typeEPSP_NS1_7vsmem_tEENKUlT_SN_SO_SP_E_clIPjSG_PS9_SI_EESM_S12_SN_SO_SP_EUlS12_E_NS1_11comp_targetILNS1_3genE9ELNS1_11target_archE1100ELNS1_3gpuE3ELNS1_3repE0EEENS1_48merge_mergepath_partition_config_static_selectorELNS0_4arch9wavefront6targetE0EEEvSO_
	.globl	_ZN7rocprim17ROCPRIM_400000_NS6detail17trampoline_kernelINS0_14default_configENS1_38merge_sort_block_merge_config_selectorIjN6thrust23THRUST_200600_302600_NS5tupleIffNS6_9null_typeES8_S8_S8_S8_S8_S8_S8_EEEEZZNS1_27merge_sort_block_merge_implIS3_NS6_6detail15normal_iteratorINS6_10device_ptrIjEEEENSD_INSE_IS9_EEEEjNS1_19radix_merge_compareILb0ELb0EjNS0_19identity_decomposerEEEEE10hipError_tT0_T1_T2_jT3_P12ihipStream_tbPNSt15iterator_traitsISN_E10value_typeEPNST_ISO_E10value_typeEPSP_NS1_7vsmem_tEENKUlT_SN_SO_SP_E_clIPjSG_PS9_SI_EESM_S12_SN_SO_SP_EUlS12_E_NS1_11comp_targetILNS1_3genE9ELNS1_11target_archE1100ELNS1_3gpuE3ELNS1_3repE0EEENS1_48merge_mergepath_partition_config_static_selectorELNS0_4arch9wavefront6targetE0EEEvSO_
	.p2align	8
	.type	_ZN7rocprim17ROCPRIM_400000_NS6detail17trampoline_kernelINS0_14default_configENS1_38merge_sort_block_merge_config_selectorIjN6thrust23THRUST_200600_302600_NS5tupleIffNS6_9null_typeES8_S8_S8_S8_S8_S8_S8_EEEEZZNS1_27merge_sort_block_merge_implIS3_NS6_6detail15normal_iteratorINS6_10device_ptrIjEEEENSD_INSE_IS9_EEEEjNS1_19radix_merge_compareILb0ELb0EjNS0_19identity_decomposerEEEEE10hipError_tT0_T1_T2_jT3_P12ihipStream_tbPNSt15iterator_traitsISN_E10value_typeEPNST_ISO_E10value_typeEPSP_NS1_7vsmem_tEENKUlT_SN_SO_SP_E_clIPjSG_PS9_SI_EESM_S12_SN_SO_SP_EUlS12_E_NS1_11comp_targetILNS1_3genE9ELNS1_11target_archE1100ELNS1_3gpuE3ELNS1_3repE0EEENS1_48merge_mergepath_partition_config_static_selectorELNS0_4arch9wavefront6targetE0EEEvSO_,@function
_ZN7rocprim17ROCPRIM_400000_NS6detail17trampoline_kernelINS0_14default_configENS1_38merge_sort_block_merge_config_selectorIjN6thrust23THRUST_200600_302600_NS5tupleIffNS6_9null_typeES8_S8_S8_S8_S8_S8_S8_EEEEZZNS1_27merge_sort_block_merge_implIS3_NS6_6detail15normal_iteratorINS6_10device_ptrIjEEEENSD_INSE_IS9_EEEEjNS1_19radix_merge_compareILb0ELb0EjNS0_19identity_decomposerEEEEE10hipError_tT0_T1_T2_jT3_P12ihipStream_tbPNSt15iterator_traitsISN_E10value_typeEPNST_ISO_E10value_typeEPSP_NS1_7vsmem_tEENKUlT_SN_SO_SP_E_clIPjSG_PS9_SI_EESM_S12_SN_SO_SP_EUlS12_E_NS1_11comp_targetILNS1_3genE9ELNS1_11target_archE1100ELNS1_3gpuE3ELNS1_3repE0EEENS1_48merge_mergepath_partition_config_static_selectorELNS0_4arch9wavefront6targetE0EEEvSO_: ; @_ZN7rocprim17ROCPRIM_400000_NS6detail17trampoline_kernelINS0_14default_configENS1_38merge_sort_block_merge_config_selectorIjN6thrust23THRUST_200600_302600_NS5tupleIffNS6_9null_typeES8_S8_S8_S8_S8_S8_S8_EEEEZZNS1_27merge_sort_block_merge_implIS3_NS6_6detail15normal_iteratorINS6_10device_ptrIjEEEENSD_INSE_IS9_EEEEjNS1_19radix_merge_compareILb0ELb0EjNS0_19identity_decomposerEEEEE10hipError_tT0_T1_T2_jT3_P12ihipStream_tbPNSt15iterator_traitsISN_E10value_typeEPNST_ISO_E10value_typeEPSP_NS1_7vsmem_tEENKUlT_SN_SO_SP_E_clIPjSG_PS9_SI_EESM_S12_SN_SO_SP_EUlS12_E_NS1_11comp_targetILNS1_3genE9ELNS1_11target_archE1100ELNS1_3gpuE3ELNS1_3repE0EEENS1_48merge_mergepath_partition_config_static_selectorELNS0_4arch9wavefront6targetE0EEEvSO_
; %bb.0:
	.section	.rodata,"a",@progbits
	.p2align	6, 0x0
	.amdhsa_kernel _ZN7rocprim17ROCPRIM_400000_NS6detail17trampoline_kernelINS0_14default_configENS1_38merge_sort_block_merge_config_selectorIjN6thrust23THRUST_200600_302600_NS5tupleIffNS6_9null_typeES8_S8_S8_S8_S8_S8_S8_EEEEZZNS1_27merge_sort_block_merge_implIS3_NS6_6detail15normal_iteratorINS6_10device_ptrIjEEEENSD_INSE_IS9_EEEEjNS1_19radix_merge_compareILb0ELb0EjNS0_19identity_decomposerEEEEE10hipError_tT0_T1_T2_jT3_P12ihipStream_tbPNSt15iterator_traitsISN_E10value_typeEPNST_ISO_E10value_typeEPSP_NS1_7vsmem_tEENKUlT_SN_SO_SP_E_clIPjSG_PS9_SI_EESM_S12_SN_SO_SP_EUlS12_E_NS1_11comp_targetILNS1_3genE9ELNS1_11target_archE1100ELNS1_3gpuE3ELNS1_3repE0EEENS1_48merge_mergepath_partition_config_static_selectorELNS0_4arch9wavefront6targetE0EEEvSO_
		.amdhsa_group_segment_fixed_size 0
		.amdhsa_private_segment_fixed_size 0
		.amdhsa_kernarg_size 40
		.amdhsa_user_sgpr_count 2
		.amdhsa_user_sgpr_dispatch_ptr 0
		.amdhsa_user_sgpr_queue_ptr 0
		.amdhsa_user_sgpr_kernarg_segment_ptr 1
		.amdhsa_user_sgpr_dispatch_id 0
		.amdhsa_user_sgpr_private_segment_size 0
		.amdhsa_wavefront_size32 1
		.amdhsa_uses_dynamic_stack 0
		.amdhsa_enable_private_segment 0
		.amdhsa_system_sgpr_workgroup_id_x 1
		.amdhsa_system_sgpr_workgroup_id_y 0
		.amdhsa_system_sgpr_workgroup_id_z 0
		.amdhsa_system_sgpr_workgroup_info 0
		.amdhsa_system_vgpr_workitem_id 0
		.amdhsa_next_free_vgpr 1
		.amdhsa_next_free_sgpr 1
		.amdhsa_reserve_vcc 0
		.amdhsa_float_round_mode_32 0
		.amdhsa_float_round_mode_16_64 0
		.amdhsa_float_denorm_mode_32 3
		.amdhsa_float_denorm_mode_16_64 3
		.amdhsa_fp16_overflow 0
		.amdhsa_workgroup_processor_mode 1
		.amdhsa_memory_ordered 1
		.amdhsa_forward_progress 1
		.amdhsa_inst_pref_size 0
		.amdhsa_round_robin_scheduling 0
		.amdhsa_exception_fp_ieee_invalid_op 0
		.amdhsa_exception_fp_denorm_src 0
		.amdhsa_exception_fp_ieee_div_zero 0
		.amdhsa_exception_fp_ieee_overflow 0
		.amdhsa_exception_fp_ieee_underflow 0
		.amdhsa_exception_fp_ieee_inexact 0
		.amdhsa_exception_int_div_zero 0
	.end_amdhsa_kernel
	.section	.text._ZN7rocprim17ROCPRIM_400000_NS6detail17trampoline_kernelINS0_14default_configENS1_38merge_sort_block_merge_config_selectorIjN6thrust23THRUST_200600_302600_NS5tupleIffNS6_9null_typeES8_S8_S8_S8_S8_S8_S8_EEEEZZNS1_27merge_sort_block_merge_implIS3_NS6_6detail15normal_iteratorINS6_10device_ptrIjEEEENSD_INSE_IS9_EEEEjNS1_19radix_merge_compareILb0ELb0EjNS0_19identity_decomposerEEEEE10hipError_tT0_T1_T2_jT3_P12ihipStream_tbPNSt15iterator_traitsISN_E10value_typeEPNST_ISO_E10value_typeEPSP_NS1_7vsmem_tEENKUlT_SN_SO_SP_E_clIPjSG_PS9_SI_EESM_S12_SN_SO_SP_EUlS12_E_NS1_11comp_targetILNS1_3genE9ELNS1_11target_archE1100ELNS1_3gpuE3ELNS1_3repE0EEENS1_48merge_mergepath_partition_config_static_selectorELNS0_4arch9wavefront6targetE0EEEvSO_,"axG",@progbits,_ZN7rocprim17ROCPRIM_400000_NS6detail17trampoline_kernelINS0_14default_configENS1_38merge_sort_block_merge_config_selectorIjN6thrust23THRUST_200600_302600_NS5tupleIffNS6_9null_typeES8_S8_S8_S8_S8_S8_S8_EEEEZZNS1_27merge_sort_block_merge_implIS3_NS6_6detail15normal_iteratorINS6_10device_ptrIjEEEENSD_INSE_IS9_EEEEjNS1_19radix_merge_compareILb0ELb0EjNS0_19identity_decomposerEEEEE10hipError_tT0_T1_T2_jT3_P12ihipStream_tbPNSt15iterator_traitsISN_E10value_typeEPNST_ISO_E10value_typeEPSP_NS1_7vsmem_tEENKUlT_SN_SO_SP_E_clIPjSG_PS9_SI_EESM_S12_SN_SO_SP_EUlS12_E_NS1_11comp_targetILNS1_3genE9ELNS1_11target_archE1100ELNS1_3gpuE3ELNS1_3repE0EEENS1_48merge_mergepath_partition_config_static_selectorELNS0_4arch9wavefront6targetE0EEEvSO_,comdat
.Lfunc_end31:
	.size	_ZN7rocprim17ROCPRIM_400000_NS6detail17trampoline_kernelINS0_14default_configENS1_38merge_sort_block_merge_config_selectorIjN6thrust23THRUST_200600_302600_NS5tupleIffNS6_9null_typeES8_S8_S8_S8_S8_S8_S8_EEEEZZNS1_27merge_sort_block_merge_implIS3_NS6_6detail15normal_iteratorINS6_10device_ptrIjEEEENSD_INSE_IS9_EEEEjNS1_19radix_merge_compareILb0ELb0EjNS0_19identity_decomposerEEEEE10hipError_tT0_T1_T2_jT3_P12ihipStream_tbPNSt15iterator_traitsISN_E10value_typeEPNST_ISO_E10value_typeEPSP_NS1_7vsmem_tEENKUlT_SN_SO_SP_E_clIPjSG_PS9_SI_EESM_S12_SN_SO_SP_EUlS12_E_NS1_11comp_targetILNS1_3genE9ELNS1_11target_archE1100ELNS1_3gpuE3ELNS1_3repE0EEENS1_48merge_mergepath_partition_config_static_selectorELNS0_4arch9wavefront6targetE0EEEvSO_, .Lfunc_end31-_ZN7rocprim17ROCPRIM_400000_NS6detail17trampoline_kernelINS0_14default_configENS1_38merge_sort_block_merge_config_selectorIjN6thrust23THRUST_200600_302600_NS5tupleIffNS6_9null_typeES8_S8_S8_S8_S8_S8_S8_EEEEZZNS1_27merge_sort_block_merge_implIS3_NS6_6detail15normal_iteratorINS6_10device_ptrIjEEEENSD_INSE_IS9_EEEEjNS1_19radix_merge_compareILb0ELb0EjNS0_19identity_decomposerEEEEE10hipError_tT0_T1_T2_jT3_P12ihipStream_tbPNSt15iterator_traitsISN_E10value_typeEPNST_ISO_E10value_typeEPSP_NS1_7vsmem_tEENKUlT_SN_SO_SP_E_clIPjSG_PS9_SI_EESM_S12_SN_SO_SP_EUlS12_E_NS1_11comp_targetILNS1_3genE9ELNS1_11target_archE1100ELNS1_3gpuE3ELNS1_3repE0EEENS1_48merge_mergepath_partition_config_static_selectorELNS0_4arch9wavefront6targetE0EEEvSO_
                                        ; -- End function
	.set _ZN7rocprim17ROCPRIM_400000_NS6detail17trampoline_kernelINS0_14default_configENS1_38merge_sort_block_merge_config_selectorIjN6thrust23THRUST_200600_302600_NS5tupleIffNS6_9null_typeES8_S8_S8_S8_S8_S8_S8_EEEEZZNS1_27merge_sort_block_merge_implIS3_NS6_6detail15normal_iteratorINS6_10device_ptrIjEEEENSD_INSE_IS9_EEEEjNS1_19radix_merge_compareILb0ELb0EjNS0_19identity_decomposerEEEEE10hipError_tT0_T1_T2_jT3_P12ihipStream_tbPNSt15iterator_traitsISN_E10value_typeEPNST_ISO_E10value_typeEPSP_NS1_7vsmem_tEENKUlT_SN_SO_SP_E_clIPjSG_PS9_SI_EESM_S12_SN_SO_SP_EUlS12_E_NS1_11comp_targetILNS1_3genE9ELNS1_11target_archE1100ELNS1_3gpuE3ELNS1_3repE0EEENS1_48merge_mergepath_partition_config_static_selectorELNS0_4arch9wavefront6targetE0EEEvSO_.num_vgpr, 0
	.set _ZN7rocprim17ROCPRIM_400000_NS6detail17trampoline_kernelINS0_14default_configENS1_38merge_sort_block_merge_config_selectorIjN6thrust23THRUST_200600_302600_NS5tupleIffNS6_9null_typeES8_S8_S8_S8_S8_S8_S8_EEEEZZNS1_27merge_sort_block_merge_implIS3_NS6_6detail15normal_iteratorINS6_10device_ptrIjEEEENSD_INSE_IS9_EEEEjNS1_19radix_merge_compareILb0ELb0EjNS0_19identity_decomposerEEEEE10hipError_tT0_T1_T2_jT3_P12ihipStream_tbPNSt15iterator_traitsISN_E10value_typeEPNST_ISO_E10value_typeEPSP_NS1_7vsmem_tEENKUlT_SN_SO_SP_E_clIPjSG_PS9_SI_EESM_S12_SN_SO_SP_EUlS12_E_NS1_11comp_targetILNS1_3genE9ELNS1_11target_archE1100ELNS1_3gpuE3ELNS1_3repE0EEENS1_48merge_mergepath_partition_config_static_selectorELNS0_4arch9wavefront6targetE0EEEvSO_.num_agpr, 0
	.set _ZN7rocprim17ROCPRIM_400000_NS6detail17trampoline_kernelINS0_14default_configENS1_38merge_sort_block_merge_config_selectorIjN6thrust23THRUST_200600_302600_NS5tupleIffNS6_9null_typeES8_S8_S8_S8_S8_S8_S8_EEEEZZNS1_27merge_sort_block_merge_implIS3_NS6_6detail15normal_iteratorINS6_10device_ptrIjEEEENSD_INSE_IS9_EEEEjNS1_19radix_merge_compareILb0ELb0EjNS0_19identity_decomposerEEEEE10hipError_tT0_T1_T2_jT3_P12ihipStream_tbPNSt15iterator_traitsISN_E10value_typeEPNST_ISO_E10value_typeEPSP_NS1_7vsmem_tEENKUlT_SN_SO_SP_E_clIPjSG_PS9_SI_EESM_S12_SN_SO_SP_EUlS12_E_NS1_11comp_targetILNS1_3genE9ELNS1_11target_archE1100ELNS1_3gpuE3ELNS1_3repE0EEENS1_48merge_mergepath_partition_config_static_selectorELNS0_4arch9wavefront6targetE0EEEvSO_.numbered_sgpr, 0
	.set _ZN7rocprim17ROCPRIM_400000_NS6detail17trampoline_kernelINS0_14default_configENS1_38merge_sort_block_merge_config_selectorIjN6thrust23THRUST_200600_302600_NS5tupleIffNS6_9null_typeES8_S8_S8_S8_S8_S8_S8_EEEEZZNS1_27merge_sort_block_merge_implIS3_NS6_6detail15normal_iteratorINS6_10device_ptrIjEEEENSD_INSE_IS9_EEEEjNS1_19radix_merge_compareILb0ELb0EjNS0_19identity_decomposerEEEEE10hipError_tT0_T1_T2_jT3_P12ihipStream_tbPNSt15iterator_traitsISN_E10value_typeEPNST_ISO_E10value_typeEPSP_NS1_7vsmem_tEENKUlT_SN_SO_SP_E_clIPjSG_PS9_SI_EESM_S12_SN_SO_SP_EUlS12_E_NS1_11comp_targetILNS1_3genE9ELNS1_11target_archE1100ELNS1_3gpuE3ELNS1_3repE0EEENS1_48merge_mergepath_partition_config_static_selectorELNS0_4arch9wavefront6targetE0EEEvSO_.num_named_barrier, 0
	.set _ZN7rocprim17ROCPRIM_400000_NS6detail17trampoline_kernelINS0_14default_configENS1_38merge_sort_block_merge_config_selectorIjN6thrust23THRUST_200600_302600_NS5tupleIffNS6_9null_typeES8_S8_S8_S8_S8_S8_S8_EEEEZZNS1_27merge_sort_block_merge_implIS3_NS6_6detail15normal_iteratorINS6_10device_ptrIjEEEENSD_INSE_IS9_EEEEjNS1_19radix_merge_compareILb0ELb0EjNS0_19identity_decomposerEEEEE10hipError_tT0_T1_T2_jT3_P12ihipStream_tbPNSt15iterator_traitsISN_E10value_typeEPNST_ISO_E10value_typeEPSP_NS1_7vsmem_tEENKUlT_SN_SO_SP_E_clIPjSG_PS9_SI_EESM_S12_SN_SO_SP_EUlS12_E_NS1_11comp_targetILNS1_3genE9ELNS1_11target_archE1100ELNS1_3gpuE3ELNS1_3repE0EEENS1_48merge_mergepath_partition_config_static_selectorELNS0_4arch9wavefront6targetE0EEEvSO_.private_seg_size, 0
	.set _ZN7rocprim17ROCPRIM_400000_NS6detail17trampoline_kernelINS0_14default_configENS1_38merge_sort_block_merge_config_selectorIjN6thrust23THRUST_200600_302600_NS5tupleIffNS6_9null_typeES8_S8_S8_S8_S8_S8_S8_EEEEZZNS1_27merge_sort_block_merge_implIS3_NS6_6detail15normal_iteratorINS6_10device_ptrIjEEEENSD_INSE_IS9_EEEEjNS1_19radix_merge_compareILb0ELb0EjNS0_19identity_decomposerEEEEE10hipError_tT0_T1_T2_jT3_P12ihipStream_tbPNSt15iterator_traitsISN_E10value_typeEPNST_ISO_E10value_typeEPSP_NS1_7vsmem_tEENKUlT_SN_SO_SP_E_clIPjSG_PS9_SI_EESM_S12_SN_SO_SP_EUlS12_E_NS1_11comp_targetILNS1_3genE9ELNS1_11target_archE1100ELNS1_3gpuE3ELNS1_3repE0EEENS1_48merge_mergepath_partition_config_static_selectorELNS0_4arch9wavefront6targetE0EEEvSO_.uses_vcc, 0
	.set _ZN7rocprim17ROCPRIM_400000_NS6detail17trampoline_kernelINS0_14default_configENS1_38merge_sort_block_merge_config_selectorIjN6thrust23THRUST_200600_302600_NS5tupleIffNS6_9null_typeES8_S8_S8_S8_S8_S8_S8_EEEEZZNS1_27merge_sort_block_merge_implIS3_NS6_6detail15normal_iteratorINS6_10device_ptrIjEEEENSD_INSE_IS9_EEEEjNS1_19radix_merge_compareILb0ELb0EjNS0_19identity_decomposerEEEEE10hipError_tT0_T1_T2_jT3_P12ihipStream_tbPNSt15iterator_traitsISN_E10value_typeEPNST_ISO_E10value_typeEPSP_NS1_7vsmem_tEENKUlT_SN_SO_SP_E_clIPjSG_PS9_SI_EESM_S12_SN_SO_SP_EUlS12_E_NS1_11comp_targetILNS1_3genE9ELNS1_11target_archE1100ELNS1_3gpuE3ELNS1_3repE0EEENS1_48merge_mergepath_partition_config_static_selectorELNS0_4arch9wavefront6targetE0EEEvSO_.uses_flat_scratch, 0
	.set _ZN7rocprim17ROCPRIM_400000_NS6detail17trampoline_kernelINS0_14default_configENS1_38merge_sort_block_merge_config_selectorIjN6thrust23THRUST_200600_302600_NS5tupleIffNS6_9null_typeES8_S8_S8_S8_S8_S8_S8_EEEEZZNS1_27merge_sort_block_merge_implIS3_NS6_6detail15normal_iteratorINS6_10device_ptrIjEEEENSD_INSE_IS9_EEEEjNS1_19radix_merge_compareILb0ELb0EjNS0_19identity_decomposerEEEEE10hipError_tT0_T1_T2_jT3_P12ihipStream_tbPNSt15iterator_traitsISN_E10value_typeEPNST_ISO_E10value_typeEPSP_NS1_7vsmem_tEENKUlT_SN_SO_SP_E_clIPjSG_PS9_SI_EESM_S12_SN_SO_SP_EUlS12_E_NS1_11comp_targetILNS1_3genE9ELNS1_11target_archE1100ELNS1_3gpuE3ELNS1_3repE0EEENS1_48merge_mergepath_partition_config_static_selectorELNS0_4arch9wavefront6targetE0EEEvSO_.has_dyn_sized_stack, 0
	.set _ZN7rocprim17ROCPRIM_400000_NS6detail17trampoline_kernelINS0_14default_configENS1_38merge_sort_block_merge_config_selectorIjN6thrust23THRUST_200600_302600_NS5tupleIffNS6_9null_typeES8_S8_S8_S8_S8_S8_S8_EEEEZZNS1_27merge_sort_block_merge_implIS3_NS6_6detail15normal_iteratorINS6_10device_ptrIjEEEENSD_INSE_IS9_EEEEjNS1_19radix_merge_compareILb0ELb0EjNS0_19identity_decomposerEEEEE10hipError_tT0_T1_T2_jT3_P12ihipStream_tbPNSt15iterator_traitsISN_E10value_typeEPNST_ISO_E10value_typeEPSP_NS1_7vsmem_tEENKUlT_SN_SO_SP_E_clIPjSG_PS9_SI_EESM_S12_SN_SO_SP_EUlS12_E_NS1_11comp_targetILNS1_3genE9ELNS1_11target_archE1100ELNS1_3gpuE3ELNS1_3repE0EEENS1_48merge_mergepath_partition_config_static_selectorELNS0_4arch9wavefront6targetE0EEEvSO_.has_recursion, 0
	.set _ZN7rocprim17ROCPRIM_400000_NS6detail17trampoline_kernelINS0_14default_configENS1_38merge_sort_block_merge_config_selectorIjN6thrust23THRUST_200600_302600_NS5tupleIffNS6_9null_typeES8_S8_S8_S8_S8_S8_S8_EEEEZZNS1_27merge_sort_block_merge_implIS3_NS6_6detail15normal_iteratorINS6_10device_ptrIjEEEENSD_INSE_IS9_EEEEjNS1_19radix_merge_compareILb0ELb0EjNS0_19identity_decomposerEEEEE10hipError_tT0_T1_T2_jT3_P12ihipStream_tbPNSt15iterator_traitsISN_E10value_typeEPNST_ISO_E10value_typeEPSP_NS1_7vsmem_tEENKUlT_SN_SO_SP_E_clIPjSG_PS9_SI_EESM_S12_SN_SO_SP_EUlS12_E_NS1_11comp_targetILNS1_3genE9ELNS1_11target_archE1100ELNS1_3gpuE3ELNS1_3repE0EEENS1_48merge_mergepath_partition_config_static_selectorELNS0_4arch9wavefront6targetE0EEEvSO_.has_indirect_call, 0
	.section	.AMDGPU.csdata,"",@progbits
; Kernel info:
; codeLenInByte = 0
; TotalNumSgprs: 0
; NumVgprs: 0
; ScratchSize: 0
; MemoryBound: 0
; FloatMode: 240
; IeeeMode: 1
; LDSByteSize: 0 bytes/workgroup (compile time only)
; SGPRBlocks: 0
; VGPRBlocks: 0
; NumSGPRsForWavesPerEU: 1
; NumVGPRsForWavesPerEU: 1
; Occupancy: 16
; WaveLimiterHint : 0
; COMPUTE_PGM_RSRC2:SCRATCH_EN: 0
; COMPUTE_PGM_RSRC2:USER_SGPR: 2
; COMPUTE_PGM_RSRC2:TRAP_HANDLER: 0
; COMPUTE_PGM_RSRC2:TGID_X_EN: 1
; COMPUTE_PGM_RSRC2:TGID_Y_EN: 0
; COMPUTE_PGM_RSRC2:TGID_Z_EN: 0
; COMPUTE_PGM_RSRC2:TIDIG_COMP_CNT: 0
	.section	.text._ZN7rocprim17ROCPRIM_400000_NS6detail17trampoline_kernelINS0_14default_configENS1_38merge_sort_block_merge_config_selectorIjN6thrust23THRUST_200600_302600_NS5tupleIffNS6_9null_typeES8_S8_S8_S8_S8_S8_S8_EEEEZZNS1_27merge_sort_block_merge_implIS3_NS6_6detail15normal_iteratorINS6_10device_ptrIjEEEENSD_INSE_IS9_EEEEjNS1_19radix_merge_compareILb0ELb0EjNS0_19identity_decomposerEEEEE10hipError_tT0_T1_T2_jT3_P12ihipStream_tbPNSt15iterator_traitsISN_E10value_typeEPNST_ISO_E10value_typeEPSP_NS1_7vsmem_tEENKUlT_SN_SO_SP_E_clIPjSG_PS9_SI_EESM_S12_SN_SO_SP_EUlS12_E_NS1_11comp_targetILNS1_3genE8ELNS1_11target_archE1030ELNS1_3gpuE2ELNS1_3repE0EEENS1_48merge_mergepath_partition_config_static_selectorELNS0_4arch9wavefront6targetE0EEEvSO_,"axG",@progbits,_ZN7rocprim17ROCPRIM_400000_NS6detail17trampoline_kernelINS0_14default_configENS1_38merge_sort_block_merge_config_selectorIjN6thrust23THRUST_200600_302600_NS5tupleIffNS6_9null_typeES8_S8_S8_S8_S8_S8_S8_EEEEZZNS1_27merge_sort_block_merge_implIS3_NS6_6detail15normal_iteratorINS6_10device_ptrIjEEEENSD_INSE_IS9_EEEEjNS1_19radix_merge_compareILb0ELb0EjNS0_19identity_decomposerEEEEE10hipError_tT0_T1_T2_jT3_P12ihipStream_tbPNSt15iterator_traitsISN_E10value_typeEPNST_ISO_E10value_typeEPSP_NS1_7vsmem_tEENKUlT_SN_SO_SP_E_clIPjSG_PS9_SI_EESM_S12_SN_SO_SP_EUlS12_E_NS1_11comp_targetILNS1_3genE8ELNS1_11target_archE1030ELNS1_3gpuE2ELNS1_3repE0EEENS1_48merge_mergepath_partition_config_static_selectorELNS0_4arch9wavefront6targetE0EEEvSO_,comdat
	.protected	_ZN7rocprim17ROCPRIM_400000_NS6detail17trampoline_kernelINS0_14default_configENS1_38merge_sort_block_merge_config_selectorIjN6thrust23THRUST_200600_302600_NS5tupleIffNS6_9null_typeES8_S8_S8_S8_S8_S8_S8_EEEEZZNS1_27merge_sort_block_merge_implIS3_NS6_6detail15normal_iteratorINS6_10device_ptrIjEEEENSD_INSE_IS9_EEEEjNS1_19radix_merge_compareILb0ELb0EjNS0_19identity_decomposerEEEEE10hipError_tT0_T1_T2_jT3_P12ihipStream_tbPNSt15iterator_traitsISN_E10value_typeEPNST_ISO_E10value_typeEPSP_NS1_7vsmem_tEENKUlT_SN_SO_SP_E_clIPjSG_PS9_SI_EESM_S12_SN_SO_SP_EUlS12_E_NS1_11comp_targetILNS1_3genE8ELNS1_11target_archE1030ELNS1_3gpuE2ELNS1_3repE0EEENS1_48merge_mergepath_partition_config_static_selectorELNS0_4arch9wavefront6targetE0EEEvSO_ ; -- Begin function _ZN7rocprim17ROCPRIM_400000_NS6detail17trampoline_kernelINS0_14default_configENS1_38merge_sort_block_merge_config_selectorIjN6thrust23THRUST_200600_302600_NS5tupleIffNS6_9null_typeES8_S8_S8_S8_S8_S8_S8_EEEEZZNS1_27merge_sort_block_merge_implIS3_NS6_6detail15normal_iteratorINS6_10device_ptrIjEEEENSD_INSE_IS9_EEEEjNS1_19radix_merge_compareILb0ELb0EjNS0_19identity_decomposerEEEEE10hipError_tT0_T1_T2_jT3_P12ihipStream_tbPNSt15iterator_traitsISN_E10value_typeEPNST_ISO_E10value_typeEPSP_NS1_7vsmem_tEENKUlT_SN_SO_SP_E_clIPjSG_PS9_SI_EESM_S12_SN_SO_SP_EUlS12_E_NS1_11comp_targetILNS1_3genE8ELNS1_11target_archE1030ELNS1_3gpuE2ELNS1_3repE0EEENS1_48merge_mergepath_partition_config_static_selectorELNS0_4arch9wavefront6targetE0EEEvSO_
	.globl	_ZN7rocprim17ROCPRIM_400000_NS6detail17trampoline_kernelINS0_14default_configENS1_38merge_sort_block_merge_config_selectorIjN6thrust23THRUST_200600_302600_NS5tupleIffNS6_9null_typeES8_S8_S8_S8_S8_S8_S8_EEEEZZNS1_27merge_sort_block_merge_implIS3_NS6_6detail15normal_iteratorINS6_10device_ptrIjEEEENSD_INSE_IS9_EEEEjNS1_19radix_merge_compareILb0ELb0EjNS0_19identity_decomposerEEEEE10hipError_tT0_T1_T2_jT3_P12ihipStream_tbPNSt15iterator_traitsISN_E10value_typeEPNST_ISO_E10value_typeEPSP_NS1_7vsmem_tEENKUlT_SN_SO_SP_E_clIPjSG_PS9_SI_EESM_S12_SN_SO_SP_EUlS12_E_NS1_11comp_targetILNS1_3genE8ELNS1_11target_archE1030ELNS1_3gpuE2ELNS1_3repE0EEENS1_48merge_mergepath_partition_config_static_selectorELNS0_4arch9wavefront6targetE0EEEvSO_
	.p2align	8
	.type	_ZN7rocprim17ROCPRIM_400000_NS6detail17trampoline_kernelINS0_14default_configENS1_38merge_sort_block_merge_config_selectorIjN6thrust23THRUST_200600_302600_NS5tupleIffNS6_9null_typeES8_S8_S8_S8_S8_S8_S8_EEEEZZNS1_27merge_sort_block_merge_implIS3_NS6_6detail15normal_iteratorINS6_10device_ptrIjEEEENSD_INSE_IS9_EEEEjNS1_19radix_merge_compareILb0ELb0EjNS0_19identity_decomposerEEEEE10hipError_tT0_T1_T2_jT3_P12ihipStream_tbPNSt15iterator_traitsISN_E10value_typeEPNST_ISO_E10value_typeEPSP_NS1_7vsmem_tEENKUlT_SN_SO_SP_E_clIPjSG_PS9_SI_EESM_S12_SN_SO_SP_EUlS12_E_NS1_11comp_targetILNS1_3genE8ELNS1_11target_archE1030ELNS1_3gpuE2ELNS1_3repE0EEENS1_48merge_mergepath_partition_config_static_selectorELNS0_4arch9wavefront6targetE0EEEvSO_,@function
_ZN7rocprim17ROCPRIM_400000_NS6detail17trampoline_kernelINS0_14default_configENS1_38merge_sort_block_merge_config_selectorIjN6thrust23THRUST_200600_302600_NS5tupleIffNS6_9null_typeES8_S8_S8_S8_S8_S8_S8_EEEEZZNS1_27merge_sort_block_merge_implIS3_NS6_6detail15normal_iteratorINS6_10device_ptrIjEEEENSD_INSE_IS9_EEEEjNS1_19radix_merge_compareILb0ELb0EjNS0_19identity_decomposerEEEEE10hipError_tT0_T1_T2_jT3_P12ihipStream_tbPNSt15iterator_traitsISN_E10value_typeEPNST_ISO_E10value_typeEPSP_NS1_7vsmem_tEENKUlT_SN_SO_SP_E_clIPjSG_PS9_SI_EESM_S12_SN_SO_SP_EUlS12_E_NS1_11comp_targetILNS1_3genE8ELNS1_11target_archE1030ELNS1_3gpuE2ELNS1_3repE0EEENS1_48merge_mergepath_partition_config_static_selectorELNS0_4arch9wavefront6targetE0EEEvSO_: ; @_ZN7rocprim17ROCPRIM_400000_NS6detail17trampoline_kernelINS0_14default_configENS1_38merge_sort_block_merge_config_selectorIjN6thrust23THRUST_200600_302600_NS5tupleIffNS6_9null_typeES8_S8_S8_S8_S8_S8_S8_EEEEZZNS1_27merge_sort_block_merge_implIS3_NS6_6detail15normal_iteratorINS6_10device_ptrIjEEEENSD_INSE_IS9_EEEEjNS1_19radix_merge_compareILb0ELb0EjNS0_19identity_decomposerEEEEE10hipError_tT0_T1_T2_jT3_P12ihipStream_tbPNSt15iterator_traitsISN_E10value_typeEPNST_ISO_E10value_typeEPSP_NS1_7vsmem_tEENKUlT_SN_SO_SP_E_clIPjSG_PS9_SI_EESM_S12_SN_SO_SP_EUlS12_E_NS1_11comp_targetILNS1_3genE8ELNS1_11target_archE1030ELNS1_3gpuE2ELNS1_3repE0EEENS1_48merge_mergepath_partition_config_static_selectorELNS0_4arch9wavefront6targetE0EEEvSO_
; %bb.0:
	.section	.rodata,"a",@progbits
	.p2align	6, 0x0
	.amdhsa_kernel _ZN7rocprim17ROCPRIM_400000_NS6detail17trampoline_kernelINS0_14default_configENS1_38merge_sort_block_merge_config_selectorIjN6thrust23THRUST_200600_302600_NS5tupleIffNS6_9null_typeES8_S8_S8_S8_S8_S8_S8_EEEEZZNS1_27merge_sort_block_merge_implIS3_NS6_6detail15normal_iteratorINS6_10device_ptrIjEEEENSD_INSE_IS9_EEEEjNS1_19radix_merge_compareILb0ELb0EjNS0_19identity_decomposerEEEEE10hipError_tT0_T1_T2_jT3_P12ihipStream_tbPNSt15iterator_traitsISN_E10value_typeEPNST_ISO_E10value_typeEPSP_NS1_7vsmem_tEENKUlT_SN_SO_SP_E_clIPjSG_PS9_SI_EESM_S12_SN_SO_SP_EUlS12_E_NS1_11comp_targetILNS1_3genE8ELNS1_11target_archE1030ELNS1_3gpuE2ELNS1_3repE0EEENS1_48merge_mergepath_partition_config_static_selectorELNS0_4arch9wavefront6targetE0EEEvSO_
		.amdhsa_group_segment_fixed_size 0
		.amdhsa_private_segment_fixed_size 0
		.amdhsa_kernarg_size 40
		.amdhsa_user_sgpr_count 2
		.amdhsa_user_sgpr_dispatch_ptr 0
		.amdhsa_user_sgpr_queue_ptr 0
		.amdhsa_user_sgpr_kernarg_segment_ptr 1
		.amdhsa_user_sgpr_dispatch_id 0
		.amdhsa_user_sgpr_private_segment_size 0
		.amdhsa_wavefront_size32 1
		.amdhsa_uses_dynamic_stack 0
		.amdhsa_enable_private_segment 0
		.amdhsa_system_sgpr_workgroup_id_x 1
		.amdhsa_system_sgpr_workgroup_id_y 0
		.amdhsa_system_sgpr_workgroup_id_z 0
		.amdhsa_system_sgpr_workgroup_info 0
		.amdhsa_system_vgpr_workitem_id 0
		.amdhsa_next_free_vgpr 1
		.amdhsa_next_free_sgpr 1
		.amdhsa_reserve_vcc 0
		.amdhsa_float_round_mode_32 0
		.amdhsa_float_round_mode_16_64 0
		.amdhsa_float_denorm_mode_32 3
		.amdhsa_float_denorm_mode_16_64 3
		.amdhsa_fp16_overflow 0
		.amdhsa_workgroup_processor_mode 1
		.amdhsa_memory_ordered 1
		.amdhsa_forward_progress 1
		.amdhsa_inst_pref_size 0
		.amdhsa_round_robin_scheduling 0
		.amdhsa_exception_fp_ieee_invalid_op 0
		.amdhsa_exception_fp_denorm_src 0
		.amdhsa_exception_fp_ieee_div_zero 0
		.amdhsa_exception_fp_ieee_overflow 0
		.amdhsa_exception_fp_ieee_underflow 0
		.amdhsa_exception_fp_ieee_inexact 0
		.amdhsa_exception_int_div_zero 0
	.end_amdhsa_kernel
	.section	.text._ZN7rocprim17ROCPRIM_400000_NS6detail17trampoline_kernelINS0_14default_configENS1_38merge_sort_block_merge_config_selectorIjN6thrust23THRUST_200600_302600_NS5tupleIffNS6_9null_typeES8_S8_S8_S8_S8_S8_S8_EEEEZZNS1_27merge_sort_block_merge_implIS3_NS6_6detail15normal_iteratorINS6_10device_ptrIjEEEENSD_INSE_IS9_EEEEjNS1_19radix_merge_compareILb0ELb0EjNS0_19identity_decomposerEEEEE10hipError_tT0_T1_T2_jT3_P12ihipStream_tbPNSt15iterator_traitsISN_E10value_typeEPNST_ISO_E10value_typeEPSP_NS1_7vsmem_tEENKUlT_SN_SO_SP_E_clIPjSG_PS9_SI_EESM_S12_SN_SO_SP_EUlS12_E_NS1_11comp_targetILNS1_3genE8ELNS1_11target_archE1030ELNS1_3gpuE2ELNS1_3repE0EEENS1_48merge_mergepath_partition_config_static_selectorELNS0_4arch9wavefront6targetE0EEEvSO_,"axG",@progbits,_ZN7rocprim17ROCPRIM_400000_NS6detail17trampoline_kernelINS0_14default_configENS1_38merge_sort_block_merge_config_selectorIjN6thrust23THRUST_200600_302600_NS5tupleIffNS6_9null_typeES8_S8_S8_S8_S8_S8_S8_EEEEZZNS1_27merge_sort_block_merge_implIS3_NS6_6detail15normal_iteratorINS6_10device_ptrIjEEEENSD_INSE_IS9_EEEEjNS1_19radix_merge_compareILb0ELb0EjNS0_19identity_decomposerEEEEE10hipError_tT0_T1_T2_jT3_P12ihipStream_tbPNSt15iterator_traitsISN_E10value_typeEPNST_ISO_E10value_typeEPSP_NS1_7vsmem_tEENKUlT_SN_SO_SP_E_clIPjSG_PS9_SI_EESM_S12_SN_SO_SP_EUlS12_E_NS1_11comp_targetILNS1_3genE8ELNS1_11target_archE1030ELNS1_3gpuE2ELNS1_3repE0EEENS1_48merge_mergepath_partition_config_static_selectorELNS0_4arch9wavefront6targetE0EEEvSO_,comdat
.Lfunc_end32:
	.size	_ZN7rocprim17ROCPRIM_400000_NS6detail17trampoline_kernelINS0_14default_configENS1_38merge_sort_block_merge_config_selectorIjN6thrust23THRUST_200600_302600_NS5tupleIffNS6_9null_typeES8_S8_S8_S8_S8_S8_S8_EEEEZZNS1_27merge_sort_block_merge_implIS3_NS6_6detail15normal_iteratorINS6_10device_ptrIjEEEENSD_INSE_IS9_EEEEjNS1_19radix_merge_compareILb0ELb0EjNS0_19identity_decomposerEEEEE10hipError_tT0_T1_T2_jT3_P12ihipStream_tbPNSt15iterator_traitsISN_E10value_typeEPNST_ISO_E10value_typeEPSP_NS1_7vsmem_tEENKUlT_SN_SO_SP_E_clIPjSG_PS9_SI_EESM_S12_SN_SO_SP_EUlS12_E_NS1_11comp_targetILNS1_3genE8ELNS1_11target_archE1030ELNS1_3gpuE2ELNS1_3repE0EEENS1_48merge_mergepath_partition_config_static_selectorELNS0_4arch9wavefront6targetE0EEEvSO_, .Lfunc_end32-_ZN7rocprim17ROCPRIM_400000_NS6detail17trampoline_kernelINS0_14default_configENS1_38merge_sort_block_merge_config_selectorIjN6thrust23THRUST_200600_302600_NS5tupleIffNS6_9null_typeES8_S8_S8_S8_S8_S8_S8_EEEEZZNS1_27merge_sort_block_merge_implIS3_NS6_6detail15normal_iteratorINS6_10device_ptrIjEEEENSD_INSE_IS9_EEEEjNS1_19radix_merge_compareILb0ELb0EjNS0_19identity_decomposerEEEEE10hipError_tT0_T1_T2_jT3_P12ihipStream_tbPNSt15iterator_traitsISN_E10value_typeEPNST_ISO_E10value_typeEPSP_NS1_7vsmem_tEENKUlT_SN_SO_SP_E_clIPjSG_PS9_SI_EESM_S12_SN_SO_SP_EUlS12_E_NS1_11comp_targetILNS1_3genE8ELNS1_11target_archE1030ELNS1_3gpuE2ELNS1_3repE0EEENS1_48merge_mergepath_partition_config_static_selectorELNS0_4arch9wavefront6targetE0EEEvSO_
                                        ; -- End function
	.set _ZN7rocprim17ROCPRIM_400000_NS6detail17trampoline_kernelINS0_14default_configENS1_38merge_sort_block_merge_config_selectorIjN6thrust23THRUST_200600_302600_NS5tupleIffNS6_9null_typeES8_S8_S8_S8_S8_S8_S8_EEEEZZNS1_27merge_sort_block_merge_implIS3_NS6_6detail15normal_iteratorINS6_10device_ptrIjEEEENSD_INSE_IS9_EEEEjNS1_19radix_merge_compareILb0ELb0EjNS0_19identity_decomposerEEEEE10hipError_tT0_T1_T2_jT3_P12ihipStream_tbPNSt15iterator_traitsISN_E10value_typeEPNST_ISO_E10value_typeEPSP_NS1_7vsmem_tEENKUlT_SN_SO_SP_E_clIPjSG_PS9_SI_EESM_S12_SN_SO_SP_EUlS12_E_NS1_11comp_targetILNS1_3genE8ELNS1_11target_archE1030ELNS1_3gpuE2ELNS1_3repE0EEENS1_48merge_mergepath_partition_config_static_selectorELNS0_4arch9wavefront6targetE0EEEvSO_.num_vgpr, 0
	.set _ZN7rocprim17ROCPRIM_400000_NS6detail17trampoline_kernelINS0_14default_configENS1_38merge_sort_block_merge_config_selectorIjN6thrust23THRUST_200600_302600_NS5tupleIffNS6_9null_typeES8_S8_S8_S8_S8_S8_S8_EEEEZZNS1_27merge_sort_block_merge_implIS3_NS6_6detail15normal_iteratorINS6_10device_ptrIjEEEENSD_INSE_IS9_EEEEjNS1_19radix_merge_compareILb0ELb0EjNS0_19identity_decomposerEEEEE10hipError_tT0_T1_T2_jT3_P12ihipStream_tbPNSt15iterator_traitsISN_E10value_typeEPNST_ISO_E10value_typeEPSP_NS1_7vsmem_tEENKUlT_SN_SO_SP_E_clIPjSG_PS9_SI_EESM_S12_SN_SO_SP_EUlS12_E_NS1_11comp_targetILNS1_3genE8ELNS1_11target_archE1030ELNS1_3gpuE2ELNS1_3repE0EEENS1_48merge_mergepath_partition_config_static_selectorELNS0_4arch9wavefront6targetE0EEEvSO_.num_agpr, 0
	.set _ZN7rocprim17ROCPRIM_400000_NS6detail17trampoline_kernelINS0_14default_configENS1_38merge_sort_block_merge_config_selectorIjN6thrust23THRUST_200600_302600_NS5tupleIffNS6_9null_typeES8_S8_S8_S8_S8_S8_S8_EEEEZZNS1_27merge_sort_block_merge_implIS3_NS6_6detail15normal_iteratorINS6_10device_ptrIjEEEENSD_INSE_IS9_EEEEjNS1_19radix_merge_compareILb0ELb0EjNS0_19identity_decomposerEEEEE10hipError_tT0_T1_T2_jT3_P12ihipStream_tbPNSt15iterator_traitsISN_E10value_typeEPNST_ISO_E10value_typeEPSP_NS1_7vsmem_tEENKUlT_SN_SO_SP_E_clIPjSG_PS9_SI_EESM_S12_SN_SO_SP_EUlS12_E_NS1_11comp_targetILNS1_3genE8ELNS1_11target_archE1030ELNS1_3gpuE2ELNS1_3repE0EEENS1_48merge_mergepath_partition_config_static_selectorELNS0_4arch9wavefront6targetE0EEEvSO_.numbered_sgpr, 0
	.set _ZN7rocprim17ROCPRIM_400000_NS6detail17trampoline_kernelINS0_14default_configENS1_38merge_sort_block_merge_config_selectorIjN6thrust23THRUST_200600_302600_NS5tupleIffNS6_9null_typeES8_S8_S8_S8_S8_S8_S8_EEEEZZNS1_27merge_sort_block_merge_implIS3_NS6_6detail15normal_iteratorINS6_10device_ptrIjEEEENSD_INSE_IS9_EEEEjNS1_19radix_merge_compareILb0ELb0EjNS0_19identity_decomposerEEEEE10hipError_tT0_T1_T2_jT3_P12ihipStream_tbPNSt15iterator_traitsISN_E10value_typeEPNST_ISO_E10value_typeEPSP_NS1_7vsmem_tEENKUlT_SN_SO_SP_E_clIPjSG_PS9_SI_EESM_S12_SN_SO_SP_EUlS12_E_NS1_11comp_targetILNS1_3genE8ELNS1_11target_archE1030ELNS1_3gpuE2ELNS1_3repE0EEENS1_48merge_mergepath_partition_config_static_selectorELNS0_4arch9wavefront6targetE0EEEvSO_.num_named_barrier, 0
	.set _ZN7rocprim17ROCPRIM_400000_NS6detail17trampoline_kernelINS0_14default_configENS1_38merge_sort_block_merge_config_selectorIjN6thrust23THRUST_200600_302600_NS5tupleIffNS6_9null_typeES8_S8_S8_S8_S8_S8_S8_EEEEZZNS1_27merge_sort_block_merge_implIS3_NS6_6detail15normal_iteratorINS6_10device_ptrIjEEEENSD_INSE_IS9_EEEEjNS1_19radix_merge_compareILb0ELb0EjNS0_19identity_decomposerEEEEE10hipError_tT0_T1_T2_jT3_P12ihipStream_tbPNSt15iterator_traitsISN_E10value_typeEPNST_ISO_E10value_typeEPSP_NS1_7vsmem_tEENKUlT_SN_SO_SP_E_clIPjSG_PS9_SI_EESM_S12_SN_SO_SP_EUlS12_E_NS1_11comp_targetILNS1_3genE8ELNS1_11target_archE1030ELNS1_3gpuE2ELNS1_3repE0EEENS1_48merge_mergepath_partition_config_static_selectorELNS0_4arch9wavefront6targetE0EEEvSO_.private_seg_size, 0
	.set _ZN7rocprim17ROCPRIM_400000_NS6detail17trampoline_kernelINS0_14default_configENS1_38merge_sort_block_merge_config_selectorIjN6thrust23THRUST_200600_302600_NS5tupleIffNS6_9null_typeES8_S8_S8_S8_S8_S8_S8_EEEEZZNS1_27merge_sort_block_merge_implIS3_NS6_6detail15normal_iteratorINS6_10device_ptrIjEEEENSD_INSE_IS9_EEEEjNS1_19radix_merge_compareILb0ELb0EjNS0_19identity_decomposerEEEEE10hipError_tT0_T1_T2_jT3_P12ihipStream_tbPNSt15iterator_traitsISN_E10value_typeEPNST_ISO_E10value_typeEPSP_NS1_7vsmem_tEENKUlT_SN_SO_SP_E_clIPjSG_PS9_SI_EESM_S12_SN_SO_SP_EUlS12_E_NS1_11comp_targetILNS1_3genE8ELNS1_11target_archE1030ELNS1_3gpuE2ELNS1_3repE0EEENS1_48merge_mergepath_partition_config_static_selectorELNS0_4arch9wavefront6targetE0EEEvSO_.uses_vcc, 0
	.set _ZN7rocprim17ROCPRIM_400000_NS6detail17trampoline_kernelINS0_14default_configENS1_38merge_sort_block_merge_config_selectorIjN6thrust23THRUST_200600_302600_NS5tupleIffNS6_9null_typeES8_S8_S8_S8_S8_S8_S8_EEEEZZNS1_27merge_sort_block_merge_implIS3_NS6_6detail15normal_iteratorINS6_10device_ptrIjEEEENSD_INSE_IS9_EEEEjNS1_19radix_merge_compareILb0ELb0EjNS0_19identity_decomposerEEEEE10hipError_tT0_T1_T2_jT3_P12ihipStream_tbPNSt15iterator_traitsISN_E10value_typeEPNST_ISO_E10value_typeEPSP_NS1_7vsmem_tEENKUlT_SN_SO_SP_E_clIPjSG_PS9_SI_EESM_S12_SN_SO_SP_EUlS12_E_NS1_11comp_targetILNS1_3genE8ELNS1_11target_archE1030ELNS1_3gpuE2ELNS1_3repE0EEENS1_48merge_mergepath_partition_config_static_selectorELNS0_4arch9wavefront6targetE0EEEvSO_.uses_flat_scratch, 0
	.set _ZN7rocprim17ROCPRIM_400000_NS6detail17trampoline_kernelINS0_14default_configENS1_38merge_sort_block_merge_config_selectorIjN6thrust23THRUST_200600_302600_NS5tupleIffNS6_9null_typeES8_S8_S8_S8_S8_S8_S8_EEEEZZNS1_27merge_sort_block_merge_implIS3_NS6_6detail15normal_iteratorINS6_10device_ptrIjEEEENSD_INSE_IS9_EEEEjNS1_19radix_merge_compareILb0ELb0EjNS0_19identity_decomposerEEEEE10hipError_tT0_T1_T2_jT3_P12ihipStream_tbPNSt15iterator_traitsISN_E10value_typeEPNST_ISO_E10value_typeEPSP_NS1_7vsmem_tEENKUlT_SN_SO_SP_E_clIPjSG_PS9_SI_EESM_S12_SN_SO_SP_EUlS12_E_NS1_11comp_targetILNS1_3genE8ELNS1_11target_archE1030ELNS1_3gpuE2ELNS1_3repE0EEENS1_48merge_mergepath_partition_config_static_selectorELNS0_4arch9wavefront6targetE0EEEvSO_.has_dyn_sized_stack, 0
	.set _ZN7rocprim17ROCPRIM_400000_NS6detail17trampoline_kernelINS0_14default_configENS1_38merge_sort_block_merge_config_selectorIjN6thrust23THRUST_200600_302600_NS5tupleIffNS6_9null_typeES8_S8_S8_S8_S8_S8_S8_EEEEZZNS1_27merge_sort_block_merge_implIS3_NS6_6detail15normal_iteratorINS6_10device_ptrIjEEEENSD_INSE_IS9_EEEEjNS1_19radix_merge_compareILb0ELb0EjNS0_19identity_decomposerEEEEE10hipError_tT0_T1_T2_jT3_P12ihipStream_tbPNSt15iterator_traitsISN_E10value_typeEPNST_ISO_E10value_typeEPSP_NS1_7vsmem_tEENKUlT_SN_SO_SP_E_clIPjSG_PS9_SI_EESM_S12_SN_SO_SP_EUlS12_E_NS1_11comp_targetILNS1_3genE8ELNS1_11target_archE1030ELNS1_3gpuE2ELNS1_3repE0EEENS1_48merge_mergepath_partition_config_static_selectorELNS0_4arch9wavefront6targetE0EEEvSO_.has_recursion, 0
	.set _ZN7rocprim17ROCPRIM_400000_NS6detail17trampoline_kernelINS0_14default_configENS1_38merge_sort_block_merge_config_selectorIjN6thrust23THRUST_200600_302600_NS5tupleIffNS6_9null_typeES8_S8_S8_S8_S8_S8_S8_EEEEZZNS1_27merge_sort_block_merge_implIS3_NS6_6detail15normal_iteratorINS6_10device_ptrIjEEEENSD_INSE_IS9_EEEEjNS1_19radix_merge_compareILb0ELb0EjNS0_19identity_decomposerEEEEE10hipError_tT0_T1_T2_jT3_P12ihipStream_tbPNSt15iterator_traitsISN_E10value_typeEPNST_ISO_E10value_typeEPSP_NS1_7vsmem_tEENKUlT_SN_SO_SP_E_clIPjSG_PS9_SI_EESM_S12_SN_SO_SP_EUlS12_E_NS1_11comp_targetILNS1_3genE8ELNS1_11target_archE1030ELNS1_3gpuE2ELNS1_3repE0EEENS1_48merge_mergepath_partition_config_static_selectorELNS0_4arch9wavefront6targetE0EEEvSO_.has_indirect_call, 0
	.section	.AMDGPU.csdata,"",@progbits
; Kernel info:
; codeLenInByte = 0
; TotalNumSgprs: 0
; NumVgprs: 0
; ScratchSize: 0
; MemoryBound: 0
; FloatMode: 240
; IeeeMode: 1
; LDSByteSize: 0 bytes/workgroup (compile time only)
; SGPRBlocks: 0
; VGPRBlocks: 0
; NumSGPRsForWavesPerEU: 1
; NumVGPRsForWavesPerEU: 1
; Occupancy: 16
; WaveLimiterHint : 0
; COMPUTE_PGM_RSRC2:SCRATCH_EN: 0
; COMPUTE_PGM_RSRC2:USER_SGPR: 2
; COMPUTE_PGM_RSRC2:TRAP_HANDLER: 0
; COMPUTE_PGM_RSRC2:TGID_X_EN: 1
; COMPUTE_PGM_RSRC2:TGID_Y_EN: 0
; COMPUTE_PGM_RSRC2:TGID_Z_EN: 0
; COMPUTE_PGM_RSRC2:TIDIG_COMP_CNT: 0
	.section	.text._ZN7rocprim17ROCPRIM_400000_NS6detail17trampoline_kernelINS0_14default_configENS1_38merge_sort_block_merge_config_selectorIjN6thrust23THRUST_200600_302600_NS5tupleIffNS6_9null_typeES8_S8_S8_S8_S8_S8_S8_EEEEZZNS1_27merge_sort_block_merge_implIS3_NS6_6detail15normal_iteratorINS6_10device_ptrIjEEEENSD_INSE_IS9_EEEEjNS1_19radix_merge_compareILb0ELb0EjNS0_19identity_decomposerEEEEE10hipError_tT0_T1_T2_jT3_P12ihipStream_tbPNSt15iterator_traitsISN_E10value_typeEPNST_ISO_E10value_typeEPSP_NS1_7vsmem_tEENKUlT_SN_SO_SP_E_clIPjSG_PS9_SI_EESM_S12_SN_SO_SP_EUlS12_E0_NS1_11comp_targetILNS1_3genE0ELNS1_11target_archE4294967295ELNS1_3gpuE0ELNS1_3repE0EEENS1_38merge_mergepath_config_static_selectorELNS0_4arch9wavefront6targetE0EEEvSO_,"axG",@progbits,_ZN7rocprim17ROCPRIM_400000_NS6detail17trampoline_kernelINS0_14default_configENS1_38merge_sort_block_merge_config_selectorIjN6thrust23THRUST_200600_302600_NS5tupleIffNS6_9null_typeES8_S8_S8_S8_S8_S8_S8_EEEEZZNS1_27merge_sort_block_merge_implIS3_NS6_6detail15normal_iteratorINS6_10device_ptrIjEEEENSD_INSE_IS9_EEEEjNS1_19radix_merge_compareILb0ELb0EjNS0_19identity_decomposerEEEEE10hipError_tT0_T1_T2_jT3_P12ihipStream_tbPNSt15iterator_traitsISN_E10value_typeEPNST_ISO_E10value_typeEPSP_NS1_7vsmem_tEENKUlT_SN_SO_SP_E_clIPjSG_PS9_SI_EESM_S12_SN_SO_SP_EUlS12_E0_NS1_11comp_targetILNS1_3genE0ELNS1_11target_archE4294967295ELNS1_3gpuE0ELNS1_3repE0EEENS1_38merge_mergepath_config_static_selectorELNS0_4arch9wavefront6targetE0EEEvSO_,comdat
	.protected	_ZN7rocprim17ROCPRIM_400000_NS6detail17trampoline_kernelINS0_14default_configENS1_38merge_sort_block_merge_config_selectorIjN6thrust23THRUST_200600_302600_NS5tupleIffNS6_9null_typeES8_S8_S8_S8_S8_S8_S8_EEEEZZNS1_27merge_sort_block_merge_implIS3_NS6_6detail15normal_iteratorINS6_10device_ptrIjEEEENSD_INSE_IS9_EEEEjNS1_19radix_merge_compareILb0ELb0EjNS0_19identity_decomposerEEEEE10hipError_tT0_T1_T2_jT3_P12ihipStream_tbPNSt15iterator_traitsISN_E10value_typeEPNST_ISO_E10value_typeEPSP_NS1_7vsmem_tEENKUlT_SN_SO_SP_E_clIPjSG_PS9_SI_EESM_S12_SN_SO_SP_EUlS12_E0_NS1_11comp_targetILNS1_3genE0ELNS1_11target_archE4294967295ELNS1_3gpuE0ELNS1_3repE0EEENS1_38merge_mergepath_config_static_selectorELNS0_4arch9wavefront6targetE0EEEvSO_ ; -- Begin function _ZN7rocprim17ROCPRIM_400000_NS6detail17trampoline_kernelINS0_14default_configENS1_38merge_sort_block_merge_config_selectorIjN6thrust23THRUST_200600_302600_NS5tupleIffNS6_9null_typeES8_S8_S8_S8_S8_S8_S8_EEEEZZNS1_27merge_sort_block_merge_implIS3_NS6_6detail15normal_iteratorINS6_10device_ptrIjEEEENSD_INSE_IS9_EEEEjNS1_19radix_merge_compareILb0ELb0EjNS0_19identity_decomposerEEEEE10hipError_tT0_T1_T2_jT3_P12ihipStream_tbPNSt15iterator_traitsISN_E10value_typeEPNST_ISO_E10value_typeEPSP_NS1_7vsmem_tEENKUlT_SN_SO_SP_E_clIPjSG_PS9_SI_EESM_S12_SN_SO_SP_EUlS12_E0_NS1_11comp_targetILNS1_3genE0ELNS1_11target_archE4294967295ELNS1_3gpuE0ELNS1_3repE0EEENS1_38merge_mergepath_config_static_selectorELNS0_4arch9wavefront6targetE0EEEvSO_
	.globl	_ZN7rocprim17ROCPRIM_400000_NS6detail17trampoline_kernelINS0_14default_configENS1_38merge_sort_block_merge_config_selectorIjN6thrust23THRUST_200600_302600_NS5tupleIffNS6_9null_typeES8_S8_S8_S8_S8_S8_S8_EEEEZZNS1_27merge_sort_block_merge_implIS3_NS6_6detail15normal_iteratorINS6_10device_ptrIjEEEENSD_INSE_IS9_EEEEjNS1_19radix_merge_compareILb0ELb0EjNS0_19identity_decomposerEEEEE10hipError_tT0_T1_T2_jT3_P12ihipStream_tbPNSt15iterator_traitsISN_E10value_typeEPNST_ISO_E10value_typeEPSP_NS1_7vsmem_tEENKUlT_SN_SO_SP_E_clIPjSG_PS9_SI_EESM_S12_SN_SO_SP_EUlS12_E0_NS1_11comp_targetILNS1_3genE0ELNS1_11target_archE4294967295ELNS1_3gpuE0ELNS1_3repE0EEENS1_38merge_mergepath_config_static_selectorELNS0_4arch9wavefront6targetE0EEEvSO_
	.p2align	8
	.type	_ZN7rocprim17ROCPRIM_400000_NS6detail17trampoline_kernelINS0_14default_configENS1_38merge_sort_block_merge_config_selectorIjN6thrust23THRUST_200600_302600_NS5tupleIffNS6_9null_typeES8_S8_S8_S8_S8_S8_S8_EEEEZZNS1_27merge_sort_block_merge_implIS3_NS6_6detail15normal_iteratorINS6_10device_ptrIjEEEENSD_INSE_IS9_EEEEjNS1_19radix_merge_compareILb0ELb0EjNS0_19identity_decomposerEEEEE10hipError_tT0_T1_T2_jT3_P12ihipStream_tbPNSt15iterator_traitsISN_E10value_typeEPNST_ISO_E10value_typeEPSP_NS1_7vsmem_tEENKUlT_SN_SO_SP_E_clIPjSG_PS9_SI_EESM_S12_SN_SO_SP_EUlS12_E0_NS1_11comp_targetILNS1_3genE0ELNS1_11target_archE4294967295ELNS1_3gpuE0ELNS1_3repE0EEENS1_38merge_mergepath_config_static_selectorELNS0_4arch9wavefront6targetE0EEEvSO_,@function
_ZN7rocprim17ROCPRIM_400000_NS6detail17trampoline_kernelINS0_14default_configENS1_38merge_sort_block_merge_config_selectorIjN6thrust23THRUST_200600_302600_NS5tupleIffNS6_9null_typeES8_S8_S8_S8_S8_S8_S8_EEEEZZNS1_27merge_sort_block_merge_implIS3_NS6_6detail15normal_iteratorINS6_10device_ptrIjEEEENSD_INSE_IS9_EEEEjNS1_19radix_merge_compareILb0ELb0EjNS0_19identity_decomposerEEEEE10hipError_tT0_T1_T2_jT3_P12ihipStream_tbPNSt15iterator_traitsISN_E10value_typeEPNST_ISO_E10value_typeEPSP_NS1_7vsmem_tEENKUlT_SN_SO_SP_E_clIPjSG_PS9_SI_EESM_S12_SN_SO_SP_EUlS12_E0_NS1_11comp_targetILNS1_3genE0ELNS1_11target_archE4294967295ELNS1_3gpuE0ELNS1_3repE0EEENS1_38merge_mergepath_config_static_selectorELNS0_4arch9wavefront6targetE0EEEvSO_: ; @_ZN7rocprim17ROCPRIM_400000_NS6detail17trampoline_kernelINS0_14default_configENS1_38merge_sort_block_merge_config_selectorIjN6thrust23THRUST_200600_302600_NS5tupleIffNS6_9null_typeES8_S8_S8_S8_S8_S8_S8_EEEEZZNS1_27merge_sort_block_merge_implIS3_NS6_6detail15normal_iteratorINS6_10device_ptrIjEEEENSD_INSE_IS9_EEEEjNS1_19radix_merge_compareILb0ELb0EjNS0_19identity_decomposerEEEEE10hipError_tT0_T1_T2_jT3_P12ihipStream_tbPNSt15iterator_traitsISN_E10value_typeEPNST_ISO_E10value_typeEPSP_NS1_7vsmem_tEENKUlT_SN_SO_SP_E_clIPjSG_PS9_SI_EESM_S12_SN_SO_SP_EUlS12_E0_NS1_11comp_targetILNS1_3genE0ELNS1_11target_archE4294967295ELNS1_3gpuE0ELNS1_3repE0EEENS1_38merge_mergepath_config_static_selectorELNS0_4arch9wavefront6targetE0EEEvSO_
; %bb.0:
	.section	.rodata,"a",@progbits
	.p2align	6, 0x0
	.amdhsa_kernel _ZN7rocprim17ROCPRIM_400000_NS6detail17trampoline_kernelINS0_14default_configENS1_38merge_sort_block_merge_config_selectorIjN6thrust23THRUST_200600_302600_NS5tupleIffNS6_9null_typeES8_S8_S8_S8_S8_S8_S8_EEEEZZNS1_27merge_sort_block_merge_implIS3_NS6_6detail15normal_iteratorINS6_10device_ptrIjEEEENSD_INSE_IS9_EEEEjNS1_19radix_merge_compareILb0ELb0EjNS0_19identity_decomposerEEEEE10hipError_tT0_T1_T2_jT3_P12ihipStream_tbPNSt15iterator_traitsISN_E10value_typeEPNST_ISO_E10value_typeEPSP_NS1_7vsmem_tEENKUlT_SN_SO_SP_E_clIPjSG_PS9_SI_EESM_S12_SN_SO_SP_EUlS12_E0_NS1_11comp_targetILNS1_3genE0ELNS1_11target_archE4294967295ELNS1_3gpuE0ELNS1_3repE0EEENS1_38merge_mergepath_config_static_selectorELNS0_4arch9wavefront6targetE0EEEvSO_
		.amdhsa_group_segment_fixed_size 0
		.amdhsa_private_segment_fixed_size 0
		.amdhsa_kernarg_size 64
		.amdhsa_user_sgpr_count 2
		.amdhsa_user_sgpr_dispatch_ptr 0
		.amdhsa_user_sgpr_queue_ptr 0
		.amdhsa_user_sgpr_kernarg_segment_ptr 1
		.amdhsa_user_sgpr_dispatch_id 0
		.amdhsa_user_sgpr_private_segment_size 0
		.amdhsa_wavefront_size32 1
		.amdhsa_uses_dynamic_stack 0
		.amdhsa_enable_private_segment 0
		.amdhsa_system_sgpr_workgroup_id_x 1
		.amdhsa_system_sgpr_workgroup_id_y 0
		.amdhsa_system_sgpr_workgroup_id_z 0
		.amdhsa_system_sgpr_workgroup_info 0
		.amdhsa_system_vgpr_workitem_id 0
		.amdhsa_next_free_vgpr 1
		.amdhsa_next_free_sgpr 1
		.amdhsa_reserve_vcc 0
		.amdhsa_float_round_mode_32 0
		.amdhsa_float_round_mode_16_64 0
		.amdhsa_float_denorm_mode_32 3
		.amdhsa_float_denorm_mode_16_64 3
		.amdhsa_fp16_overflow 0
		.amdhsa_workgroup_processor_mode 1
		.amdhsa_memory_ordered 1
		.amdhsa_forward_progress 1
		.amdhsa_inst_pref_size 0
		.amdhsa_round_robin_scheduling 0
		.amdhsa_exception_fp_ieee_invalid_op 0
		.amdhsa_exception_fp_denorm_src 0
		.amdhsa_exception_fp_ieee_div_zero 0
		.amdhsa_exception_fp_ieee_overflow 0
		.amdhsa_exception_fp_ieee_underflow 0
		.amdhsa_exception_fp_ieee_inexact 0
		.amdhsa_exception_int_div_zero 0
	.end_amdhsa_kernel
	.section	.text._ZN7rocprim17ROCPRIM_400000_NS6detail17trampoline_kernelINS0_14default_configENS1_38merge_sort_block_merge_config_selectorIjN6thrust23THRUST_200600_302600_NS5tupleIffNS6_9null_typeES8_S8_S8_S8_S8_S8_S8_EEEEZZNS1_27merge_sort_block_merge_implIS3_NS6_6detail15normal_iteratorINS6_10device_ptrIjEEEENSD_INSE_IS9_EEEEjNS1_19radix_merge_compareILb0ELb0EjNS0_19identity_decomposerEEEEE10hipError_tT0_T1_T2_jT3_P12ihipStream_tbPNSt15iterator_traitsISN_E10value_typeEPNST_ISO_E10value_typeEPSP_NS1_7vsmem_tEENKUlT_SN_SO_SP_E_clIPjSG_PS9_SI_EESM_S12_SN_SO_SP_EUlS12_E0_NS1_11comp_targetILNS1_3genE0ELNS1_11target_archE4294967295ELNS1_3gpuE0ELNS1_3repE0EEENS1_38merge_mergepath_config_static_selectorELNS0_4arch9wavefront6targetE0EEEvSO_,"axG",@progbits,_ZN7rocprim17ROCPRIM_400000_NS6detail17trampoline_kernelINS0_14default_configENS1_38merge_sort_block_merge_config_selectorIjN6thrust23THRUST_200600_302600_NS5tupleIffNS6_9null_typeES8_S8_S8_S8_S8_S8_S8_EEEEZZNS1_27merge_sort_block_merge_implIS3_NS6_6detail15normal_iteratorINS6_10device_ptrIjEEEENSD_INSE_IS9_EEEEjNS1_19radix_merge_compareILb0ELb0EjNS0_19identity_decomposerEEEEE10hipError_tT0_T1_T2_jT3_P12ihipStream_tbPNSt15iterator_traitsISN_E10value_typeEPNST_ISO_E10value_typeEPSP_NS1_7vsmem_tEENKUlT_SN_SO_SP_E_clIPjSG_PS9_SI_EESM_S12_SN_SO_SP_EUlS12_E0_NS1_11comp_targetILNS1_3genE0ELNS1_11target_archE4294967295ELNS1_3gpuE0ELNS1_3repE0EEENS1_38merge_mergepath_config_static_selectorELNS0_4arch9wavefront6targetE0EEEvSO_,comdat
.Lfunc_end33:
	.size	_ZN7rocprim17ROCPRIM_400000_NS6detail17trampoline_kernelINS0_14default_configENS1_38merge_sort_block_merge_config_selectorIjN6thrust23THRUST_200600_302600_NS5tupleIffNS6_9null_typeES8_S8_S8_S8_S8_S8_S8_EEEEZZNS1_27merge_sort_block_merge_implIS3_NS6_6detail15normal_iteratorINS6_10device_ptrIjEEEENSD_INSE_IS9_EEEEjNS1_19radix_merge_compareILb0ELb0EjNS0_19identity_decomposerEEEEE10hipError_tT0_T1_T2_jT3_P12ihipStream_tbPNSt15iterator_traitsISN_E10value_typeEPNST_ISO_E10value_typeEPSP_NS1_7vsmem_tEENKUlT_SN_SO_SP_E_clIPjSG_PS9_SI_EESM_S12_SN_SO_SP_EUlS12_E0_NS1_11comp_targetILNS1_3genE0ELNS1_11target_archE4294967295ELNS1_3gpuE0ELNS1_3repE0EEENS1_38merge_mergepath_config_static_selectorELNS0_4arch9wavefront6targetE0EEEvSO_, .Lfunc_end33-_ZN7rocprim17ROCPRIM_400000_NS6detail17trampoline_kernelINS0_14default_configENS1_38merge_sort_block_merge_config_selectorIjN6thrust23THRUST_200600_302600_NS5tupleIffNS6_9null_typeES8_S8_S8_S8_S8_S8_S8_EEEEZZNS1_27merge_sort_block_merge_implIS3_NS6_6detail15normal_iteratorINS6_10device_ptrIjEEEENSD_INSE_IS9_EEEEjNS1_19radix_merge_compareILb0ELb0EjNS0_19identity_decomposerEEEEE10hipError_tT0_T1_T2_jT3_P12ihipStream_tbPNSt15iterator_traitsISN_E10value_typeEPNST_ISO_E10value_typeEPSP_NS1_7vsmem_tEENKUlT_SN_SO_SP_E_clIPjSG_PS9_SI_EESM_S12_SN_SO_SP_EUlS12_E0_NS1_11comp_targetILNS1_3genE0ELNS1_11target_archE4294967295ELNS1_3gpuE0ELNS1_3repE0EEENS1_38merge_mergepath_config_static_selectorELNS0_4arch9wavefront6targetE0EEEvSO_
                                        ; -- End function
	.set _ZN7rocprim17ROCPRIM_400000_NS6detail17trampoline_kernelINS0_14default_configENS1_38merge_sort_block_merge_config_selectorIjN6thrust23THRUST_200600_302600_NS5tupleIffNS6_9null_typeES8_S8_S8_S8_S8_S8_S8_EEEEZZNS1_27merge_sort_block_merge_implIS3_NS6_6detail15normal_iteratorINS6_10device_ptrIjEEEENSD_INSE_IS9_EEEEjNS1_19radix_merge_compareILb0ELb0EjNS0_19identity_decomposerEEEEE10hipError_tT0_T1_T2_jT3_P12ihipStream_tbPNSt15iterator_traitsISN_E10value_typeEPNST_ISO_E10value_typeEPSP_NS1_7vsmem_tEENKUlT_SN_SO_SP_E_clIPjSG_PS9_SI_EESM_S12_SN_SO_SP_EUlS12_E0_NS1_11comp_targetILNS1_3genE0ELNS1_11target_archE4294967295ELNS1_3gpuE0ELNS1_3repE0EEENS1_38merge_mergepath_config_static_selectorELNS0_4arch9wavefront6targetE0EEEvSO_.num_vgpr, 0
	.set _ZN7rocprim17ROCPRIM_400000_NS6detail17trampoline_kernelINS0_14default_configENS1_38merge_sort_block_merge_config_selectorIjN6thrust23THRUST_200600_302600_NS5tupleIffNS6_9null_typeES8_S8_S8_S8_S8_S8_S8_EEEEZZNS1_27merge_sort_block_merge_implIS3_NS6_6detail15normal_iteratorINS6_10device_ptrIjEEEENSD_INSE_IS9_EEEEjNS1_19radix_merge_compareILb0ELb0EjNS0_19identity_decomposerEEEEE10hipError_tT0_T1_T2_jT3_P12ihipStream_tbPNSt15iterator_traitsISN_E10value_typeEPNST_ISO_E10value_typeEPSP_NS1_7vsmem_tEENKUlT_SN_SO_SP_E_clIPjSG_PS9_SI_EESM_S12_SN_SO_SP_EUlS12_E0_NS1_11comp_targetILNS1_3genE0ELNS1_11target_archE4294967295ELNS1_3gpuE0ELNS1_3repE0EEENS1_38merge_mergepath_config_static_selectorELNS0_4arch9wavefront6targetE0EEEvSO_.num_agpr, 0
	.set _ZN7rocprim17ROCPRIM_400000_NS6detail17trampoline_kernelINS0_14default_configENS1_38merge_sort_block_merge_config_selectorIjN6thrust23THRUST_200600_302600_NS5tupleIffNS6_9null_typeES8_S8_S8_S8_S8_S8_S8_EEEEZZNS1_27merge_sort_block_merge_implIS3_NS6_6detail15normal_iteratorINS6_10device_ptrIjEEEENSD_INSE_IS9_EEEEjNS1_19radix_merge_compareILb0ELb0EjNS0_19identity_decomposerEEEEE10hipError_tT0_T1_T2_jT3_P12ihipStream_tbPNSt15iterator_traitsISN_E10value_typeEPNST_ISO_E10value_typeEPSP_NS1_7vsmem_tEENKUlT_SN_SO_SP_E_clIPjSG_PS9_SI_EESM_S12_SN_SO_SP_EUlS12_E0_NS1_11comp_targetILNS1_3genE0ELNS1_11target_archE4294967295ELNS1_3gpuE0ELNS1_3repE0EEENS1_38merge_mergepath_config_static_selectorELNS0_4arch9wavefront6targetE0EEEvSO_.numbered_sgpr, 0
	.set _ZN7rocprim17ROCPRIM_400000_NS6detail17trampoline_kernelINS0_14default_configENS1_38merge_sort_block_merge_config_selectorIjN6thrust23THRUST_200600_302600_NS5tupleIffNS6_9null_typeES8_S8_S8_S8_S8_S8_S8_EEEEZZNS1_27merge_sort_block_merge_implIS3_NS6_6detail15normal_iteratorINS6_10device_ptrIjEEEENSD_INSE_IS9_EEEEjNS1_19radix_merge_compareILb0ELb0EjNS0_19identity_decomposerEEEEE10hipError_tT0_T1_T2_jT3_P12ihipStream_tbPNSt15iterator_traitsISN_E10value_typeEPNST_ISO_E10value_typeEPSP_NS1_7vsmem_tEENKUlT_SN_SO_SP_E_clIPjSG_PS9_SI_EESM_S12_SN_SO_SP_EUlS12_E0_NS1_11comp_targetILNS1_3genE0ELNS1_11target_archE4294967295ELNS1_3gpuE0ELNS1_3repE0EEENS1_38merge_mergepath_config_static_selectorELNS0_4arch9wavefront6targetE0EEEvSO_.num_named_barrier, 0
	.set _ZN7rocprim17ROCPRIM_400000_NS6detail17trampoline_kernelINS0_14default_configENS1_38merge_sort_block_merge_config_selectorIjN6thrust23THRUST_200600_302600_NS5tupleIffNS6_9null_typeES8_S8_S8_S8_S8_S8_S8_EEEEZZNS1_27merge_sort_block_merge_implIS3_NS6_6detail15normal_iteratorINS6_10device_ptrIjEEEENSD_INSE_IS9_EEEEjNS1_19radix_merge_compareILb0ELb0EjNS0_19identity_decomposerEEEEE10hipError_tT0_T1_T2_jT3_P12ihipStream_tbPNSt15iterator_traitsISN_E10value_typeEPNST_ISO_E10value_typeEPSP_NS1_7vsmem_tEENKUlT_SN_SO_SP_E_clIPjSG_PS9_SI_EESM_S12_SN_SO_SP_EUlS12_E0_NS1_11comp_targetILNS1_3genE0ELNS1_11target_archE4294967295ELNS1_3gpuE0ELNS1_3repE0EEENS1_38merge_mergepath_config_static_selectorELNS0_4arch9wavefront6targetE0EEEvSO_.private_seg_size, 0
	.set _ZN7rocprim17ROCPRIM_400000_NS6detail17trampoline_kernelINS0_14default_configENS1_38merge_sort_block_merge_config_selectorIjN6thrust23THRUST_200600_302600_NS5tupleIffNS6_9null_typeES8_S8_S8_S8_S8_S8_S8_EEEEZZNS1_27merge_sort_block_merge_implIS3_NS6_6detail15normal_iteratorINS6_10device_ptrIjEEEENSD_INSE_IS9_EEEEjNS1_19radix_merge_compareILb0ELb0EjNS0_19identity_decomposerEEEEE10hipError_tT0_T1_T2_jT3_P12ihipStream_tbPNSt15iterator_traitsISN_E10value_typeEPNST_ISO_E10value_typeEPSP_NS1_7vsmem_tEENKUlT_SN_SO_SP_E_clIPjSG_PS9_SI_EESM_S12_SN_SO_SP_EUlS12_E0_NS1_11comp_targetILNS1_3genE0ELNS1_11target_archE4294967295ELNS1_3gpuE0ELNS1_3repE0EEENS1_38merge_mergepath_config_static_selectorELNS0_4arch9wavefront6targetE0EEEvSO_.uses_vcc, 0
	.set _ZN7rocprim17ROCPRIM_400000_NS6detail17trampoline_kernelINS0_14default_configENS1_38merge_sort_block_merge_config_selectorIjN6thrust23THRUST_200600_302600_NS5tupleIffNS6_9null_typeES8_S8_S8_S8_S8_S8_S8_EEEEZZNS1_27merge_sort_block_merge_implIS3_NS6_6detail15normal_iteratorINS6_10device_ptrIjEEEENSD_INSE_IS9_EEEEjNS1_19radix_merge_compareILb0ELb0EjNS0_19identity_decomposerEEEEE10hipError_tT0_T1_T2_jT3_P12ihipStream_tbPNSt15iterator_traitsISN_E10value_typeEPNST_ISO_E10value_typeEPSP_NS1_7vsmem_tEENKUlT_SN_SO_SP_E_clIPjSG_PS9_SI_EESM_S12_SN_SO_SP_EUlS12_E0_NS1_11comp_targetILNS1_3genE0ELNS1_11target_archE4294967295ELNS1_3gpuE0ELNS1_3repE0EEENS1_38merge_mergepath_config_static_selectorELNS0_4arch9wavefront6targetE0EEEvSO_.uses_flat_scratch, 0
	.set _ZN7rocprim17ROCPRIM_400000_NS6detail17trampoline_kernelINS0_14default_configENS1_38merge_sort_block_merge_config_selectorIjN6thrust23THRUST_200600_302600_NS5tupleIffNS6_9null_typeES8_S8_S8_S8_S8_S8_S8_EEEEZZNS1_27merge_sort_block_merge_implIS3_NS6_6detail15normal_iteratorINS6_10device_ptrIjEEEENSD_INSE_IS9_EEEEjNS1_19radix_merge_compareILb0ELb0EjNS0_19identity_decomposerEEEEE10hipError_tT0_T1_T2_jT3_P12ihipStream_tbPNSt15iterator_traitsISN_E10value_typeEPNST_ISO_E10value_typeEPSP_NS1_7vsmem_tEENKUlT_SN_SO_SP_E_clIPjSG_PS9_SI_EESM_S12_SN_SO_SP_EUlS12_E0_NS1_11comp_targetILNS1_3genE0ELNS1_11target_archE4294967295ELNS1_3gpuE0ELNS1_3repE0EEENS1_38merge_mergepath_config_static_selectorELNS0_4arch9wavefront6targetE0EEEvSO_.has_dyn_sized_stack, 0
	.set _ZN7rocprim17ROCPRIM_400000_NS6detail17trampoline_kernelINS0_14default_configENS1_38merge_sort_block_merge_config_selectorIjN6thrust23THRUST_200600_302600_NS5tupleIffNS6_9null_typeES8_S8_S8_S8_S8_S8_S8_EEEEZZNS1_27merge_sort_block_merge_implIS3_NS6_6detail15normal_iteratorINS6_10device_ptrIjEEEENSD_INSE_IS9_EEEEjNS1_19radix_merge_compareILb0ELb0EjNS0_19identity_decomposerEEEEE10hipError_tT0_T1_T2_jT3_P12ihipStream_tbPNSt15iterator_traitsISN_E10value_typeEPNST_ISO_E10value_typeEPSP_NS1_7vsmem_tEENKUlT_SN_SO_SP_E_clIPjSG_PS9_SI_EESM_S12_SN_SO_SP_EUlS12_E0_NS1_11comp_targetILNS1_3genE0ELNS1_11target_archE4294967295ELNS1_3gpuE0ELNS1_3repE0EEENS1_38merge_mergepath_config_static_selectorELNS0_4arch9wavefront6targetE0EEEvSO_.has_recursion, 0
	.set _ZN7rocprim17ROCPRIM_400000_NS6detail17trampoline_kernelINS0_14default_configENS1_38merge_sort_block_merge_config_selectorIjN6thrust23THRUST_200600_302600_NS5tupleIffNS6_9null_typeES8_S8_S8_S8_S8_S8_S8_EEEEZZNS1_27merge_sort_block_merge_implIS3_NS6_6detail15normal_iteratorINS6_10device_ptrIjEEEENSD_INSE_IS9_EEEEjNS1_19radix_merge_compareILb0ELb0EjNS0_19identity_decomposerEEEEE10hipError_tT0_T1_T2_jT3_P12ihipStream_tbPNSt15iterator_traitsISN_E10value_typeEPNST_ISO_E10value_typeEPSP_NS1_7vsmem_tEENKUlT_SN_SO_SP_E_clIPjSG_PS9_SI_EESM_S12_SN_SO_SP_EUlS12_E0_NS1_11comp_targetILNS1_3genE0ELNS1_11target_archE4294967295ELNS1_3gpuE0ELNS1_3repE0EEENS1_38merge_mergepath_config_static_selectorELNS0_4arch9wavefront6targetE0EEEvSO_.has_indirect_call, 0
	.section	.AMDGPU.csdata,"",@progbits
; Kernel info:
; codeLenInByte = 0
; TotalNumSgprs: 0
; NumVgprs: 0
; ScratchSize: 0
; MemoryBound: 0
; FloatMode: 240
; IeeeMode: 1
; LDSByteSize: 0 bytes/workgroup (compile time only)
; SGPRBlocks: 0
; VGPRBlocks: 0
; NumSGPRsForWavesPerEU: 1
; NumVGPRsForWavesPerEU: 1
; Occupancy: 16
; WaveLimiterHint : 0
; COMPUTE_PGM_RSRC2:SCRATCH_EN: 0
; COMPUTE_PGM_RSRC2:USER_SGPR: 2
; COMPUTE_PGM_RSRC2:TRAP_HANDLER: 0
; COMPUTE_PGM_RSRC2:TGID_X_EN: 1
; COMPUTE_PGM_RSRC2:TGID_Y_EN: 0
; COMPUTE_PGM_RSRC2:TGID_Z_EN: 0
; COMPUTE_PGM_RSRC2:TIDIG_COMP_CNT: 0
	.section	.text._ZN7rocprim17ROCPRIM_400000_NS6detail17trampoline_kernelINS0_14default_configENS1_38merge_sort_block_merge_config_selectorIjN6thrust23THRUST_200600_302600_NS5tupleIffNS6_9null_typeES8_S8_S8_S8_S8_S8_S8_EEEEZZNS1_27merge_sort_block_merge_implIS3_NS6_6detail15normal_iteratorINS6_10device_ptrIjEEEENSD_INSE_IS9_EEEEjNS1_19radix_merge_compareILb0ELb0EjNS0_19identity_decomposerEEEEE10hipError_tT0_T1_T2_jT3_P12ihipStream_tbPNSt15iterator_traitsISN_E10value_typeEPNST_ISO_E10value_typeEPSP_NS1_7vsmem_tEENKUlT_SN_SO_SP_E_clIPjSG_PS9_SI_EESM_S12_SN_SO_SP_EUlS12_E0_NS1_11comp_targetILNS1_3genE10ELNS1_11target_archE1201ELNS1_3gpuE5ELNS1_3repE0EEENS1_38merge_mergepath_config_static_selectorELNS0_4arch9wavefront6targetE0EEEvSO_,"axG",@progbits,_ZN7rocprim17ROCPRIM_400000_NS6detail17trampoline_kernelINS0_14default_configENS1_38merge_sort_block_merge_config_selectorIjN6thrust23THRUST_200600_302600_NS5tupleIffNS6_9null_typeES8_S8_S8_S8_S8_S8_S8_EEEEZZNS1_27merge_sort_block_merge_implIS3_NS6_6detail15normal_iteratorINS6_10device_ptrIjEEEENSD_INSE_IS9_EEEEjNS1_19radix_merge_compareILb0ELb0EjNS0_19identity_decomposerEEEEE10hipError_tT0_T1_T2_jT3_P12ihipStream_tbPNSt15iterator_traitsISN_E10value_typeEPNST_ISO_E10value_typeEPSP_NS1_7vsmem_tEENKUlT_SN_SO_SP_E_clIPjSG_PS9_SI_EESM_S12_SN_SO_SP_EUlS12_E0_NS1_11comp_targetILNS1_3genE10ELNS1_11target_archE1201ELNS1_3gpuE5ELNS1_3repE0EEENS1_38merge_mergepath_config_static_selectorELNS0_4arch9wavefront6targetE0EEEvSO_,comdat
	.protected	_ZN7rocprim17ROCPRIM_400000_NS6detail17trampoline_kernelINS0_14default_configENS1_38merge_sort_block_merge_config_selectorIjN6thrust23THRUST_200600_302600_NS5tupleIffNS6_9null_typeES8_S8_S8_S8_S8_S8_S8_EEEEZZNS1_27merge_sort_block_merge_implIS3_NS6_6detail15normal_iteratorINS6_10device_ptrIjEEEENSD_INSE_IS9_EEEEjNS1_19radix_merge_compareILb0ELb0EjNS0_19identity_decomposerEEEEE10hipError_tT0_T1_T2_jT3_P12ihipStream_tbPNSt15iterator_traitsISN_E10value_typeEPNST_ISO_E10value_typeEPSP_NS1_7vsmem_tEENKUlT_SN_SO_SP_E_clIPjSG_PS9_SI_EESM_S12_SN_SO_SP_EUlS12_E0_NS1_11comp_targetILNS1_3genE10ELNS1_11target_archE1201ELNS1_3gpuE5ELNS1_3repE0EEENS1_38merge_mergepath_config_static_selectorELNS0_4arch9wavefront6targetE0EEEvSO_ ; -- Begin function _ZN7rocprim17ROCPRIM_400000_NS6detail17trampoline_kernelINS0_14default_configENS1_38merge_sort_block_merge_config_selectorIjN6thrust23THRUST_200600_302600_NS5tupleIffNS6_9null_typeES8_S8_S8_S8_S8_S8_S8_EEEEZZNS1_27merge_sort_block_merge_implIS3_NS6_6detail15normal_iteratorINS6_10device_ptrIjEEEENSD_INSE_IS9_EEEEjNS1_19radix_merge_compareILb0ELb0EjNS0_19identity_decomposerEEEEE10hipError_tT0_T1_T2_jT3_P12ihipStream_tbPNSt15iterator_traitsISN_E10value_typeEPNST_ISO_E10value_typeEPSP_NS1_7vsmem_tEENKUlT_SN_SO_SP_E_clIPjSG_PS9_SI_EESM_S12_SN_SO_SP_EUlS12_E0_NS1_11comp_targetILNS1_3genE10ELNS1_11target_archE1201ELNS1_3gpuE5ELNS1_3repE0EEENS1_38merge_mergepath_config_static_selectorELNS0_4arch9wavefront6targetE0EEEvSO_
	.globl	_ZN7rocprim17ROCPRIM_400000_NS6detail17trampoline_kernelINS0_14default_configENS1_38merge_sort_block_merge_config_selectorIjN6thrust23THRUST_200600_302600_NS5tupleIffNS6_9null_typeES8_S8_S8_S8_S8_S8_S8_EEEEZZNS1_27merge_sort_block_merge_implIS3_NS6_6detail15normal_iteratorINS6_10device_ptrIjEEEENSD_INSE_IS9_EEEEjNS1_19radix_merge_compareILb0ELb0EjNS0_19identity_decomposerEEEEE10hipError_tT0_T1_T2_jT3_P12ihipStream_tbPNSt15iterator_traitsISN_E10value_typeEPNST_ISO_E10value_typeEPSP_NS1_7vsmem_tEENKUlT_SN_SO_SP_E_clIPjSG_PS9_SI_EESM_S12_SN_SO_SP_EUlS12_E0_NS1_11comp_targetILNS1_3genE10ELNS1_11target_archE1201ELNS1_3gpuE5ELNS1_3repE0EEENS1_38merge_mergepath_config_static_selectorELNS0_4arch9wavefront6targetE0EEEvSO_
	.p2align	8
	.type	_ZN7rocprim17ROCPRIM_400000_NS6detail17trampoline_kernelINS0_14default_configENS1_38merge_sort_block_merge_config_selectorIjN6thrust23THRUST_200600_302600_NS5tupleIffNS6_9null_typeES8_S8_S8_S8_S8_S8_S8_EEEEZZNS1_27merge_sort_block_merge_implIS3_NS6_6detail15normal_iteratorINS6_10device_ptrIjEEEENSD_INSE_IS9_EEEEjNS1_19radix_merge_compareILb0ELb0EjNS0_19identity_decomposerEEEEE10hipError_tT0_T1_T2_jT3_P12ihipStream_tbPNSt15iterator_traitsISN_E10value_typeEPNST_ISO_E10value_typeEPSP_NS1_7vsmem_tEENKUlT_SN_SO_SP_E_clIPjSG_PS9_SI_EESM_S12_SN_SO_SP_EUlS12_E0_NS1_11comp_targetILNS1_3genE10ELNS1_11target_archE1201ELNS1_3gpuE5ELNS1_3repE0EEENS1_38merge_mergepath_config_static_selectorELNS0_4arch9wavefront6targetE0EEEvSO_,@function
_ZN7rocprim17ROCPRIM_400000_NS6detail17trampoline_kernelINS0_14default_configENS1_38merge_sort_block_merge_config_selectorIjN6thrust23THRUST_200600_302600_NS5tupleIffNS6_9null_typeES8_S8_S8_S8_S8_S8_S8_EEEEZZNS1_27merge_sort_block_merge_implIS3_NS6_6detail15normal_iteratorINS6_10device_ptrIjEEEENSD_INSE_IS9_EEEEjNS1_19radix_merge_compareILb0ELb0EjNS0_19identity_decomposerEEEEE10hipError_tT0_T1_T2_jT3_P12ihipStream_tbPNSt15iterator_traitsISN_E10value_typeEPNST_ISO_E10value_typeEPSP_NS1_7vsmem_tEENKUlT_SN_SO_SP_E_clIPjSG_PS9_SI_EESM_S12_SN_SO_SP_EUlS12_E0_NS1_11comp_targetILNS1_3genE10ELNS1_11target_archE1201ELNS1_3gpuE5ELNS1_3repE0EEENS1_38merge_mergepath_config_static_selectorELNS0_4arch9wavefront6targetE0EEEvSO_: ; @_ZN7rocprim17ROCPRIM_400000_NS6detail17trampoline_kernelINS0_14default_configENS1_38merge_sort_block_merge_config_selectorIjN6thrust23THRUST_200600_302600_NS5tupleIffNS6_9null_typeES8_S8_S8_S8_S8_S8_S8_EEEEZZNS1_27merge_sort_block_merge_implIS3_NS6_6detail15normal_iteratorINS6_10device_ptrIjEEEENSD_INSE_IS9_EEEEjNS1_19radix_merge_compareILb0ELb0EjNS0_19identity_decomposerEEEEE10hipError_tT0_T1_T2_jT3_P12ihipStream_tbPNSt15iterator_traitsISN_E10value_typeEPNST_ISO_E10value_typeEPSP_NS1_7vsmem_tEENKUlT_SN_SO_SP_E_clIPjSG_PS9_SI_EESM_S12_SN_SO_SP_EUlS12_E0_NS1_11comp_targetILNS1_3genE10ELNS1_11target_archE1201ELNS1_3gpuE5ELNS1_3repE0EEENS1_38merge_mergepath_config_static_selectorELNS0_4arch9wavefront6targetE0EEEvSO_
; %bb.0:
	s_clause 0x1
	s_load_b64 s[18:19], s[0:1], 0x40
	s_load_b32 s2, s[0:1], 0x30
	s_lshr_b32 s3, ttmp7, 16
	s_and_b32 s4, ttmp7, 0xffff
	s_wait_kmcnt 0x0
	s_mul_i32 s3, s19, s3
	s_delay_alu instid0(SALU_CYCLE_1) | instskip(NEXT) | instid1(SALU_CYCLE_1)
	s_add_co_i32 s3, s3, s4
	s_mul_i32 s3, s3, s18
	s_delay_alu instid0(SALU_CYCLE_1) | instskip(NEXT) | instid1(SALU_CYCLE_1)
	s_add_co_i32 s16, s3, ttmp9
	s_cmp_ge_u32 s16, s2
	s_cbranch_scc1 .LBB34_38
; %bb.1:
	v_mov_b32_e32 v3, 0
	s_add_nc_u64 s[20:21], s[0:1], 64
	s_mov_b32 s17, 0
	v_lshlrev_b32_e32 v7, 2, v0
                                        ; implicit-def: $vgpr9
	global_load_b32 v1, v3, s[20:21] offset:14
	s_clause 0x1
	s_load_b256 s[4:11], s[0:1], 0x10
	s_load_b64 s[2:3], s[0:1], 0x38
	s_wait_kmcnt 0x0
	s_lshr_b32 s23, s10, 10
	s_delay_alu instid0(SALU_CYCLE_1) | instskip(SKIP_2) | instid1(SALU_CYCLE_1)
	s_cmp_lg_u32 s16, s23
	s_cselect_b32 s22, -1, 0
	s_lshl_b64 s[12:13], s[16:17], 2
	s_add_nc_u64 s[2:3], s[2:3], s[12:13]
	s_lshr_b32 s12, s11, 9
	s_load_b64 s[2:3], s[2:3], 0x0
	s_and_b32 s12, s12, 0x7ffffe
	s_delay_alu instid0(SALU_CYCLE_1)
	s_sub_co_i32 s13, 0, s12
	s_lshl_b32 s12, s16, 10
	s_and_b32 s14, s16, s13
	s_or_b32 s13, s16, s13
	s_lshl_b32 s15, s14, 11
	s_lshl_b32 s14, s14, 10
	s_add_co_i32 s15, s15, s11
	s_sub_co_i32 s19, s12, s14
	s_sub_co_i32 s14, s15, s14
	s_add_co_i32 s15, s15, s19
	s_min_u32 s19, s10, s14
	s_add_co_i32 s11, s14, s11
	s_wait_kmcnt 0x0
	s_sub_co_i32 s14, s15, s2
	s_sub_co_i32 s15, s15, s3
	s_min_u32 s14, s10, s14
	s_add_co_i32 s24, s15, 0x400
	s_cmp_eq_u32 s13, -1
	s_mov_b32 s15, s17
	s_cselect_b32 s11, s11, s24
	s_cselect_b32 s19, s19, s3
	s_mov_b32 s3, s17
	s_lshl_b64 s[24:25], s[14:15], 2
	s_min_u32 s13, s11, s10
	s_sub_co_i32 s11, s19, s2
	s_lshl_b64 s[26:27], s[2:3], 2
	s_cmp_lt_u32 ttmp9, s18
	s_mov_b32 s19, s17
	s_cselect_b32 s18, 12, 18
	s_cmp_eq_u32 s16, s23
	s_add_nc_u64 s[18:19], s[20:21], s[18:19]
	s_load_u16 s20, s[18:19], 0x0
	s_load_b64 s[18:19], s[0:1], 0x8
	s_mov_b32 s0, -1
	s_wait_loadcnt 0x0
	v_lshrrev_b32_e32 v2, 16, v1
	v_and_b32_e32 v1, 0xffff, v1
	s_delay_alu instid0(VALU_DEP_1) | instskip(SKIP_1) | instid1(VALU_DEP_1)
	v_mul_lo_u32 v1, v1, v2
                                        ; implicit-def: $vgpr2
	s_wait_kmcnt 0x0
	v_mul_lo_u32 v4, v1, s20
	s_add_nc_u64 s[20:21], s[18:19], s[26:27]
	s_add_nc_u64 s[18:19], s[18:19], s[24:25]
	s_delay_alu instid0(VALU_DEP_1)
	v_add_nc_u32_e32 v1, v4, v0
	s_cbranch_scc0 .LBB34_7
; %bb.2:
	s_and_not1_b32 vcc_lo, exec_lo, s0
	s_sub_co_i32 s13, s13, s14
	s_cbranch_vccz .LBB34_8
.LBB34_3:
	v_mov_b32_e32 v10, 0
	s_and_saveexec_b32 s1, s17
	s_cbranch_execz .LBB34_5
.LBB34_4:
	v_mov_b32_e32 v3, 0
	s_delay_alu instid0(VALU_DEP_1) | instskip(SKIP_1) | instid1(VALU_DEP_1)
	v_lshlrev_b64_e32 v[4:5], 2, v[2:3]
	s_wait_alu 0xfffe
	v_add_co_u32 v4, vcc_lo, s20, v4
	s_wait_alu 0xfffd
	s_delay_alu instid0(VALU_DEP_2) | instskip(SKIP_1) | instid1(VALU_DEP_1)
	v_add_co_ci_u32_e64 v5, null, s21, v5, vcc_lo
	v_sub_co_u32 v2, vcc_lo, v2, s11
	v_lshlrev_b64_e32 v[2:3], 2, v[2:3]
	s_delay_alu instid0(VALU_DEP_1) | instskip(SKIP_1) | instid1(VALU_DEP_2)
	v_add_co_u32 v2, s0, s18, v2
	s_wait_alu 0xf1ff
	v_add_co_ci_u32_e64 v3, null, s19, v3, s0
	s_wait_alu 0xfffd
	s_delay_alu instid0(VALU_DEP_1)
	v_dual_cndmask_b32 v2, v2, v4 :: v_dual_cndmask_b32 v3, v3, v5
	global_load_b32 v10, v[2:3], off
.LBB34_5:
	s_wait_alu 0xfffe
	s_or_b32 exec_lo, exec_lo, s1
	s_lshl_b64 s[0:1], s[2:3], 3
	v_lshlrev_b32_e32 v8, 3, v0
	s_wait_alu 0xfffe
	s_add_nc_u64 s[2:3], s[6:7], s[0:1]
	s_lshl_b64 s[0:1], s[14:15], 3
	s_and_not1_b32 vcc_lo, exec_lo, s22
	s_wait_alu 0xfffe
	s_add_nc_u64 s[6:7], s[6:7], s[0:1]
	s_wait_loadcnt 0x0
	ds_store_2addr_stride64_b32 v7, v9, v10 offset1:8
	s_cbranch_vccnz .LBB34_11
; %bb.6:
	v_add_co_u32 v13, s0, s2, v8
	s_wait_alu 0xf1ff
	v_add_co_ci_u32_e64 v14, null, s3, 0, s0
	v_sub_co_u32 v3, vcc_lo, v0, s11
	v_mov_b32_e32 v4, 0
	s_add_co_i32 s14, s13, s11
	s_delay_alu instid0(VALU_DEP_1) | instskip(NEXT) | instid1(VALU_DEP_3)
	v_mov_b32_e32 v2, v4
	v_lshlrev_b64_e32 v[11:12], 3, v[3:4]
	s_delay_alu instid0(VALU_DEP_2) | instskip(NEXT) | instid1(VALU_DEP_1)
	v_lshlrev_b64_e32 v[5:6], 3, v[1:2]
	v_add_co_u32 v5, s0, s2, v5
	s_wait_alu 0xf1ff
	s_delay_alu instid0(VALU_DEP_2) | instskip(SKIP_1) | instid1(VALU_DEP_1)
	v_add_co_ci_u32_e64 v6, null, s3, v6, s0
	v_sub_co_u32 v3, s0, v1, s11
	v_lshlrev_b64_e32 v[2:3], 3, v[3:4]
	v_add_co_u32 v4, s1, s6, v11
	s_wait_alu 0xf1ff
	v_add_co_ci_u32_e64 v11, null, s7, v12, s1
	s_delay_alu instid0(VALU_DEP_3)
	v_add_co_u32 v12, s1, s6, v2
	s_wait_alu 0xf1ff
	v_add_co_ci_u32_e64 v15, null, s7, v3, s1
	s_wait_alu 0xfffd
	v_dual_cndmask_b32 v3, v11, v14 :: v_dual_cndmask_b32 v2, v4, v13
	v_cndmask_b32_e64 v5, v12, v5, s0
	s_delay_alu instid0(VALU_DEP_3)
	v_cndmask_b32_e64 v6, v15, v6, s0
	global_load_b64 v[3:4], v[2:3], off
	global_load_b64 v[5:6], v[5:6], off
	s_cbranch_execz .LBB34_12
	s_branch .LBB34_17
.LBB34_7:
	v_sub_co_u32 v2, vcc_lo, v0, s11
	s_wait_alu 0xfffe
	v_add_co_u32 v5, s0, s20, v7
	s_delay_alu instid0(VALU_DEP_1) | instskip(NEXT) | instid1(VALU_DEP_3)
	v_add_co_ci_u32_e64 v6, null, s21, 0, s0
	v_lshlrev_b64_e32 v[2:3], 2, v[2:3]
	s_mov_b32 s17, -1
	s_delay_alu instid0(VALU_DEP_1) | instskip(SKIP_1) | instid1(VALU_DEP_2)
	v_add_co_u32 v2, s0, s18, v2
	s_wait_alu 0xf1ff
	v_add_co_ci_u32_e64 v3, null, s19, v3, s0
	s_delay_alu instid0(VALU_DEP_1)
	v_dual_cndmask_b32 v2, v2, v5 :: v_dual_cndmask_b32 v3, v3, v6
	global_load_b32 v9, v[2:3], off
	v_add_nc_u32_e32 v2, v4, v0
	s_sub_co_i32 s13, s13, s14
	s_cbranch_execnz .LBB34_3
.LBB34_8:
	s_wait_loadcnt 0x0
	v_mov_b32_e32 v9, 0
	s_add_co_i32 s1, s13, s11
	s_mov_b32 s16, exec_lo
	s_wait_alu 0xfffe
	v_cmpx_gt_u32_e64 s1, v0
	s_cbranch_execz .LBB34_10
; %bb.9:
	v_add_co_u32 v4, s0, s20, v7
	v_sub_co_u32 v2, vcc_lo, v0, s11
	v_mov_b32_e32 v3, 0
	s_wait_alu 0xf1ff
	v_add_co_ci_u32_e64 v5, null, s21, 0, s0
	s_delay_alu instid0(VALU_DEP_2) | instskip(NEXT) | instid1(VALU_DEP_1)
	v_lshlrev_b64_e32 v[2:3], 2, v[2:3]
	v_add_co_u32 v2, s0, s18, v2
	s_wait_alu 0xf1ff
	s_delay_alu instid0(VALU_DEP_2) | instskip(SKIP_1) | instid1(VALU_DEP_1)
	v_add_co_ci_u32_e64 v3, null, s19, v3, s0
	s_wait_alu 0xfffd
	v_dual_cndmask_b32 v2, v2, v4 :: v_dual_cndmask_b32 v3, v3, v5
	global_load_b32 v9, v[2:3], off
.LBB34_10:
	s_or_b32 exec_lo, exec_lo, s16
	v_cmp_gt_u32_e64 s17, s1, v1
	v_mov_b32_e32 v2, v1
	v_mov_b32_e32 v10, 0
	s_and_saveexec_b32 s1, s17
	s_cbranch_execnz .LBB34_4
	s_branch .LBB34_5
.LBB34_11:
                                        ; implicit-def: $vgpr3
                                        ; implicit-def: $vgpr5
                                        ; implicit-def: $sgpr14
.LBB34_12:
	s_wait_loadcnt 0x0
	v_dual_mov_b32 v5, 0 :: v_dual_mov_b32 v4, 0
	v_mov_b32_e32 v3, 0
	s_add_co_i32 s14, s13, s11
	s_mov_b32 s1, exec_lo
	v_cmpx_gt_u32_e64 s14, v0
	s_cbranch_execz .LBB34_14
; %bb.13:
	v_add_co_u32 v4, s0, s2, v8
	v_sub_co_u32 v2, vcc_lo, v0, s11
	v_mov_b32_e32 v3, 0
	s_wait_alu 0xf1ff
	v_add_co_ci_u32_e64 v6, null, s3, 0, s0
	s_delay_alu instid0(VALU_DEP_2) | instskip(NEXT) | instid1(VALU_DEP_1)
	v_lshlrev_b64_e32 v[2:3], 3, v[2:3]
	v_add_co_u32 v2, s0, s6, v2
	s_wait_alu 0xf1ff
	s_delay_alu instid0(VALU_DEP_2) | instskip(SKIP_1) | instid1(VALU_DEP_1)
	v_add_co_ci_u32_e64 v3, null, s7, v3, s0
	s_wait_alu 0xfffd
	v_dual_cndmask_b32 v2, v2, v4 :: v_dual_cndmask_b32 v3, v3, v6
	global_load_b64 v[3:4], v[2:3], off
.LBB34_14:
	s_wait_alu 0xfffe
	s_or_b32 exec_lo, exec_lo, s1
	v_mov_b32_e32 v6, 0
	s_mov_b32 s1, exec_lo
	v_cmpx_gt_u32_e64 s14, v1
	s_cbranch_execz .LBB34_16
; %bb.15:
	v_mov_b32_e32 v2, 0
	s_delay_alu instid0(VALU_DEP_1) | instskip(NEXT) | instid1(VALU_DEP_1)
	v_lshlrev_b64_e32 v[5:6], 3, v[1:2]
	v_add_co_u32 v5, vcc_lo, s2, v5
	s_wait_alu 0xfffd
	s_delay_alu instid0(VALU_DEP_2) | instskip(SKIP_1) | instid1(VALU_DEP_1)
	v_add_co_ci_u32_e64 v6, null, s3, v6, vcc_lo
	v_sub_co_u32 v1, vcc_lo, v1, s11
	v_lshlrev_b64_e32 v[1:2], 3, v[1:2]
	s_delay_alu instid0(VALU_DEP_1) | instskip(SKIP_1) | instid1(VALU_DEP_2)
	v_add_co_u32 v1, s0, s6, v1
	s_wait_alu 0xf1ff
	v_add_co_ci_u32_e64 v2, null, s7, v2, s0
	s_wait_alu 0xfffd
	s_delay_alu instid0(VALU_DEP_1)
	v_dual_cndmask_b32 v1, v1, v5 :: v_dual_cndmask_b32 v2, v2, v6
	global_load_b64 v[5:6], v[1:2], off
.LBB34_16:
	s_wait_alu 0xfffe
	s_or_b32 exec_lo, exec_lo, s1
.LBB34_17:
	v_lshlrev_b32_e32 v11, 1, v0
	s_mov_b32 s0, exec_lo
	s_wait_loadcnt_dscnt 0x0
	s_barrier_signal -1
	s_barrier_wait -1
	v_min_u32_e32 v2, s14, v11
	global_inv scope:SCOPE_SE
	v_sub_nc_u32_e64 v1, v2, s13 clamp
	v_min_u32_e32 v12, s11, v2
	s_delay_alu instid0(VALU_DEP_1)
	v_cmpx_lt_u32_e64 v1, v12
	s_cbranch_execz .LBB34_21
; %bb.18:
	v_lshlrev_b32_e32 v13, 2, v2
	s_mov_b32 s1, 0
	s_delay_alu instid0(VALU_DEP_1)
	v_lshl_add_u32 v13, s11, 2, v13
.LBB34_19:                              ; =>This Inner Loop Header: Depth=1
	v_add_nc_u32_e32 v14, v12, v1
	s_delay_alu instid0(VALU_DEP_1) | instskip(NEXT) | instid1(VALU_DEP_1)
	v_lshrrev_b32_e32 v14, 1, v14
	v_not_b32_e32 v15, v14
	v_add_nc_u32_e32 v17, 1, v14
	v_lshlrev_b32_e32 v16, 2, v14
	s_delay_alu instid0(VALU_DEP_3)
	v_lshl_add_u32 v15, v15, 2, v13
	ds_load_b32 v16, v16
	ds_load_b32 v15, v15
	s_wait_dscnt 0x0
	v_cmp_gt_u32_e32 vcc_lo, v16, v15
	s_wait_alu 0xfffd
	v_dual_cndmask_b32 v12, v12, v14 :: v_dual_cndmask_b32 v1, v17, v1
	s_delay_alu instid0(VALU_DEP_1)
	v_cmp_ge_u32_e32 vcc_lo, v1, v12
	s_wait_alu 0xfffe
	s_or_b32 s1, vcc_lo, s1
	s_wait_alu 0xfffe
	s_and_not1_b32 exec_lo, exec_lo, s1
	s_cbranch_execnz .LBB34_19
; %bb.20:
	s_or_b32 exec_lo, exec_lo, s1
.LBB34_21:
	s_wait_alu 0xfffe
	s_or_b32 exec_lo, exec_lo, s0
	v_sub_nc_u32_e32 v2, v2, v1
	v_cmp_ge_u32_e32 vcc_lo, s11, v1
	s_delay_alu instid0(VALU_DEP_2) | instskip(SKIP_1) | instid1(VALU_DEP_2)
	v_dual_mov_b32 v13, 0 :: v_dual_add_nc_u32 v12, s11, v2
	v_mov_b32_e32 v2, 0
	v_cmp_ge_u32_e64 s0, s14, v12
	s_or_b32 s0, vcc_lo, s0
	s_wait_alu 0xfffe
	s_and_saveexec_b32 s3, s0
	s_cbranch_execz .LBB34_27
; %bb.22:
	v_cmp_gt_u32_e32 vcc_lo, s11, v1
                                        ; implicit-def: $vgpr9
	s_and_saveexec_b32 s0, vcc_lo
; %bb.23:
	v_lshlrev_b32_e32 v2, 2, v1
	ds_load_b32 v9, v2
; %bb.24:
	s_wait_alu 0xfffe
	s_or_b32 exec_lo, exec_lo, s0
	v_cmp_le_u32_e64 s0, s14, v12
	s_mov_b32 s2, exec_lo
                                        ; implicit-def: $vgpr10
	v_cmpx_gt_u32_e64 s14, v12
; %bb.25:
	v_lshlrev_b32_e32 v2, 2, v12
	ds_load_b32 v10, v2
; %bb.26:
	s_wait_alu 0xfffe
	s_or_b32 exec_lo, exec_lo, s2
	s_wait_dscnt 0x0
	v_cmp_le_u32_e64 s1, v9, v10
	s_and_b32 s1, vcc_lo, s1
	s_wait_alu 0xfffe
	s_or_b32 vcc_lo, s0, s1
	s_wait_alu 0xfffe
	v_dual_mov_b32 v13, s11 :: v_dual_cndmask_b32 v2, v12, v1
	s_delay_alu instid0(VALU_DEP_1) | instskip(NEXT) | instid1(VALU_DEP_1)
	v_dual_cndmask_b32 v13, s14, v13 :: v_dual_add_nc_u32 v14, 1, v2
	v_dual_cndmask_b32 v12, v14, v12 :: v_dual_add_nc_u32 v13, -1, v13
	v_cndmask_b32_e32 v1, v1, v14, vcc_lo
	s_delay_alu instid0(VALU_DEP_2) | instskip(NEXT) | instid1(VALU_DEP_3)
	v_min_u32_e32 v13, v14, v13
	v_cmp_le_u32_e64 s2, s14, v12
	s_delay_alu instid0(VALU_DEP_3) | instskip(NEXT) | instid1(VALU_DEP_3)
	v_cmp_gt_u32_e64 s0, s11, v1
	v_lshlrev_b32_e32 v13, 2, v13
	ds_load_b32 v13, v13
	s_wait_dscnt 0x0
	v_cndmask_b32_e32 v15, v13, v10, vcc_lo
	v_cndmask_b32_e32 v16, v9, v13, vcc_lo
	;; [unrolled: 1-line block ×3, first 2 shown]
	s_delay_alu instid0(VALU_DEP_2)
	v_cmp_le_u32_e64 s1, v16, v15
	s_and_b32 s0, s0, s1
	s_wait_alu 0xfffe
	s_or_b32 vcc_lo, s2, s0
	s_wait_alu 0xfffe
	v_dual_cndmask_b32 v13, v12, v1 :: v_dual_cndmask_b32 v10, v15, v16
.LBB34_27:
	s_wait_alu 0xfffe
	s_or_b32 exec_lo, exec_lo, s3
	v_lshl_add_u32 v14, v0, 2, v7
	v_lshlrev_b32_e32 v1, 3, v2
	s_wait_loadcnt 0x0
	s_barrier_signal -1
	s_barrier_wait -1
	global_inv scope:SCOPE_SE
	ds_store_2addr_stride64_b64 v14, v[3:4], v[5:6] offset1:8
	v_lshlrev_b32_e32 v3, 3, v13
	s_wait_loadcnt_dscnt 0x0
	s_barrier_signal -1
	s_barrier_wait -1
	global_inv scope:SCOPE_SE
	ds_load_b64 v[1:2], v1
	ds_load_b64 v[3:4], v3
	v_lshrrev_b32_e32 v5, 4, v0
	v_or_b32_e32 v12, 0x200, v0
	s_mov_b32 s13, 0
	v_lshrrev_b32_e32 v6, 5, v0
	s_wait_alu 0xfffe
	s_lshl_b64 s[0:1], s[12:13], 2
	v_lshl_add_u32 v15, v5, 2, v14
	v_add_nc_u32_e32 v11, v5, v11
	v_lshrrev_b32_e32 v16, 5, v12
	s_wait_alu 0xfffe
	s_add_nc_u64 s[0:1], s[4:5], s[0:1]
	s_wait_loadcnt_dscnt 0x0
	s_wait_alu 0xfffe
	v_add_co_u32 v5, s0, s0, v7
	s_barrier_signal -1
	s_barrier_wait -1
	global_inv scope:SCOPE_SE
	s_wait_loadcnt 0x0
	s_barrier_signal -1
	s_barrier_wait -1
	global_inv scope:SCOPE_SE
	ds_store_2addr_b32 v15, v9, v10 offset1:1
	v_add_nc_u32_e32 v9, v6, v0
	v_lshl_add_u32 v10, v6, 2, v7
	v_lshl_add_u32 v13, v16, 2, v7
	s_wait_alu 0xf1ff
	v_add_co_ci_u32_e64 v6, null, s1, 0, s0
	v_lshl_add_u32 v11, v11, 2, v15
	v_lshl_add_u32 v7, v16, 3, v14
	s_and_b32 vcc_lo, exec_lo, s22
	s_mov_b32 s0, -1
	s_wait_loadcnt_dscnt 0x0
	s_wait_alu 0xfffe
	s_cbranch_vccz .LBB34_29
; %bb.28:
	s_barrier_signal -1
	s_barrier_wait -1
	global_inv scope:SCOPE_SE
	ds_load_b32 v14, v10
	ds_load_b32 v15, v13 offset:2048
	v_lshl_add_u32 v16, v9, 2, v10
	s_lshl_b64 s[0:1], s[12:13], 3
	s_wait_dscnt 0x1
	global_store_b32 v[5:6], v14, off
	s_wait_dscnt 0x0
	global_store_b32 v[5:6], v15, off offset:2048
	s_wait_loadcnt 0x0
	s_wait_storecnt 0x0
	s_barrier_signal -1
	s_barrier_wait -1
	global_inv scope:SCOPE_SE
	ds_store_2addr_b64 v11, v[1:2], v[3:4] offset1:1
	s_wait_loadcnt_dscnt 0x0
	s_barrier_signal -1
	s_barrier_wait -1
	global_inv scope:SCOPE_SE
	ds_load_b64 v[14:15], v16
	ds_load_b64 v[16:17], v7 offset:4096
	s_wait_alu 0xfffe
	s_add_nc_u64 s[2:3], s[8:9], s[0:1]
	s_mov_b32 s0, s13
	s_wait_dscnt 0x1
	global_store_b64 v8, v[14:15], s[2:3]
	s_wait_dscnt 0x0
	global_store_b64 v8, v[16:17], s[2:3] offset:4096
.LBB34_29:
	s_wait_alu 0xfffe
	s_and_not1_b32 vcc_lo, exec_lo, s0
	s_wait_alu 0xfffe
	s_cbranch_vccnz .LBB34_38
; %bb.30:
	s_barrier_signal -1
	s_barrier_wait -1
	s_wait_loadcnt 0x0
	s_wait_storecnt 0x0
	global_inv scope:SCOPE_SE
	ds_load_b32 v13, v13 offset:2048
	s_sub_co_i32 s0, s10, s12
	s_wait_alu 0xfffe
	v_cmp_gt_u32_e32 vcc_lo, s0, v0
	s_and_saveexec_b32 s1, vcc_lo
	s_cbranch_execz .LBB34_32
; %bb.31:
	ds_load_b32 v0, v10
	s_wait_dscnt 0x0
	global_store_b32 v[5:6], v0, off
.LBB34_32:
	s_wait_alu 0xfffe
	s_or_b32 exec_lo, exec_lo, s1
	v_cmp_gt_u32_e64 s0, s0, v12
	s_and_saveexec_b32 s1, s0
	s_cbranch_execz .LBB34_34
; %bb.33:
	s_wait_dscnt 0x0
	global_store_b32 v[5:6], v13, off offset:2048
.LBB34_34:
	s_wait_alu 0xfffe
	s_or_b32 exec_lo, exec_lo, s1
	s_wait_storecnt 0x0
	s_wait_loadcnt_dscnt 0x0
	s_barrier_signal -1
	s_barrier_wait -1
	global_inv scope:SCOPE_SE
	ds_store_2addr_b64 v11, v[1:2], v[3:4] offset1:1
	s_wait_loadcnt_dscnt 0x0
	s_barrier_signal -1
	s_barrier_wait -1
	global_inv scope:SCOPE_SE
	ds_load_b64 v[0:1], v7 offset:4096
	s_lshl_b64 s[2:3], s[12:13], 3
	s_wait_alu 0xfffe
	s_add_nc_u64 s[2:3], s[8:9], s[2:3]
	s_wait_alu 0xfffe
	v_add_co_u32 v2, s1, s2, v8
	s_wait_alu 0xf1ff
	v_add_co_ci_u32_e64 v3, null, s3, 0, s1
	s_and_saveexec_b32 s1, vcc_lo
	s_cbranch_execz .LBB34_36
; %bb.35:
	v_lshl_add_u32 v4, v9, 2, v10
	ds_load_b64 v[4:5], v4
	s_wait_dscnt 0x0
	global_store_b64 v[2:3], v[4:5], off
.LBB34_36:
	s_wait_alu 0xfffe
	s_or_b32 exec_lo, exec_lo, s1
	s_and_saveexec_b32 s1, s0
	s_cbranch_execz .LBB34_38
; %bb.37:
	s_wait_dscnt 0x0
	global_store_b64 v[2:3], v[0:1], off offset:4096
.LBB34_38:
	s_endpgm
	.section	.rodata,"a",@progbits
	.p2align	6, 0x0
	.amdhsa_kernel _ZN7rocprim17ROCPRIM_400000_NS6detail17trampoline_kernelINS0_14default_configENS1_38merge_sort_block_merge_config_selectorIjN6thrust23THRUST_200600_302600_NS5tupleIffNS6_9null_typeES8_S8_S8_S8_S8_S8_S8_EEEEZZNS1_27merge_sort_block_merge_implIS3_NS6_6detail15normal_iteratorINS6_10device_ptrIjEEEENSD_INSE_IS9_EEEEjNS1_19radix_merge_compareILb0ELb0EjNS0_19identity_decomposerEEEEE10hipError_tT0_T1_T2_jT3_P12ihipStream_tbPNSt15iterator_traitsISN_E10value_typeEPNST_ISO_E10value_typeEPSP_NS1_7vsmem_tEENKUlT_SN_SO_SP_E_clIPjSG_PS9_SI_EESM_S12_SN_SO_SP_EUlS12_E0_NS1_11comp_targetILNS1_3genE10ELNS1_11target_archE1201ELNS1_3gpuE5ELNS1_3repE0EEENS1_38merge_mergepath_config_static_selectorELNS0_4arch9wavefront6targetE0EEEvSO_
		.amdhsa_group_segment_fixed_size 8448
		.amdhsa_private_segment_fixed_size 0
		.amdhsa_kernarg_size 320
		.amdhsa_user_sgpr_count 2
		.amdhsa_user_sgpr_dispatch_ptr 0
		.amdhsa_user_sgpr_queue_ptr 0
		.amdhsa_user_sgpr_kernarg_segment_ptr 1
		.amdhsa_user_sgpr_dispatch_id 0
		.amdhsa_user_sgpr_private_segment_size 0
		.amdhsa_wavefront_size32 1
		.amdhsa_uses_dynamic_stack 0
		.amdhsa_enable_private_segment 0
		.amdhsa_system_sgpr_workgroup_id_x 1
		.amdhsa_system_sgpr_workgroup_id_y 1
		.amdhsa_system_sgpr_workgroup_id_z 1
		.amdhsa_system_sgpr_workgroup_info 0
		.amdhsa_system_vgpr_workitem_id 0
		.amdhsa_next_free_vgpr 18
		.amdhsa_next_free_sgpr 28
		.amdhsa_reserve_vcc 1
		.amdhsa_float_round_mode_32 0
		.amdhsa_float_round_mode_16_64 0
		.amdhsa_float_denorm_mode_32 3
		.amdhsa_float_denorm_mode_16_64 3
		.amdhsa_fp16_overflow 0
		.amdhsa_workgroup_processor_mode 1
		.amdhsa_memory_ordered 1
		.amdhsa_forward_progress 1
		.amdhsa_inst_pref_size 20
		.amdhsa_round_robin_scheduling 0
		.amdhsa_exception_fp_ieee_invalid_op 0
		.amdhsa_exception_fp_denorm_src 0
		.amdhsa_exception_fp_ieee_div_zero 0
		.amdhsa_exception_fp_ieee_overflow 0
		.amdhsa_exception_fp_ieee_underflow 0
		.amdhsa_exception_fp_ieee_inexact 0
		.amdhsa_exception_int_div_zero 0
	.end_amdhsa_kernel
	.section	.text._ZN7rocprim17ROCPRIM_400000_NS6detail17trampoline_kernelINS0_14default_configENS1_38merge_sort_block_merge_config_selectorIjN6thrust23THRUST_200600_302600_NS5tupleIffNS6_9null_typeES8_S8_S8_S8_S8_S8_S8_EEEEZZNS1_27merge_sort_block_merge_implIS3_NS6_6detail15normal_iteratorINS6_10device_ptrIjEEEENSD_INSE_IS9_EEEEjNS1_19radix_merge_compareILb0ELb0EjNS0_19identity_decomposerEEEEE10hipError_tT0_T1_T2_jT3_P12ihipStream_tbPNSt15iterator_traitsISN_E10value_typeEPNST_ISO_E10value_typeEPSP_NS1_7vsmem_tEENKUlT_SN_SO_SP_E_clIPjSG_PS9_SI_EESM_S12_SN_SO_SP_EUlS12_E0_NS1_11comp_targetILNS1_3genE10ELNS1_11target_archE1201ELNS1_3gpuE5ELNS1_3repE0EEENS1_38merge_mergepath_config_static_selectorELNS0_4arch9wavefront6targetE0EEEvSO_,"axG",@progbits,_ZN7rocprim17ROCPRIM_400000_NS6detail17trampoline_kernelINS0_14default_configENS1_38merge_sort_block_merge_config_selectorIjN6thrust23THRUST_200600_302600_NS5tupleIffNS6_9null_typeES8_S8_S8_S8_S8_S8_S8_EEEEZZNS1_27merge_sort_block_merge_implIS3_NS6_6detail15normal_iteratorINS6_10device_ptrIjEEEENSD_INSE_IS9_EEEEjNS1_19radix_merge_compareILb0ELb0EjNS0_19identity_decomposerEEEEE10hipError_tT0_T1_T2_jT3_P12ihipStream_tbPNSt15iterator_traitsISN_E10value_typeEPNST_ISO_E10value_typeEPSP_NS1_7vsmem_tEENKUlT_SN_SO_SP_E_clIPjSG_PS9_SI_EESM_S12_SN_SO_SP_EUlS12_E0_NS1_11comp_targetILNS1_3genE10ELNS1_11target_archE1201ELNS1_3gpuE5ELNS1_3repE0EEENS1_38merge_mergepath_config_static_selectorELNS0_4arch9wavefront6targetE0EEEvSO_,comdat
.Lfunc_end34:
	.size	_ZN7rocprim17ROCPRIM_400000_NS6detail17trampoline_kernelINS0_14default_configENS1_38merge_sort_block_merge_config_selectorIjN6thrust23THRUST_200600_302600_NS5tupleIffNS6_9null_typeES8_S8_S8_S8_S8_S8_S8_EEEEZZNS1_27merge_sort_block_merge_implIS3_NS6_6detail15normal_iteratorINS6_10device_ptrIjEEEENSD_INSE_IS9_EEEEjNS1_19radix_merge_compareILb0ELb0EjNS0_19identity_decomposerEEEEE10hipError_tT0_T1_T2_jT3_P12ihipStream_tbPNSt15iterator_traitsISN_E10value_typeEPNST_ISO_E10value_typeEPSP_NS1_7vsmem_tEENKUlT_SN_SO_SP_E_clIPjSG_PS9_SI_EESM_S12_SN_SO_SP_EUlS12_E0_NS1_11comp_targetILNS1_3genE10ELNS1_11target_archE1201ELNS1_3gpuE5ELNS1_3repE0EEENS1_38merge_mergepath_config_static_selectorELNS0_4arch9wavefront6targetE0EEEvSO_, .Lfunc_end34-_ZN7rocprim17ROCPRIM_400000_NS6detail17trampoline_kernelINS0_14default_configENS1_38merge_sort_block_merge_config_selectorIjN6thrust23THRUST_200600_302600_NS5tupleIffNS6_9null_typeES8_S8_S8_S8_S8_S8_S8_EEEEZZNS1_27merge_sort_block_merge_implIS3_NS6_6detail15normal_iteratorINS6_10device_ptrIjEEEENSD_INSE_IS9_EEEEjNS1_19radix_merge_compareILb0ELb0EjNS0_19identity_decomposerEEEEE10hipError_tT0_T1_T2_jT3_P12ihipStream_tbPNSt15iterator_traitsISN_E10value_typeEPNST_ISO_E10value_typeEPSP_NS1_7vsmem_tEENKUlT_SN_SO_SP_E_clIPjSG_PS9_SI_EESM_S12_SN_SO_SP_EUlS12_E0_NS1_11comp_targetILNS1_3genE10ELNS1_11target_archE1201ELNS1_3gpuE5ELNS1_3repE0EEENS1_38merge_mergepath_config_static_selectorELNS0_4arch9wavefront6targetE0EEEvSO_
                                        ; -- End function
	.set _ZN7rocprim17ROCPRIM_400000_NS6detail17trampoline_kernelINS0_14default_configENS1_38merge_sort_block_merge_config_selectorIjN6thrust23THRUST_200600_302600_NS5tupleIffNS6_9null_typeES8_S8_S8_S8_S8_S8_S8_EEEEZZNS1_27merge_sort_block_merge_implIS3_NS6_6detail15normal_iteratorINS6_10device_ptrIjEEEENSD_INSE_IS9_EEEEjNS1_19radix_merge_compareILb0ELb0EjNS0_19identity_decomposerEEEEE10hipError_tT0_T1_T2_jT3_P12ihipStream_tbPNSt15iterator_traitsISN_E10value_typeEPNST_ISO_E10value_typeEPSP_NS1_7vsmem_tEENKUlT_SN_SO_SP_E_clIPjSG_PS9_SI_EESM_S12_SN_SO_SP_EUlS12_E0_NS1_11comp_targetILNS1_3genE10ELNS1_11target_archE1201ELNS1_3gpuE5ELNS1_3repE0EEENS1_38merge_mergepath_config_static_selectorELNS0_4arch9wavefront6targetE0EEEvSO_.num_vgpr, 18
	.set _ZN7rocprim17ROCPRIM_400000_NS6detail17trampoline_kernelINS0_14default_configENS1_38merge_sort_block_merge_config_selectorIjN6thrust23THRUST_200600_302600_NS5tupleIffNS6_9null_typeES8_S8_S8_S8_S8_S8_S8_EEEEZZNS1_27merge_sort_block_merge_implIS3_NS6_6detail15normal_iteratorINS6_10device_ptrIjEEEENSD_INSE_IS9_EEEEjNS1_19radix_merge_compareILb0ELb0EjNS0_19identity_decomposerEEEEE10hipError_tT0_T1_T2_jT3_P12ihipStream_tbPNSt15iterator_traitsISN_E10value_typeEPNST_ISO_E10value_typeEPSP_NS1_7vsmem_tEENKUlT_SN_SO_SP_E_clIPjSG_PS9_SI_EESM_S12_SN_SO_SP_EUlS12_E0_NS1_11comp_targetILNS1_3genE10ELNS1_11target_archE1201ELNS1_3gpuE5ELNS1_3repE0EEENS1_38merge_mergepath_config_static_selectorELNS0_4arch9wavefront6targetE0EEEvSO_.num_agpr, 0
	.set _ZN7rocprim17ROCPRIM_400000_NS6detail17trampoline_kernelINS0_14default_configENS1_38merge_sort_block_merge_config_selectorIjN6thrust23THRUST_200600_302600_NS5tupleIffNS6_9null_typeES8_S8_S8_S8_S8_S8_S8_EEEEZZNS1_27merge_sort_block_merge_implIS3_NS6_6detail15normal_iteratorINS6_10device_ptrIjEEEENSD_INSE_IS9_EEEEjNS1_19radix_merge_compareILb0ELb0EjNS0_19identity_decomposerEEEEE10hipError_tT0_T1_T2_jT3_P12ihipStream_tbPNSt15iterator_traitsISN_E10value_typeEPNST_ISO_E10value_typeEPSP_NS1_7vsmem_tEENKUlT_SN_SO_SP_E_clIPjSG_PS9_SI_EESM_S12_SN_SO_SP_EUlS12_E0_NS1_11comp_targetILNS1_3genE10ELNS1_11target_archE1201ELNS1_3gpuE5ELNS1_3repE0EEENS1_38merge_mergepath_config_static_selectorELNS0_4arch9wavefront6targetE0EEEvSO_.numbered_sgpr, 28
	.set _ZN7rocprim17ROCPRIM_400000_NS6detail17trampoline_kernelINS0_14default_configENS1_38merge_sort_block_merge_config_selectorIjN6thrust23THRUST_200600_302600_NS5tupleIffNS6_9null_typeES8_S8_S8_S8_S8_S8_S8_EEEEZZNS1_27merge_sort_block_merge_implIS3_NS6_6detail15normal_iteratorINS6_10device_ptrIjEEEENSD_INSE_IS9_EEEEjNS1_19radix_merge_compareILb0ELb0EjNS0_19identity_decomposerEEEEE10hipError_tT0_T1_T2_jT3_P12ihipStream_tbPNSt15iterator_traitsISN_E10value_typeEPNST_ISO_E10value_typeEPSP_NS1_7vsmem_tEENKUlT_SN_SO_SP_E_clIPjSG_PS9_SI_EESM_S12_SN_SO_SP_EUlS12_E0_NS1_11comp_targetILNS1_3genE10ELNS1_11target_archE1201ELNS1_3gpuE5ELNS1_3repE0EEENS1_38merge_mergepath_config_static_selectorELNS0_4arch9wavefront6targetE0EEEvSO_.num_named_barrier, 0
	.set _ZN7rocprim17ROCPRIM_400000_NS6detail17trampoline_kernelINS0_14default_configENS1_38merge_sort_block_merge_config_selectorIjN6thrust23THRUST_200600_302600_NS5tupleIffNS6_9null_typeES8_S8_S8_S8_S8_S8_S8_EEEEZZNS1_27merge_sort_block_merge_implIS3_NS6_6detail15normal_iteratorINS6_10device_ptrIjEEEENSD_INSE_IS9_EEEEjNS1_19radix_merge_compareILb0ELb0EjNS0_19identity_decomposerEEEEE10hipError_tT0_T1_T2_jT3_P12ihipStream_tbPNSt15iterator_traitsISN_E10value_typeEPNST_ISO_E10value_typeEPSP_NS1_7vsmem_tEENKUlT_SN_SO_SP_E_clIPjSG_PS9_SI_EESM_S12_SN_SO_SP_EUlS12_E0_NS1_11comp_targetILNS1_3genE10ELNS1_11target_archE1201ELNS1_3gpuE5ELNS1_3repE0EEENS1_38merge_mergepath_config_static_selectorELNS0_4arch9wavefront6targetE0EEEvSO_.private_seg_size, 0
	.set _ZN7rocprim17ROCPRIM_400000_NS6detail17trampoline_kernelINS0_14default_configENS1_38merge_sort_block_merge_config_selectorIjN6thrust23THRUST_200600_302600_NS5tupleIffNS6_9null_typeES8_S8_S8_S8_S8_S8_S8_EEEEZZNS1_27merge_sort_block_merge_implIS3_NS6_6detail15normal_iteratorINS6_10device_ptrIjEEEENSD_INSE_IS9_EEEEjNS1_19radix_merge_compareILb0ELb0EjNS0_19identity_decomposerEEEEE10hipError_tT0_T1_T2_jT3_P12ihipStream_tbPNSt15iterator_traitsISN_E10value_typeEPNST_ISO_E10value_typeEPSP_NS1_7vsmem_tEENKUlT_SN_SO_SP_E_clIPjSG_PS9_SI_EESM_S12_SN_SO_SP_EUlS12_E0_NS1_11comp_targetILNS1_3genE10ELNS1_11target_archE1201ELNS1_3gpuE5ELNS1_3repE0EEENS1_38merge_mergepath_config_static_selectorELNS0_4arch9wavefront6targetE0EEEvSO_.uses_vcc, 1
	.set _ZN7rocprim17ROCPRIM_400000_NS6detail17trampoline_kernelINS0_14default_configENS1_38merge_sort_block_merge_config_selectorIjN6thrust23THRUST_200600_302600_NS5tupleIffNS6_9null_typeES8_S8_S8_S8_S8_S8_S8_EEEEZZNS1_27merge_sort_block_merge_implIS3_NS6_6detail15normal_iteratorINS6_10device_ptrIjEEEENSD_INSE_IS9_EEEEjNS1_19radix_merge_compareILb0ELb0EjNS0_19identity_decomposerEEEEE10hipError_tT0_T1_T2_jT3_P12ihipStream_tbPNSt15iterator_traitsISN_E10value_typeEPNST_ISO_E10value_typeEPSP_NS1_7vsmem_tEENKUlT_SN_SO_SP_E_clIPjSG_PS9_SI_EESM_S12_SN_SO_SP_EUlS12_E0_NS1_11comp_targetILNS1_3genE10ELNS1_11target_archE1201ELNS1_3gpuE5ELNS1_3repE0EEENS1_38merge_mergepath_config_static_selectorELNS0_4arch9wavefront6targetE0EEEvSO_.uses_flat_scratch, 0
	.set _ZN7rocprim17ROCPRIM_400000_NS6detail17trampoline_kernelINS0_14default_configENS1_38merge_sort_block_merge_config_selectorIjN6thrust23THRUST_200600_302600_NS5tupleIffNS6_9null_typeES8_S8_S8_S8_S8_S8_S8_EEEEZZNS1_27merge_sort_block_merge_implIS3_NS6_6detail15normal_iteratorINS6_10device_ptrIjEEEENSD_INSE_IS9_EEEEjNS1_19radix_merge_compareILb0ELb0EjNS0_19identity_decomposerEEEEE10hipError_tT0_T1_T2_jT3_P12ihipStream_tbPNSt15iterator_traitsISN_E10value_typeEPNST_ISO_E10value_typeEPSP_NS1_7vsmem_tEENKUlT_SN_SO_SP_E_clIPjSG_PS9_SI_EESM_S12_SN_SO_SP_EUlS12_E0_NS1_11comp_targetILNS1_3genE10ELNS1_11target_archE1201ELNS1_3gpuE5ELNS1_3repE0EEENS1_38merge_mergepath_config_static_selectorELNS0_4arch9wavefront6targetE0EEEvSO_.has_dyn_sized_stack, 0
	.set _ZN7rocprim17ROCPRIM_400000_NS6detail17trampoline_kernelINS0_14default_configENS1_38merge_sort_block_merge_config_selectorIjN6thrust23THRUST_200600_302600_NS5tupleIffNS6_9null_typeES8_S8_S8_S8_S8_S8_S8_EEEEZZNS1_27merge_sort_block_merge_implIS3_NS6_6detail15normal_iteratorINS6_10device_ptrIjEEEENSD_INSE_IS9_EEEEjNS1_19radix_merge_compareILb0ELb0EjNS0_19identity_decomposerEEEEE10hipError_tT0_T1_T2_jT3_P12ihipStream_tbPNSt15iterator_traitsISN_E10value_typeEPNST_ISO_E10value_typeEPSP_NS1_7vsmem_tEENKUlT_SN_SO_SP_E_clIPjSG_PS9_SI_EESM_S12_SN_SO_SP_EUlS12_E0_NS1_11comp_targetILNS1_3genE10ELNS1_11target_archE1201ELNS1_3gpuE5ELNS1_3repE0EEENS1_38merge_mergepath_config_static_selectorELNS0_4arch9wavefront6targetE0EEEvSO_.has_recursion, 0
	.set _ZN7rocprim17ROCPRIM_400000_NS6detail17trampoline_kernelINS0_14default_configENS1_38merge_sort_block_merge_config_selectorIjN6thrust23THRUST_200600_302600_NS5tupleIffNS6_9null_typeES8_S8_S8_S8_S8_S8_S8_EEEEZZNS1_27merge_sort_block_merge_implIS3_NS6_6detail15normal_iteratorINS6_10device_ptrIjEEEENSD_INSE_IS9_EEEEjNS1_19radix_merge_compareILb0ELb0EjNS0_19identity_decomposerEEEEE10hipError_tT0_T1_T2_jT3_P12ihipStream_tbPNSt15iterator_traitsISN_E10value_typeEPNST_ISO_E10value_typeEPSP_NS1_7vsmem_tEENKUlT_SN_SO_SP_E_clIPjSG_PS9_SI_EESM_S12_SN_SO_SP_EUlS12_E0_NS1_11comp_targetILNS1_3genE10ELNS1_11target_archE1201ELNS1_3gpuE5ELNS1_3repE0EEENS1_38merge_mergepath_config_static_selectorELNS0_4arch9wavefront6targetE0EEEvSO_.has_indirect_call, 0
	.section	.AMDGPU.csdata,"",@progbits
; Kernel info:
; codeLenInByte = 2544
; TotalNumSgprs: 30
; NumVgprs: 18
; ScratchSize: 0
; MemoryBound: 0
; FloatMode: 240
; IeeeMode: 1
; LDSByteSize: 8448 bytes/workgroup (compile time only)
; SGPRBlocks: 0
; VGPRBlocks: 2
; NumSGPRsForWavesPerEU: 30
; NumVGPRsForWavesPerEU: 18
; Occupancy: 16
; WaveLimiterHint : 1
; COMPUTE_PGM_RSRC2:SCRATCH_EN: 0
; COMPUTE_PGM_RSRC2:USER_SGPR: 2
; COMPUTE_PGM_RSRC2:TRAP_HANDLER: 0
; COMPUTE_PGM_RSRC2:TGID_X_EN: 1
; COMPUTE_PGM_RSRC2:TGID_Y_EN: 1
; COMPUTE_PGM_RSRC2:TGID_Z_EN: 1
; COMPUTE_PGM_RSRC2:TIDIG_COMP_CNT: 0
	.section	.text._ZN7rocprim17ROCPRIM_400000_NS6detail17trampoline_kernelINS0_14default_configENS1_38merge_sort_block_merge_config_selectorIjN6thrust23THRUST_200600_302600_NS5tupleIffNS6_9null_typeES8_S8_S8_S8_S8_S8_S8_EEEEZZNS1_27merge_sort_block_merge_implIS3_NS6_6detail15normal_iteratorINS6_10device_ptrIjEEEENSD_INSE_IS9_EEEEjNS1_19radix_merge_compareILb0ELb0EjNS0_19identity_decomposerEEEEE10hipError_tT0_T1_T2_jT3_P12ihipStream_tbPNSt15iterator_traitsISN_E10value_typeEPNST_ISO_E10value_typeEPSP_NS1_7vsmem_tEENKUlT_SN_SO_SP_E_clIPjSG_PS9_SI_EESM_S12_SN_SO_SP_EUlS12_E0_NS1_11comp_targetILNS1_3genE5ELNS1_11target_archE942ELNS1_3gpuE9ELNS1_3repE0EEENS1_38merge_mergepath_config_static_selectorELNS0_4arch9wavefront6targetE0EEEvSO_,"axG",@progbits,_ZN7rocprim17ROCPRIM_400000_NS6detail17trampoline_kernelINS0_14default_configENS1_38merge_sort_block_merge_config_selectorIjN6thrust23THRUST_200600_302600_NS5tupleIffNS6_9null_typeES8_S8_S8_S8_S8_S8_S8_EEEEZZNS1_27merge_sort_block_merge_implIS3_NS6_6detail15normal_iteratorINS6_10device_ptrIjEEEENSD_INSE_IS9_EEEEjNS1_19radix_merge_compareILb0ELb0EjNS0_19identity_decomposerEEEEE10hipError_tT0_T1_T2_jT3_P12ihipStream_tbPNSt15iterator_traitsISN_E10value_typeEPNST_ISO_E10value_typeEPSP_NS1_7vsmem_tEENKUlT_SN_SO_SP_E_clIPjSG_PS9_SI_EESM_S12_SN_SO_SP_EUlS12_E0_NS1_11comp_targetILNS1_3genE5ELNS1_11target_archE942ELNS1_3gpuE9ELNS1_3repE0EEENS1_38merge_mergepath_config_static_selectorELNS0_4arch9wavefront6targetE0EEEvSO_,comdat
	.protected	_ZN7rocprim17ROCPRIM_400000_NS6detail17trampoline_kernelINS0_14default_configENS1_38merge_sort_block_merge_config_selectorIjN6thrust23THRUST_200600_302600_NS5tupleIffNS6_9null_typeES8_S8_S8_S8_S8_S8_S8_EEEEZZNS1_27merge_sort_block_merge_implIS3_NS6_6detail15normal_iteratorINS6_10device_ptrIjEEEENSD_INSE_IS9_EEEEjNS1_19radix_merge_compareILb0ELb0EjNS0_19identity_decomposerEEEEE10hipError_tT0_T1_T2_jT3_P12ihipStream_tbPNSt15iterator_traitsISN_E10value_typeEPNST_ISO_E10value_typeEPSP_NS1_7vsmem_tEENKUlT_SN_SO_SP_E_clIPjSG_PS9_SI_EESM_S12_SN_SO_SP_EUlS12_E0_NS1_11comp_targetILNS1_3genE5ELNS1_11target_archE942ELNS1_3gpuE9ELNS1_3repE0EEENS1_38merge_mergepath_config_static_selectorELNS0_4arch9wavefront6targetE0EEEvSO_ ; -- Begin function _ZN7rocprim17ROCPRIM_400000_NS6detail17trampoline_kernelINS0_14default_configENS1_38merge_sort_block_merge_config_selectorIjN6thrust23THRUST_200600_302600_NS5tupleIffNS6_9null_typeES8_S8_S8_S8_S8_S8_S8_EEEEZZNS1_27merge_sort_block_merge_implIS3_NS6_6detail15normal_iteratorINS6_10device_ptrIjEEEENSD_INSE_IS9_EEEEjNS1_19radix_merge_compareILb0ELb0EjNS0_19identity_decomposerEEEEE10hipError_tT0_T1_T2_jT3_P12ihipStream_tbPNSt15iterator_traitsISN_E10value_typeEPNST_ISO_E10value_typeEPSP_NS1_7vsmem_tEENKUlT_SN_SO_SP_E_clIPjSG_PS9_SI_EESM_S12_SN_SO_SP_EUlS12_E0_NS1_11comp_targetILNS1_3genE5ELNS1_11target_archE942ELNS1_3gpuE9ELNS1_3repE0EEENS1_38merge_mergepath_config_static_selectorELNS0_4arch9wavefront6targetE0EEEvSO_
	.globl	_ZN7rocprim17ROCPRIM_400000_NS6detail17trampoline_kernelINS0_14default_configENS1_38merge_sort_block_merge_config_selectorIjN6thrust23THRUST_200600_302600_NS5tupleIffNS6_9null_typeES8_S8_S8_S8_S8_S8_S8_EEEEZZNS1_27merge_sort_block_merge_implIS3_NS6_6detail15normal_iteratorINS6_10device_ptrIjEEEENSD_INSE_IS9_EEEEjNS1_19radix_merge_compareILb0ELb0EjNS0_19identity_decomposerEEEEE10hipError_tT0_T1_T2_jT3_P12ihipStream_tbPNSt15iterator_traitsISN_E10value_typeEPNST_ISO_E10value_typeEPSP_NS1_7vsmem_tEENKUlT_SN_SO_SP_E_clIPjSG_PS9_SI_EESM_S12_SN_SO_SP_EUlS12_E0_NS1_11comp_targetILNS1_3genE5ELNS1_11target_archE942ELNS1_3gpuE9ELNS1_3repE0EEENS1_38merge_mergepath_config_static_selectorELNS0_4arch9wavefront6targetE0EEEvSO_
	.p2align	8
	.type	_ZN7rocprim17ROCPRIM_400000_NS6detail17trampoline_kernelINS0_14default_configENS1_38merge_sort_block_merge_config_selectorIjN6thrust23THRUST_200600_302600_NS5tupleIffNS6_9null_typeES8_S8_S8_S8_S8_S8_S8_EEEEZZNS1_27merge_sort_block_merge_implIS3_NS6_6detail15normal_iteratorINS6_10device_ptrIjEEEENSD_INSE_IS9_EEEEjNS1_19radix_merge_compareILb0ELb0EjNS0_19identity_decomposerEEEEE10hipError_tT0_T1_T2_jT3_P12ihipStream_tbPNSt15iterator_traitsISN_E10value_typeEPNST_ISO_E10value_typeEPSP_NS1_7vsmem_tEENKUlT_SN_SO_SP_E_clIPjSG_PS9_SI_EESM_S12_SN_SO_SP_EUlS12_E0_NS1_11comp_targetILNS1_3genE5ELNS1_11target_archE942ELNS1_3gpuE9ELNS1_3repE0EEENS1_38merge_mergepath_config_static_selectorELNS0_4arch9wavefront6targetE0EEEvSO_,@function
_ZN7rocprim17ROCPRIM_400000_NS6detail17trampoline_kernelINS0_14default_configENS1_38merge_sort_block_merge_config_selectorIjN6thrust23THRUST_200600_302600_NS5tupleIffNS6_9null_typeES8_S8_S8_S8_S8_S8_S8_EEEEZZNS1_27merge_sort_block_merge_implIS3_NS6_6detail15normal_iteratorINS6_10device_ptrIjEEEENSD_INSE_IS9_EEEEjNS1_19radix_merge_compareILb0ELb0EjNS0_19identity_decomposerEEEEE10hipError_tT0_T1_T2_jT3_P12ihipStream_tbPNSt15iterator_traitsISN_E10value_typeEPNST_ISO_E10value_typeEPSP_NS1_7vsmem_tEENKUlT_SN_SO_SP_E_clIPjSG_PS9_SI_EESM_S12_SN_SO_SP_EUlS12_E0_NS1_11comp_targetILNS1_3genE5ELNS1_11target_archE942ELNS1_3gpuE9ELNS1_3repE0EEENS1_38merge_mergepath_config_static_selectorELNS0_4arch9wavefront6targetE0EEEvSO_: ; @_ZN7rocprim17ROCPRIM_400000_NS6detail17trampoline_kernelINS0_14default_configENS1_38merge_sort_block_merge_config_selectorIjN6thrust23THRUST_200600_302600_NS5tupleIffNS6_9null_typeES8_S8_S8_S8_S8_S8_S8_EEEEZZNS1_27merge_sort_block_merge_implIS3_NS6_6detail15normal_iteratorINS6_10device_ptrIjEEEENSD_INSE_IS9_EEEEjNS1_19radix_merge_compareILb0ELb0EjNS0_19identity_decomposerEEEEE10hipError_tT0_T1_T2_jT3_P12ihipStream_tbPNSt15iterator_traitsISN_E10value_typeEPNST_ISO_E10value_typeEPSP_NS1_7vsmem_tEENKUlT_SN_SO_SP_E_clIPjSG_PS9_SI_EESM_S12_SN_SO_SP_EUlS12_E0_NS1_11comp_targetILNS1_3genE5ELNS1_11target_archE942ELNS1_3gpuE9ELNS1_3repE0EEENS1_38merge_mergepath_config_static_selectorELNS0_4arch9wavefront6targetE0EEEvSO_
; %bb.0:
	.section	.rodata,"a",@progbits
	.p2align	6, 0x0
	.amdhsa_kernel _ZN7rocprim17ROCPRIM_400000_NS6detail17trampoline_kernelINS0_14default_configENS1_38merge_sort_block_merge_config_selectorIjN6thrust23THRUST_200600_302600_NS5tupleIffNS6_9null_typeES8_S8_S8_S8_S8_S8_S8_EEEEZZNS1_27merge_sort_block_merge_implIS3_NS6_6detail15normal_iteratorINS6_10device_ptrIjEEEENSD_INSE_IS9_EEEEjNS1_19radix_merge_compareILb0ELb0EjNS0_19identity_decomposerEEEEE10hipError_tT0_T1_T2_jT3_P12ihipStream_tbPNSt15iterator_traitsISN_E10value_typeEPNST_ISO_E10value_typeEPSP_NS1_7vsmem_tEENKUlT_SN_SO_SP_E_clIPjSG_PS9_SI_EESM_S12_SN_SO_SP_EUlS12_E0_NS1_11comp_targetILNS1_3genE5ELNS1_11target_archE942ELNS1_3gpuE9ELNS1_3repE0EEENS1_38merge_mergepath_config_static_selectorELNS0_4arch9wavefront6targetE0EEEvSO_
		.amdhsa_group_segment_fixed_size 0
		.amdhsa_private_segment_fixed_size 0
		.amdhsa_kernarg_size 64
		.amdhsa_user_sgpr_count 2
		.amdhsa_user_sgpr_dispatch_ptr 0
		.amdhsa_user_sgpr_queue_ptr 0
		.amdhsa_user_sgpr_kernarg_segment_ptr 1
		.amdhsa_user_sgpr_dispatch_id 0
		.amdhsa_user_sgpr_private_segment_size 0
		.amdhsa_wavefront_size32 1
		.amdhsa_uses_dynamic_stack 0
		.amdhsa_enable_private_segment 0
		.amdhsa_system_sgpr_workgroup_id_x 1
		.amdhsa_system_sgpr_workgroup_id_y 0
		.amdhsa_system_sgpr_workgroup_id_z 0
		.amdhsa_system_sgpr_workgroup_info 0
		.amdhsa_system_vgpr_workitem_id 0
		.amdhsa_next_free_vgpr 1
		.amdhsa_next_free_sgpr 1
		.amdhsa_reserve_vcc 0
		.amdhsa_float_round_mode_32 0
		.amdhsa_float_round_mode_16_64 0
		.amdhsa_float_denorm_mode_32 3
		.amdhsa_float_denorm_mode_16_64 3
		.amdhsa_fp16_overflow 0
		.amdhsa_workgroup_processor_mode 1
		.amdhsa_memory_ordered 1
		.amdhsa_forward_progress 1
		.amdhsa_inst_pref_size 0
		.amdhsa_round_robin_scheduling 0
		.amdhsa_exception_fp_ieee_invalid_op 0
		.amdhsa_exception_fp_denorm_src 0
		.amdhsa_exception_fp_ieee_div_zero 0
		.amdhsa_exception_fp_ieee_overflow 0
		.amdhsa_exception_fp_ieee_underflow 0
		.amdhsa_exception_fp_ieee_inexact 0
		.amdhsa_exception_int_div_zero 0
	.end_amdhsa_kernel
	.section	.text._ZN7rocprim17ROCPRIM_400000_NS6detail17trampoline_kernelINS0_14default_configENS1_38merge_sort_block_merge_config_selectorIjN6thrust23THRUST_200600_302600_NS5tupleIffNS6_9null_typeES8_S8_S8_S8_S8_S8_S8_EEEEZZNS1_27merge_sort_block_merge_implIS3_NS6_6detail15normal_iteratorINS6_10device_ptrIjEEEENSD_INSE_IS9_EEEEjNS1_19radix_merge_compareILb0ELb0EjNS0_19identity_decomposerEEEEE10hipError_tT0_T1_T2_jT3_P12ihipStream_tbPNSt15iterator_traitsISN_E10value_typeEPNST_ISO_E10value_typeEPSP_NS1_7vsmem_tEENKUlT_SN_SO_SP_E_clIPjSG_PS9_SI_EESM_S12_SN_SO_SP_EUlS12_E0_NS1_11comp_targetILNS1_3genE5ELNS1_11target_archE942ELNS1_3gpuE9ELNS1_3repE0EEENS1_38merge_mergepath_config_static_selectorELNS0_4arch9wavefront6targetE0EEEvSO_,"axG",@progbits,_ZN7rocprim17ROCPRIM_400000_NS6detail17trampoline_kernelINS0_14default_configENS1_38merge_sort_block_merge_config_selectorIjN6thrust23THRUST_200600_302600_NS5tupleIffNS6_9null_typeES8_S8_S8_S8_S8_S8_S8_EEEEZZNS1_27merge_sort_block_merge_implIS3_NS6_6detail15normal_iteratorINS6_10device_ptrIjEEEENSD_INSE_IS9_EEEEjNS1_19radix_merge_compareILb0ELb0EjNS0_19identity_decomposerEEEEE10hipError_tT0_T1_T2_jT3_P12ihipStream_tbPNSt15iterator_traitsISN_E10value_typeEPNST_ISO_E10value_typeEPSP_NS1_7vsmem_tEENKUlT_SN_SO_SP_E_clIPjSG_PS9_SI_EESM_S12_SN_SO_SP_EUlS12_E0_NS1_11comp_targetILNS1_3genE5ELNS1_11target_archE942ELNS1_3gpuE9ELNS1_3repE0EEENS1_38merge_mergepath_config_static_selectorELNS0_4arch9wavefront6targetE0EEEvSO_,comdat
.Lfunc_end35:
	.size	_ZN7rocprim17ROCPRIM_400000_NS6detail17trampoline_kernelINS0_14default_configENS1_38merge_sort_block_merge_config_selectorIjN6thrust23THRUST_200600_302600_NS5tupleIffNS6_9null_typeES8_S8_S8_S8_S8_S8_S8_EEEEZZNS1_27merge_sort_block_merge_implIS3_NS6_6detail15normal_iteratorINS6_10device_ptrIjEEEENSD_INSE_IS9_EEEEjNS1_19radix_merge_compareILb0ELb0EjNS0_19identity_decomposerEEEEE10hipError_tT0_T1_T2_jT3_P12ihipStream_tbPNSt15iterator_traitsISN_E10value_typeEPNST_ISO_E10value_typeEPSP_NS1_7vsmem_tEENKUlT_SN_SO_SP_E_clIPjSG_PS9_SI_EESM_S12_SN_SO_SP_EUlS12_E0_NS1_11comp_targetILNS1_3genE5ELNS1_11target_archE942ELNS1_3gpuE9ELNS1_3repE0EEENS1_38merge_mergepath_config_static_selectorELNS0_4arch9wavefront6targetE0EEEvSO_, .Lfunc_end35-_ZN7rocprim17ROCPRIM_400000_NS6detail17trampoline_kernelINS0_14default_configENS1_38merge_sort_block_merge_config_selectorIjN6thrust23THRUST_200600_302600_NS5tupleIffNS6_9null_typeES8_S8_S8_S8_S8_S8_S8_EEEEZZNS1_27merge_sort_block_merge_implIS3_NS6_6detail15normal_iteratorINS6_10device_ptrIjEEEENSD_INSE_IS9_EEEEjNS1_19radix_merge_compareILb0ELb0EjNS0_19identity_decomposerEEEEE10hipError_tT0_T1_T2_jT3_P12ihipStream_tbPNSt15iterator_traitsISN_E10value_typeEPNST_ISO_E10value_typeEPSP_NS1_7vsmem_tEENKUlT_SN_SO_SP_E_clIPjSG_PS9_SI_EESM_S12_SN_SO_SP_EUlS12_E0_NS1_11comp_targetILNS1_3genE5ELNS1_11target_archE942ELNS1_3gpuE9ELNS1_3repE0EEENS1_38merge_mergepath_config_static_selectorELNS0_4arch9wavefront6targetE0EEEvSO_
                                        ; -- End function
	.set _ZN7rocprim17ROCPRIM_400000_NS6detail17trampoline_kernelINS0_14default_configENS1_38merge_sort_block_merge_config_selectorIjN6thrust23THRUST_200600_302600_NS5tupleIffNS6_9null_typeES8_S8_S8_S8_S8_S8_S8_EEEEZZNS1_27merge_sort_block_merge_implIS3_NS6_6detail15normal_iteratorINS6_10device_ptrIjEEEENSD_INSE_IS9_EEEEjNS1_19radix_merge_compareILb0ELb0EjNS0_19identity_decomposerEEEEE10hipError_tT0_T1_T2_jT3_P12ihipStream_tbPNSt15iterator_traitsISN_E10value_typeEPNST_ISO_E10value_typeEPSP_NS1_7vsmem_tEENKUlT_SN_SO_SP_E_clIPjSG_PS9_SI_EESM_S12_SN_SO_SP_EUlS12_E0_NS1_11comp_targetILNS1_3genE5ELNS1_11target_archE942ELNS1_3gpuE9ELNS1_3repE0EEENS1_38merge_mergepath_config_static_selectorELNS0_4arch9wavefront6targetE0EEEvSO_.num_vgpr, 0
	.set _ZN7rocprim17ROCPRIM_400000_NS6detail17trampoline_kernelINS0_14default_configENS1_38merge_sort_block_merge_config_selectorIjN6thrust23THRUST_200600_302600_NS5tupleIffNS6_9null_typeES8_S8_S8_S8_S8_S8_S8_EEEEZZNS1_27merge_sort_block_merge_implIS3_NS6_6detail15normal_iteratorINS6_10device_ptrIjEEEENSD_INSE_IS9_EEEEjNS1_19radix_merge_compareILb0ELb0EjNS0_19identity_decomposerEEEEE10hipError_tT0_T1_T2_jT3_P12ihipStream_tbPNSt15iterator_traitsISN_E10value_typeEPNST_ISO_E10value_typeEPSP_NS1_7vsmem_tEENKUlT_SN_SO_SP_E_clIPjSG_PS9_SI_EESM_S12_SN_SO_SP_EUlS12_E0_NS1_11comp_targetILNS1_3genE5ELNS1_11target_archE942ELNS1_3gpuE9ELNS1_3repE0EEENS1_38merge_mergepath_config_static_selectorELNS0_4arch9wavefront6targetE0EEEvSO_.num_agpr, 0
	.set _ZN7rocprim17ROCPRIM_400000_NS6detail17trampoline_kernelINS0_14default_configENS1_38merge_sort_block_merge_config_selectorIjN6thrust23THRUST_200600_302600_NS5tupleIffNS6_9null_typeES8_S8_S8_S8_S8_S8_S8_EEEEZZNS1_27merge_sort_block_merge_implIS3_NS6_6detail15normal_iteratorINS6_10device_ptrIjEEEENSD_INSE_IS9_EEEEjNS1_19radix_merge_compareILb0ELb0EjNS0_19identity_decomposerEEEEE10hipError_tT0_T1_T2_jT3_P12ihipStream_tbPNSt15iterator_traitsISN_E10value_typeEPNST_ISO_E10value_typeEPSP_NS1_7vsmem_tEENKUlT_SN_SO_SP_E_clIPjSG_PS9_SI_EESM_S12_SN_SO_SP_EUlS12_E0_NS1_11comp_targetILNS1_3genE5ELNS1_11target_archE942ELNS1_3gpuE9ELNS1_3repE0EEENS1_38merge_mergepath_config_static_selectorELNS0_4arch9wavefront6targetE0EEEvSO_.numbered_sgpr, 0
	.set _ZN7rocprim17ROCPRIM_400000_NS6detail17trampoline_kernelINS0_14default_configENS1_38merge_sort_block_merge_config_selectorIjN6thrust23THRUST_200600_302600_NS5tupleIffNS6_9null_typeES8_S8_S8_S8_S8_S8_S8_EEEEZZNS1_27merge_sort_block_merge_implIS3_NS6_6detail15normal_iteratorINS6_10device_ptrIjEEEENSD_INSE_IS9_EEEEjNS1_19radix_merge_compareILb0ELb0EjNS0_19identity_decomposerEEEEE10hipError_tT0_T1_T2_jT3_P12ihipStream_tbPNSt15iterator_traitsISN_E10value_typeEPNST_ISO_E10value_typeEPSP_NS1_7vsmem_tEENKUlT_SN_SO_SP_E_clIPjSG_PS9_SI_EESM_S12_SN_SO_SP_EUlS12_E0_NS1_11comp_targetILNS1_3genE5ELNS1_11target_archE942ELNS1_3gpuE9ELNS1_3repE0EEENS1_38merge_mergepath_config_static_selectorELNS0_4arch9wavefront6targetE0EEEvSO_.num_named_barrier, 0
	.set _ZN7rocprim17ROCPRIM_400000_NS6detail17trampoline_kernelINS0_14default_configENS1_38merge_sort_block_merge_config_selectorIjN6thrust23THRUST_200600_302600_NS5tupleIffNS6_9null_typeES8_S8_S8_S8_S8_S8_S8_EEEEZZNS1_27merge_sort_block_merge_implIS3_NS6_6detail15normal_iteratorINS6_10device_ptrIjEEEENSD_INSE_IS9_EEEEjNS1_19radix_merge_compareILb0ELb0EjNS0_19identity_decomposerEEEEE10hipError_tT0_T1_T2_jT3_P12ihipStream_tbPNSt15iterator_traitsISN_E10value_typeEPNST_ISO_E10value_typeEPSP_NS1_7vsmem_tEENKUlT_SN_SO_SP_E_clIPjSG_PS9_SI_EESM_S12_SN_SO_SP_EUlS12_E0_NS1_11comp_targetILNS1_3genE5ELNS1_11target_archE942ELNS1_3gpuE9ELNS1_3repE0EEENS1_38merge_mergepath_config_static_selectorELNS0_4arch9wavefront6targetE0EEEvSO_.private_seg_size, 0
	.set _ZN7rocprim17ROCPRIM_400000_NS6detail17trampoline_kernelINS0_14default_configENS1_38merge_sort_block_merge_config_selectorIjN6thrust23THRUST_200600_302600_NS5tupleIffNS6_9null_typeES8_S8_S8_S8_S8_S8_S8_EEEEZZNS1_27merge_sort_block_merge_implIS3_NS6_6detail15normal_iteratorINS6_10device_ptrIjEEEENSD_INSE_IS9_EEEEjNS1_19radix_merge_compareILb0ELb0EjNS0_19identity_decomposerEEEEE10hipError_tT0_T1_T2_jT3_P12ihipStream_tbPNSt15iterator_traitsISN_E10value_typeEPNST_ISO_E10value_typeEPSP_NS1_7vsmem_tEENKUlT_SN_SO_SP_E_clIPjSG_PS9_SI_EESM_S12_SN_SO_SP_EUlS12_E0_NS1_11comp_targetILNS1_3genE5ELNS1_11target_archE942ELNS1_3gpuE9ELNS1_3repE0EEENS1_38merge_mergepath_config_static_selectorELNS0_4arch9wavefront6targetE0EEEvSO_.uses_vcc, 0
	.set _ZN7rocprim17ROCPRIM_400000_NS6detail17trampoline_kernelINS0_14default_configENS1_38merge_sort_block_merge_config_selectorIjN6thrust23THRUST_200600_302600_NS5tupleIffNS6_9null_typeES8_S8_S8_S8_S8_S8_S8_EEEEZZNS1_27merge_sort_block_merge_implIS3_NS6_6detail15normal_iteratorINS6_10device_ptrIjEEEENSD_INSE_IS9_EEEEjNS1_19radix_merge_compareILb0ELb0EjNS0_19identity_decomposerEEEEE10hipError_tT0_T1_T2_jT3_P12ihipStream_tbPNSt15iterator_traitsISN_E10value_typeEPNST_ISO_E10value_typeEPSP_NS1_7vsmem_tEENKUlT_SN_SO_SP_E_clIPjSG_PS9_SI_EESM_S12_SN_SO_SP_EUlS12_E0_NS1_11comp_targetILNS1_3genE5ELNS1_11target_archE942ELNS1_3gpuE9ELNS1_3repE0EEENS1_38merge_mergepath_config_static_selectorELNS0_4arch9wavefront6targetE0EEEvSO_.uses_flat_scratch, 0
	.set _ZN7rocprim17ROCPRIM_400000_NS6detail17trampoline_kernelINS0_14default_configENS1_38merge_sort_block_merge_config_selectorIjN6thrust23THRUST_200600_302600_NS5tupleIffNS6_9null_typeES8_S8_S8_S8_S8_S8_S8_EEEEZZNS1_27merge_sort_block_merge_implIS3_NS6_6detail15normal_iteratorINS6_10device_ptrIjEEEENSD_INSE_IS9_EEEEjNS1_19radix_merge_compareILb0ELb0EjNS0_19identity_decomposerEEEEE10hipError_tT0_T1_T2_jT3_P12ihipStream_tbPNSt15iterator_traitsISN_E10value_typeEPNST_ISO_E10value_typeEPSP_NS1_7vsmem_tEENKUlT_SN_SO_SP_E_clIPjSG_PS9_SI_EESM_S12_SN_SO_SP_EUlS12_E0_NS1_11comp_targetILNS1_3genE5ELNS1_11target_archE942ELNS1_3gpuE9ELNS1_3repE0EEENS1_38merge_mergepath_config_static_selectorELNS0_4arch9wavefront6targetE0EEEvSO_.has_dyn_sized_stack, 0
	.set _ZN7rocprim17ROCPRIM_400000_NS6detail17trampoline_kernelINS0_14default_configENS1_38merge_sort_block_merge_config_selectorIjN6thrust23THRUST_200600_302600_NS5tupleIffNS6_9null_typeES8_S8_S8_S8_S8_S8_S8_EEEEZZNS1_27merge_sort_block_merge_implIS3_NS6_6detail15normal_iteratorINS6_10device_ptrIjEEEENSD_INSE_IS9_EEEEjNS1_19radix_merge_compareILb0ELb0EjNS0_19identity_decomposerEEEEE10hipError_tT0_T1_T2_jT3_P12ihipStream_tbPNSt15iterator_traitsISN_E10value_typeEPNST_ISO_E10value_typeEPSP_NS1_7vsmem_tEENKUlT_SN_SO_SP_E_clIPjSG_PS9_SI_EESM_S12_SN_SO_SP_EUlS12_E0_NS1_11comp_targetILNS1_3genE5ELNS1_11target_archE942ELNS1_3gpuE9ELNS1_3repE0EEENS1_38merge_mergepath_config_static_selectorELNS0_4arch9wavefront6targetE0EEEvSO_.has_recursion, 0
	.set _ZN7rocprim17ROCPRIM_400000_NS6detail17trampoline_kernelINS0_14default_configENS1_38merge_sort_block_merge_config_selectorIjN6thrust23THRUST_200600_302600_NS5tupleIffNS6_9null_typeES8_S8_S8_S8_S8_S8_S8_EEEEZZNS1_27merge_sort_block_merge_implIS3_NS6_6detail15normal_iteratorINS6_10device_ptrIjEEEENSD_INSE_IS9_EEEEjNS1_19radix_merge_compareILb0ELb0EjNS0_19identity_decomposerEEEEE10hipError_tT0_T1_T2_jT3_P12ihipStream_tbPNSt15iterator_traitsISN_E10value_typeEPNST_ISO_E10value_typeEPSP_NS1_7vsmem_tEENKUlT_SN_SO_SP_E_clIPjSG_PS9_SI_EESM_S12_SN_SO_SP_EUlS12_E0_NS1_11comp_targetILNS1_3genE5ELNS1_11target_archE942ELNS1_3gpuE9ELNS1_3repE0EEENS1_38merge_mergepath_config_static_selectorELNS0_4arch9wavefront6targetE0EEEvSO_.has_indirect_call, 0
	.section	.AMDGPU.csdata,"",@progbits
; Kernel info:
; codeLenInByte = 0
; TotalNumSgprs: 0
; NumVgprs: 0
; ScratchSize: 0
; MemoryBound: 0
; FloatMode: 240
; IeeeMode: 1
; LDSByteSize: 0 bytes/workgroup (compile time only)
; SGPRBlocks: 0
; VGPRBlocks: 0
; NumSGPRsForWavesPerEU: 1
; NumVGPRsForWavesPerEU: 1
; Occupancy: 16
; WaveLimiterHint : 0
; COMPUTE_PGM_RSRC2:SCRATCH_EN: 0
; COMPUTE_PGM_RSRC2:USER_SGPR: 2
; COMPUTE_PGM_RSRC2:TRAP_HANDLER: 0
; COMPUTE_PGM_RSRC2:TGID_X_EN: 1
; COMPUTE_PGM_RSRC2:TGID_Y_EN: 0
; COMPUTE_PGM_RSRC2:TGID_Z_EN: 0
; COMPUTE_PGM_RSRC2:TIDIG_COMP_CNT: 0
	.section	.text._ZN7rocprim17ROCPRIM_400000_NS6detail17trampoline_kernelINS0_14default_configENS1_38merge_sort_block_merge_config_selectorIjN6thrust23THRUST_200600_302600_NS5tupleIffNS6_9null_typeES8_S8_S8_S8_S8_S8_S8_EEEEZZNS1_27merge_sort_block_merge_implIS3_NS6_6detail15normal_iteratorINS6_10device_ptrIjEEEENSD_INSE_IS9_EEEEjNS1_19radix_merge_compareILb0ELb0EjNS0_19identity_decomposerEEEEE10hipError_tT0_T1_T2_jT3_P12ihipStream_tbPNSt15iterator_traitsISN_E10value_typeEPNST_ISO_E10value_typeEPSP_NS1_7vsmem_tEENKUlT_SN_SO_SP_E_clIPjSG_PS9_SI_EESM_S12_SN_SO_SP_EUlS12_E0_NS1_11comp_targetILNS1_3genE4ELNS1_11target_archE910ELNS1_3gpuE8ELNS1_3repE0EEENS1_38merge_mergepath_config_static_selectorELNS0_4arch9wavefront6targetE0EEEvSO_,"axG",@progbits,_ZN7rocprim17ROCPRIM_400000_NS6detail17trampoline_kernelINS0_14default_configENS1_38merge_sort_block_merge_config_selectorIjN6thrust23THRUST_200600_302600_NS5tupleIffNS6_9null_typeES8_S8_S8_S8_S8_S8_S8_EEEEZZNS1_27merge_sort_block_merge_implIS3_NS6_6detail15normal_iteratorINS6_10device_ptrIjEEEENSD_INSE_IS9_EEEEjNS1_19radix_merge_compareILb0ELb0EjNS0_19identity_decomposerEEEEE10hipError_tT0_T1_T2_jT3_P12ihipStream_tbPNSt15iterator_traitsISN_E10value_typeEPNST_ISO_E10value_typeEPSP_NS1_7vsmem_tEENKUlT_SN_SO_SP_E_clIPjSG_PS9_SI_EESM_S12_SN_SO_SP_EUlS12_E0_NS1_11comp_targetILNS1_3genE4ELNS1_11target_archE910ELNS1_3gpuE8ELNS1_3repE0EEENS1_38merge_mergepath_config_static_selectorELNS0_4arch9wavefront6targetE0EEEvSO_,comdat
	.protected	_ZN7rocprim17ROCPRIM_400000_NS6detail17trampoline_kernelINS0_14default_configENS1_38merge_sort_block_merge_config_selectorIjN6thrust23THRUST_200600_302600_NS5tupleIffNS6_9null_typeES8_S8_S8_S8_S8_S8_S8_EEEEZZNS1_27merge_sort_block_merge_implIS3_NS6_6detail15normal_iteratorINS6_10device_ptrIjEEEENSD_INSE_IS9_EEEEjNS1_19radix_merge_compareILb0ELb0EjNS0_19identity_decomposerEEEEE10hipError_tT0_T1_T2_jT3_P12ihipStream_tbPNSt15iterator_traitsISN_E10value_typeEPNST_ISO_E10value_typeEPSP_NS1_7vsmem_tEENKUlT_SN_SO_SP_E_clIPjSG_PS9_SI_EESM_S12_SN_SO_SP_EUlS12_E0_NS1_11comp_targetILNS1_3genE4ELNS1_11target_archE910ELNS1_3gpuE8ELNS1_3repE0EEENS1_38merge_mergepath_config_static_selectorELNS0_4arch9wavefront6targetE0EEEvSO_ ; -- Begin function _ZN7rocprim17ROCPRIM_400000_NS6detail17trampoline_kernelINS0_14default_configENS1_38merge_sort_block_merge_config_selectorIjN6thrust23THRUST_200600_302600_NS5tupleIffNS6_9null_typeES8_S8_S8_S8_S8_S8_S8_EEEEZZNS1_27merge_sort_block_merge_implIS3_NS6_6detail15normal_iteratorINS6_10device_ptrIjEEEENSD_INSE_IS9_EEEEjNS1_19radix_merge_compareILb0ELb0EjNS0_19identity_decomposerEEEEE10hipError_tT0_T1_T2_jT3_P12ihipStream_tbPNSt15iterator_traitsISN_E10value_typeEPNST_ISO_E10value_typeEPSP_NS1_7vsmem_tEENKUlT_SN_SO_SP_E_clIPjSG_PS9_SI_EESM_S12_SN_SO_SP_EUlS12_E0_NS1_11comp_targetILNS1_3genE4ELNS1_11target_archE910ELNS1_3gpuE8ELNS1_3repE0EEENS1_38merge_mergepath_config_static_selectorELNS0_4arch9wavefront6targetE0EEEvSO_
	.globl	_ZN7rocprim17ROCPRIM_400000_NS6detail17trampoline_kernelINS0_14default_configENS1_38merge_sort_block_merge_config_selectorIjN6thrust23THRUST_200600_302600_NS5tupleIffNS6_9null_typeES8_S8_S8_S8_S8_S8_S8_EEEEZZNS1_27merge_sort_block_merge_implIS3_NS6_6detail15normal_iteratorINS6_10device_ptrIjEEEENSD_INSE_IS9_EEEEjNS1_19radix_merge_compareILb0ELb0EjNS0_19identity_decomposerEEEEE10hipError_tT0_T1_T2_jT3_P12ihipStream_tbPNSt15iterator_traitsISN_E10value_typeEPNST_ISO_E10value_typeEPSP_NS1_7vsmem_tEENKUlT_SN_SO_SP_E_clIPjSG_PS9_SI_EESM_S12_SN_SO_SP_EUlS12_E0_NS1_11comp_targetILNS1_3genE4ELNS1_11target_archE910ELNS1_3gpuE8ELNS1_3repE0EEENS1_38merge_mergepath_config_static_selectorELNS0_4arch9wavefront6targetE0EEEvSO_
	.p2align	8
	.type	_ZN7rocprim17ROCPRIM_400000_NS6detail17trampoline_kernelINS0_14default_configENS1_38merge_sort_block_merge_config_selectorIjN6thrust23THRUST_200600_302600_NS5tupleIffNS6_9null_typeES8_S8_S8_S8_S8_S8_S8_EEEEZZNS1_27merge_sort_block_merge_implIS3_NS6_6detail15normal_iteratorINS6_10device_ptrIjEEEENSD_INSE_IS9_EEEEjNS1_19radix_merge_compareILb0ELb0EjNS0_19identity_decomposerEEEEE10hipError_tT0_T1_T2_jT3_P12ihipStream_tbPNSt15iterator_traitsISN_E10value_typeEPNST_ISO_E10value_typeEPSP_NS1_7vsmem_tEENKUlT_SN_SO_SP_E_clIPjSG_PS9_SI_EESM_S12_SN_SO_SP_EUlS12_E0_NS1_11comp_targetILNS1_3genE4ELNS1_11target_archE910ELNS1_3gpuE8ELNS1_3repE0EEENS1_38merge_mergepath_config_static_selectorELNS0_4arch9wavefront6targetE0EEEvSO_,@function
_ZN7rocprim17ROCPRIM_400000_NS6detail17trampoline_kernelINS0_14default_configENS1_38merge_sort_block_merge_config_selectorIjN6thrust23THRUST_200600_302600_NS5tupleIffNS6_9null_typeES8_S8_S8_S8_S8_S8_S8_EEEEZZNS1_27merge_sort_block_merge_implIS3_NS6_6detail15normal_iteratorINS6_10device_ptrIjEEEENSD_INSE_IS9_EEEEjNS1_19radix_merge_compareILb0ELb0EjNS0_19identity_decomposerEEEEE10hipError_tT0_T1_T2_jT3_P12ihipStream_tbPNSt15iterator_traitsISN_E10value_typeEPNST_ISO_E10value_typeEPSP_NS1_7vsmem_tEENKUlT_SN_SO_SP_E_clIPjSG_PS9_SI_EESM_S12_SN_SO_SP_EUlS12_E0_NS1_11comp_targetILNS1_3genE4ELNS1_11target_archE910ELNS1_3gpuE8ELNS1_3repE0EEENS1_38merge_mergepath_config_static_selectorELNS0_4arch9wavefront6targetE0EEEvSO_: ; @_ZN7rocprim17ROCPRIM_400000_NS6detail17trampoline_kernelINS0_14default_configENS1_38merge_sort_block_merge_config_selectorIjN6thrust23THRUST_200600_302600_NS5tupleIffNS6_9null_typeES8_S8_S8_S8_S8_S8_S8_EEEEZZNS1_27merge_sort_block_merge_implIS3_NS6_6detail15normal_iteratorINS6_10device_ptrIjEEEENSD_INSE_IS9_EEEEjNS1_19radix_merge_compareILb0ELb0EjNS0_19identity_decomposerEEEEE10hipError_tT0_T1_T2_jT3_P12ihipStream_tbPNSt15iterator_traitsISN_E10value_typeEPNST_ISO_E10value_typeEPSP_NS1_7vsmem_tEENKUlT_SN_SO_SP_E_clIPjSG_PS9_SI_EESM_S12_SN_SO_SP_EUlS12_E0_NS1_11comp_targetILNS1_3genE4ELNS1_11target_archE910ELNS1_3gpuE8ELNS1_3repE0EEENS1_38merge_mergepath_config_static_selectorELNS0_4arch9wavefront6targetE0EEEvSO_
; %bb.0:
	.section	.rodata,"a",@progbits
	.p2align	6, 0x0
	.amdhsa_kernel _ZN7rocprim17ROCPRIM_400000_NS6detail17trampoline_kernelINS0_14default_configENS1_38merge_sort_block_merge_config_selectorIjN6thrust23THRUST_200600_302600_NS5tupleIffNS6_9null_typeES8_S8_S8_S8_S8_S8_S8_EEEEZZNS1_27merge_sort_block_merge_implIS3_NS6_6detail15normal_iteratorINS6_10device_ptrIjEEEENSD_INSE_IS9_EEEEjNS1_19radix_merge_compareILb0ELb0EjNS0_19identity_decomposerEEEEE10hipError_tT0_T1_T2_jT3_P12ihipStream_tbPNSt15iterator_traitsISN_E10value_typeEPNST_ISO_E10value_typeEPSP_NS1_7vsmem_tEENKUlT_SN_SO_SP_E_clIPjSG_PS9_SI_EESM_S12_SN_SO_SP_EUlS12_E0_NS1_11comp_targetILNS1_3genE4ELNS1_11target_archE910ELNS1_3gpuE8ELNS1_3repE0EEENS1_38merge_mergepath_config_static_selectorELNS0_4arch9wavefront6targetE0EEEvSO_
		.amdhsa_group_segment_fixed_size 0
		.amdhsa_private_segment_fixed_size 0
		.amdhsa_kernarg_size 64
		.amdhsa_user_sgpr_count 2
		.amdhsa_user_sgpr_dispatch_ptr 0
		.amdhsa_user_sgpr_queue_ptr 0
		.amdhsa_user_sgpr_kernarg_segment_ptr 1
		.amdhsa_user_sgpr_dispatch_id 0
		.amdhsa_user_sgpr_private_segment_size 0
		.amdhsa_wavefront_size32 1
		.amdhsa_uses_dynamic_stack 0
		.amdhsa_enable_private_segment 0
		.amdhsa_system_sgpr_workgroup_id_x 1
		.amdhsa_system_sgpr_workgroup_id_y 0
		.amdhsa_system_sgpr_workgroup_id_z 0
		.amdhsa_system_sgpr_workgroup_info 0
		.amdhsa_system_vgpr_workitem_id 0
		.amdhsa_next_free_vgpr 1
		.amdhsa_next_free_sgpr 1
		.amdhsa_reserve_vcc 0
		.amdhsa_float_round_mode_32 0
		.amdhsa_float_round_mode_16_64 0
		.amdhsa_float_denorm_mode_32 3
		.amdhsa_float_denorm_mode_16_64 3
		.amdhsa_fp16_overflow 0
		.amdhsa_workgroup_processor_mode 1
		.amdhsa_memory_ordered 1
		.amdhsa_forward_progress 1
		.amdhsa_inst_pref_size 0
		.amdhsa_round_robin_scheduling 0
		.amdhsa_exception_fp_ieee_invalid_op 0
		.amdhsa_exception_fp_denorm_src 0
		.amdhsa_exception_fp_ieee_div_zero 0
		.amdhsa_exception_fp_ieee_overflow 0
		.amdhsa_exception_fp_ieee_underflow 0
		.amdhsa_exception_fp_ieee_inexact 0
		.amdhsa_exception_int_div_zero 0
	.end_amdhsa_kernel
	.section	.text._ZN7rocprim17ROCPRIM_400000_NS6detail17trampoline_kernelINS0_14default_configENS1_38merge_sort_block_merge_config_selectorIjN6thrust23THRUST_200600_302600_NS5tupleIffNS6_9null_typeES8_S8_S8_S8_S8_S8_S8_EEEEZZNS1_27merge_sort_block_merge_implIS3_NS6_6detail15normal_iteratorINS6_10device_ptrIjEEEENSD_INSE_IS9_EEEEjNS1_19radix_merge_compareILb0ELb0EjNS0_19identity_decomposerEEEEE10hipError_tT0_T1_T2_jT3_P12ihipStream_tbPNSt15iterator_traitsISN_E10value_typeEPNST_ISO_E10value_typeEPSP_NS1_7vsmem_tEENKUlT_SN_SO_SP_E_clIPjSG_PS9_SI_EESM_S12_SN_SO_SP_EUlS12_E0_NS1_11comp_targetILNS1_3genE4ELNS1_11target_archE910ELNS1_3gpuE8ELNS1_3repE0EEENS1_38merge_mergepath_config_static_selectorELNS0_4arch9wavefront6targetE0EEEvSO_,"axG",@progbits,_ZN7rocprim17ROCPRIM_400000_NS6detail17trampoline_kernelINS0_14default_configENS1_38merge_sort_block_merge_config_selectorIjN6thrust23THRUST_200600_302600_NS5tupleIffNS6_9null_typeES8_S8_S8_S8_S8_S8_S8_EEEEZZNS1_27merge_sort_block_merge_implIS3_NS6_6detail15normal_iteratorINS6_10device_ptrIjEEEENSD_INSE_IS9_EEEEjNS1_19radix_merge_compareILb0ELb0EjNS0_19identity_decomposerEEEEE10hipError_tT0_T1_T2_jT3_P12ihipStream_tbPNSt15iterator_traitsISN_E10value_typeEPNST_ISO_E10value_typeEPSP_NS1_7vsmem_tEENKUlT_SN_SO_SP_E_clIPjSG_PS9_SI_EESM_S12_SN_SO_SP_EUlS12_E0_NS1_11comp_targetILNS1_3genE4ELNS1_11target_archE910ELNS1_3gpuE8ELNS1_3repE0EEENS1_38merge_mergepath_config_static_selectorELNS0_4arch9wavefront6targetE0EEEvSO_,comdat
.Lfunc_end36:
	.size	_ZN7rocprim17ROCPRIM_400000_NS6detail17trampoline_kernelINS0_14default_configENS1_38merge_sort_block_merge_config_selectorIjN6thrust23THRUST_200600_302600_NS5tupleIffNS6_9null_typeES8_S8_S8_S8_S8_S8_S8_EEEEZZNS1_27merge_sort_block_merge_implIS3_NS6_6detail15normal_iteratorINS6_10device_ptrIjEEEENSD_INSE_IS9_EEEEjNS1_19radix_merge_compareILb0ELb0EjNS0_19identity_decomposerEEEEE10hipError_tT0_T1_T2_jT3_P12ihipStream_tbPNSt15iterator_traitsISN_E10value_typeEPNST_ISO_E10value_typeEPSP_NS1_7vsmem_tEENKUlT_SN_SO_SP_E_clIPjSG_PS9_SI_EESM_S12_SN_SO_SP_EUlS12_E0_NS1_11comp_targetILNS1_3genE4ELNS1_11target_archE910ELNS1_3gpuE8ELNS1_3repE0EEENS1_38merge_mergepath_config_static_selectorELNS0_4arch9wavefront6targetE0EEEvSO_, .Lfunc_end36-_ZN7rocprim17ROCPRIM_400000_NS6detail17trampoline_kernelINS0_14default_configENS1_38merge_sort_block_merge_config_selectorIjN6thrust23THRUST_200600_302600_NS5tupleIffNS6_9null_typeES8_S8_S8_S8_S8_S8_S8_EEEEZZNS1_27merge_sort_block_merge_implIS3_NS6_6detail15normal_iteratorINS6_10device_ptrIjEEEENSD_INSE_IS9_EEEEjNS1_19radix_merge_compareILb0ELb0EjNS0_19identity_decomposerEEEEE10hipError_tT0_T1_T2_jT3_P12ihipStream_tbPNSt15iterator_traitsISN_E10value_typeEPNST_ISO_E10value_typeEPSP_NS1_7vsmem_tEENKUlT_SN_SO_SP_E_clIPjSG_PS9_SI_EESM_S12_SN_SO_SP_EUlS12_E0_NS1_11comp_targetILNS1_3genE4ELNS1_11target_archE910ELNS1_3gpuE8ELNS1_3repE0EEENS1_38merge_mergepath_config_static_selectorELNS0_4arch9wavefront6targetE0EEEvSO_
                                        ; -- End function
	.set _ZN7rocprim17ROCPRIM_400000_NS6detail17trampoline_kernelINS0_14default_configENS1_38merge_sort_block_merge_config_selectorIjN6thrust23THRUST_200600_302600_NS5tupleIffNS6_9null_typeES8_S8_S8_S8_S8_S8_S8_EEEEZZNS1_27merge_sort_block_merge_implIS3_NS6_6detail15normal_iteratorINS6_10device_ptrIjEEEENSD_INSE_IS9_EEEEjNS1_19radix_merge_compareILb0ELb0EjNS0_19identity_decomposerEEEEE10hipError_tT0_T1_T2_jT3_P12ihipStream_tbPNSt15iterator_traitsISN_E10value_typeEPNST_ISO_E10value_typeEPSP_NS1_7vsmem_tEENKUlT_SN_SO_SP_E_clIPjSG_PS9_SI_EESM_S12_SN_SO_SP_EUlS12_E0_NS1_11comp_targetILNS1_3genE4ELNS1_11target_archE910ELNS1_3gpuE8ELNS1_3repE0EEENS1_38merge_mergepath_config_static_selectorELNS0_4arch9wavefront6targetE0EEEvSO_.num_vgpr, 0
	.set _ZN7rocprim17ROCPRIM_400000_NS6detail17trampoline_kernelINS0_14default_configENS1_38merge_sort_block_merge_config_selectorIjN6thrust23THRUST_200600_302600_NS5tupleIffNS6_9null_typeES8_S8_S8_S8_S8_S8_S8_EEEEZZNS1_27merge_sort_block_merge_implIS3_NS6_6detail15normal_iteratorINS6_10device_ptrIjEEEENSD_INSE_IS9_EEEEjNS1_19radix_merge_compareILb0ELb0EjNS0_19identity_decomposerEEEEE10hipError_tT0_T1_T2_jT3_P12ihipStream_tbPNSt15iterator_traitsISN_E10value_typeEPNST_ISO_E10value_typeEPSP_NS1_7vsmem_tEENKUlT_SN_SO_SP_E_clIPjSG_PS9_SI_EESM_S12_SN_SO_SP_EUlS12_E0_NS1_11comp_targetILNS1_3genE4ELNS1_11target_archE910ELNS1_3gpuE8ELNS1_3repE0EEENS1_38merge_mergepath_config_static_selectorELNS0_4arch9wavefront6targetE0EEEvSO_.num_agpr, 0
	.set _ZN7rocprim17ROCPRIM_400000_NS6detail17trampoline_kernelINS0_14default_configENS1_38merge_sort_block_merge_config_selectorIjN6thrust23THRUST_200600_302600_NS5tupleIffNS6_9null_typeES8_S8_S8_S8_S8_S8_S8_EEEEZZNS1_27merge_sort_block_merge_implIS3_NS6_6detail15normal_iteratorINS6_10device_ptrIjEEEENSD_INSE_IS9_EEEEjNS1_19radix_merge_compareILb0ELb0EjNS0_19identity_decomposerEEEEE10hipError_tT0_T1_T2_jT3_P12ihipStream_tbPNSt15iterator_traitsISN_E10value_typeEPNST_ISO_E10value_typeEPSP_NS1_7vsmem_tEENKUlT_SN_SO_SP_E_clIPjSG_PS9_SI_EESM_S12_SN_SO_SP_EUlS12_E0_NS1_11comp_targetILNS1_3genE4ELNS1_11target_archE910ELNS1_3gpuE8ELNS1_3repE0EEENS1_38merge_mergepath_config_static_selectorELNS0_4arch9wavefront6targetE0EEEvSO_.numbered_sgpr, 0
	.set _ZN7rocprim17ROCPRIM_400000_NS6detail17trampoline_kernelINS0_14default_configENS1_38merge_sort_block_merge_config_selectorIjN6thrust23THRUST_200600_302600_NS5tupleIffNS6_9null_typeES8_S8_S8_S8_S8_S8_S8_EEEEZZNS1_27merge_sort_block_merge_implIS3_NS6_6detail15normal_iteratorINS6_10device_ptrIjEEEENSD_INSE_IS9_EEEEjNS1_19radix_merge_compareILb0ELb0EjNS0_19identity_decomposerEEEEE10hipError_tT0_T1_T2_jT3_P12ihipStream_tbPNSt15iterator_traitsISN_E10value_typeEPNST_ISO_E10value_typeEPSP_NS1_7vsmem_tEENKUlT_SN_SO_SP_E_clIPjSG_PS9_SI_EESM_S12_SN_SO_SP_EUlS12_E0_NS1_11comp_targetILNS1_3genE4ELNS1_11target_archE910ELNS1_3gpuE8ELNS1_3repE0EEENS1_38merge_mergepath_config_static_selectorELNS0_4arch9wavefront6targetE0EEEvSO_.num_named_barrier, 0
	.set _ZN7rocprim17ROCPRIM_400000_NS6detail17trampoline_kernelINS0_14default_configENS1_38merge_sort_block_merge_config_selectorIjN6thrust23THRUST_200600_302600_NS5tupleIffNS6_9null_typeES8_S8_S8_S8_S8_S8_S8_EEEEZZNS1_27merge_sort_block_merge_implIS3_NS6_6detail15normal_iteratorINS6_10device_ptrIjEEEENSD_INSE_IS9_EEEEjNS1_19radix_merge_compareILb0ELb0EjNS0_19identity_decomposerEEEEE10hipError_tT0_T1_T2_jT3_P12ihipStream_tbPNSt15iterator_traitsISN_E10value_typeEPNST_ISO_E10value_typeEPSP_NS1_7vsmem_tEENKUlT_SN_SO_SP_E_clIPjSG_PS9_SI_EESM_S12_SN_SO_SP_EUlS12_E0_NS1_11comp_targetILNS1_3genE4ELNS1_11target_archE910ELNS1_3gpuE8ELNS1_3repE0EEENS1_38merge_mergepath_config_static_selectorELNS0_4arch9wavefront6targetE0EEEvSO_.private_seg_size, 0
	.set _ZN7rocprim17ROCPRIM_400000_NS6detail17trampoline_kernelINS0_14default_configENS1_38merge_sort_block_merge_config_selectorIjN6thrust23THRUST_200600_302600_NS5tupleIffNS6_9null_typeES8_S8_S8_S8_S8_S8_S8_EEEEZZNS1_27merge_sort_block_merge_implIS3_NS6_6detail15normal_iteratorINS6_10device_ptrIjEEEENSD_INSE_IS9_EEEEjNS1_19radix_merge_compareILb0ELb0EjNS0_19identity_decomposerEEEEE10hipError_tT0_T1_T2_jT3_P12ihipStream_tbPNSt15iterator_traitsISN_E10value_typeEPNST_ISO_E10value_typeEPSP_NS1_7vsmem_tEENKUlT_SN_SO_SP_E_clIPjSG_PS9_SI_EESM_S12_SN_SO_SP_EUlS12_E0_NS1_11comp_targetILNS1_3genE4ELNS1_11target_archE910ELNS1_3gpuE8ELNS1_3repE0EEENS1_38merge_mergepath_config_static_selectorELNS0_4arch9wavefront6targetE0EEEvSO_.uses_vcc, 0
	.set _ZN7rocprim17ROCPRIM_400000_NS6detail17trampoline_kernelINS0_14default_configENS1_38merge_sort_block_merge_config_selectorIjN6thrust23THRUST_200600_302600_NS5tupleIffNS6_9null_typeES8_S8_S8_S8_S8_S8_S8_EEEEZZNS1_27merge_sort_block_merge_implIS3_NS6_6detail15normal_iteratorINS6_10device_ptrIjEEEENSD_INSE_IS9_EEEEjNS1_19radix_merge_compareILb0ELb0EjNS0_19identity_decomposerEEEEE10hipError_tT0_T1_T2_jT3_P12ihipStream_tbPNSt15iterator_traitsISN_E10value_typeEPNST_ISO_E10value_typeEPSP_NS1_7vsmem_tEENKUlT_SN_SO_SP_E_clIPjSG_PS9_SI_EESM_S12_SN_SO_SP_EUlS12_E0_NS1_11comp_targetILNS1_3genE4ELNS1_11target_archE910ELNS1_3gpuE8ELNS1_3repE0EEENS1_38merge_mergepath_config_static_selectorELNS0_4arch9wavefront6targetE0EEEvSO_.uses_flat_scratch, 0
	.set _ZN7rocprim17ROCPRIM_400000_NS6detail17trampoline_kernelINS0_14default_configENS1_38merge_sort_block_merge_config_selectorIjN6thrust23THRUST_200600_302600_NS5tupleIffNS6_9null_typeES8_S8_S8_S8_S8_S8_S8_EEEEZZNS1_27merge_sort_block_merge_implIS3_NS6_6detail15normal_iteratorINS6_10device_ptrIjEEEENSD_INSE_IS9_EEEEjNS1_19radix_merge_compareILb0ELb0EjNS0_19identity_decomposerEEEEE10hipError_tT0_T1_T2_jT3_P12ihipStream_tbPNSt15iterator_traitsISN_E10value_typeEPNST_ISO_E10value_typeEPSP_NS1_7vsmem_tEENKUlT_SN_SO_SP_E_clIPjSG_PS9_SI_EESM_S12_SN_SO_SP_EUlS12_E0_NS1_11comp_targetILNS1_3genE4ELNS1_11target_archE910ELNS1_3gpuE8ELNS1_3repE0EEENS1_38merge_mergepath_config_static_selectorELNS0_4arch9wavefront6targetE0EEEvSO_.has_dyn_sized_stack, 0
	.set _ZN7rocprim17ROCPRIM_400000_NS6detail17trampoline_kernelINS0_14default_configENS1_38merge_sort_block_merge_config_selectorIjN6thrust23THRUST_200600_302600_NS5tupleIffNS6_9null_typeES8_S8_S8_S8_S8_S8_S8_EEEEZZNS1_27merge_sort_block_merge_implIS3_NS6_6detail15normal_iteratorINS6_10device_ptrIjEEEENSD_INSE_IS9_EEEEjNS1_19radix_merge_compareILb0ELb0EjNS0_19identity_decomposerEEEEE10hipError_tT0_T1_T2_jT3_P12ihipStream_tbPNSt15iterator_traitsISN_E10value_typeEPNST_ISO_E10value_typeEPSP_NS1_7vsmem_tEENKUlT_SN_SO_SP_E_clIPjSG_PS9_SI_EESM_S12_SN_SO_SP_EUlS12_E0_NS1_11comp_targetILNS1_3genE4ELNS1_11target_archE910ELNS1_3gpuE8ELNS1_3repE0EEENS1_38merge_mergepath_config_static_selectorELNS0_4arch9wavefront6targetE0EEEvSO_.has_recursion, 0
	.set _ZN7rocprim17ROCPRIM_400000_NS6detail17trampoline_kernelINS0_14default_configENS1_38merge_sort_block_merge_config_selectorIjN6thrust23THRUST_200600_302600_NS5tupleIffNS6_9null_typeES8_S8_S8_S8_S8_S8_S8_EEEEZZNS1_27merge_sort_block_merge_implIS3_NS6_6detail15normal_iteratorINS6_10device_ptrIjEEEENSD_INSE_IS9_EEEEjNS1_19radix_merge_compareILb0ELb0EjNS0_19identity_decomposerEEEEE10hipError_tT0_T1_T2_jT3_P12ihipStream_tbPNSt15iterator_traitsISN_E10value_typeEPNST_ISO_E10value_typeEPSP_NS1_7vsmem_tEENKUlT_SN_SO_SP_E_clIPjSG_PS9_SI_EESM_S12_SN_SO_SP_EUlS12_E0_NS1_11comp_targetILNS1_3genE4ELNS1_11target_archE910ELNS1_3gpuE8ELNS1_3repE0EEENS1_38merge_mergepath_config_static_selectorELNS0_4arch9wavefront6targetE0EEEvSO_.has_indirect_call, 0
	.section	.AMDGPU.csdata,"",@progbits
; Kernel info:
; codeLenInByte = 0
; TotalNumSgprs: 0
; NumVgprs: 0
; ScratchSize: 0
; MemoryBound: 0
; FloatMode: 240
; IeeeMode: 1
; LDSByteSize: 0 bytes/workgroup (compile time only)
; SGPRBlocks: 0
; VGPRBlocks: 0
; NumSGPRsForWavesPerEU: 1
; NumVGPRsForWavesPerEU: 1
; Occupancy: 16
; WaveLimiterHint : 0
; COMPUTE_PGM_RSRC2:SCRATCH_EN: 0
; COMPUTE_PGM_RSRC2:USER_SGPR: 2
; COMPUTE_PGM_RSRC2:TRAP_HANDLER: 0
; COMPUTE_PGM_RSRC2:TGID_X_EN: 1
; COMPUTE_PGM_RSRC2:TGID_Y_EN: 0
; COMPUTE_PGM_RSRC2:TGID_Z_EN: 0
; COMPUTE_PGM_RSRC2:TIDIG_COMP_CNT: 0
	.section	.text._ZN7rocprim17ROCPRIM_400000_NS6detail17trampoline_kernelINS0_14default_configENS1_38merge_sort_block_merge_config_selectorIjN6thrust23THRUST_200600_302600_NS5tupleIffNS6_9null_typeES8_S8_S8_S8_S8_S8_S8_EEEEZZNS1_27merge_sort_block_merge_implIS3_NS6_6detail15normal_iteratorINS6_10device_ptrIjEEEENSD_INSE_IS9_EEEEjNS1_19radix_merge_compareILb0ELb0EjNS0_19identity_decomposerEEEEE10hipError_tT0_T1_T2_jT3_P12ihipStream_tbPNSt15iterator_traitsISN_E10value_typeEPNST_ISO_E10value_typeEPSP_NS1_7vsmem_tEENKUlT_SN_SO_SP_E_clIPjSG_PS9_SI_EESM_S12_SN_SO_SP_EUlS12_E0_NS1_11comp_targetILNS1_3genE3ELNS1_11target_archE908ELNS1_3gpuE7ELNS1_3repE0EEENS1_38merge_mergepath_config_static_selectorELNS0_4arch9wavefront6targetE0EEEvSO_,"axG",@progbits,_ZN7rocprim17ROCPRIM_400000_NS6detail17trampoline_kernelINS0_14default_configENS1_38merge_sort_block_merge_config_selectorIjN6thrust23THRUST_200600_302600_NS5tupleIffNS6_9null_typeES8_S8_S8_S8_S8_S8_S8_EEEEZZNS1_27merge_sort_block_merge_implIS3_NS6_6detail15normal_iteratorINS6_10device_ptrIjEEEENSD_INSE_IS9_EEEEjNS1_19radix_merge_compareILb0ELb0EjNS0_19identity_decomposerEEEEE10hipError_tT0_T1_T2_jT3_P12ihipStream_tbPNSt15iterator_traitsISN_E10value_typeEPNST_ISO_E10value_typeEPSP_NS1_7vsmem_tEENKUlT_SN_SO_SP_E_clIPjSG_PS9_SI_EESM_S12_SN_SO_SP_EUlS12_E0_NS1_11comp_targetILNS1_3genE3ELNS1_11target_archE908ELNS1_3gpuE7ELNS1_3repE0EEENS1_38merge_mergepath_config_static_selectorELNS0_4arch9wavefront6targetE0EEEvSO_,comdat
	.protected	_ZN7rocprim17ROCPRIM_400000_NS6detail17trampoline_kernelINS0_14default_configENS1_38merge_sort_block_merge_config_selectorIjN6thrust23THRUST_200600_302600_NS5tupleIffNS6_9null_typeES8_S8_S8_S8_S8_S8_S8_EEEEZZNS1_27merge_sort_block_merge_implIS3_NS6_6detail15normal_iteratorINS6_10device_ptrIjEEEENSD_INSE_IS9_EEEEjNS1_19radix_merge_compareILb0ELb0EjNS0_19identity_decomposerEEEEE10hipError_tT0_T1_T2_jT3_P12ihipStream_tbPNSt15iterator_traitsISN_E10value_typeEPNST_ISO_E10value_typeEPSP_NS1_7vsmem_tEENKUlT_SN_SO_SP_E_clIPjSG_PS9_SI_EESM_S12_SN_SO_SP_EUlS12_E0_NS1_11comp_targetILNS1_3genE3ELNS1_11target_archE908ELNS1_3gpuE7ELNS1_3repE0EEENS1_38merge_mergepath_config_static_selectorELNS0_4arch9wavefront6targetE0EEEvSO_ ; -- Begin function _ZN7rocprim17ROCPRIM_400000_NS6detail17trampoline_kernelINS0_14default_configENS1_38merge_sort_block_merge_config_selectorIjN6thrust23THRUST_200600_302600_NS5tupleIffNS6_9null_typeES8_S8_S8_S8_S8_S8_S8_EEEEZZNS1_27merge_sort_block_merge_implIS3_NS6_6detail15normal_iteratorINS6_10device_ptrIjEEEENSD_INSE_IS9_EEEEjNS1_19radix_merge_compareILb0ELb0EjNS0_19identity_decomposerEEEEE10hipError_tT0_T1_T2_jT3_P12ihipStream_tbPNSt15iterator_traitsISN_E10value_typeEPNST_ISO_E10value_typeEPSP_NS1_7vsmem_tEENKUlT_SN_SO_SP_E_clIPjSG_PS9_SI_EESM_S12_SN_SO_SP_EUlS12_E0_NS1_11comp_targetILNS1_3genE3ELNS1_11target_archE908ELNS1_3gpuE7ELNS1_3repE0EEENS1_38merge_mergepath_config_static_selectorELNS0_4arch9wavefront6targetE0EEEvSO_
	.globl	_ZN7rocprim17ROCPRIM_400000_NS6detail17trampoline_kernelINS0_14default_configENS1_38merge_sort_block_merge_config_selectorIjN6thrust23THRUST_200600_302600_NS5tupleIffNS6_9null_typeES8_S8_S8_S8_S8_S8_S8_EEEEZZNS1_27merge_sort_block_merge_implIS3_NS6_6detail15normal_iteratorINS6_10device_ptrIjEEEENSD_INSE_IS9_EEEEjNS1_19radix_merge_compareILb0ELb0EjNS0_19identity_decomposerEEEEE10hipError_tT0_T1_T2_jT3_P12ihipStream_tbPNSt15iterator_traitsISN_E10value_typeEPNST_ISO_E10value_typeEPSP_NS1_7vsmem_tEENKUlT_SN_SO_SP_E_clIPjSG_PS9_SI_EESM_S12_SN_SO_SP_EUlS12_E0_NS1_11comp_targetILNS1_3genE3ELNS1_11target_archE908ELNS1_3gpuE7ELNS1_3repE0EEENS1_38merge_mergepath_config_static_selectorELNS0_4arch9wavefront6targetE0EEEvSO_
	.p2align	8
	.type	_ZN7rocprim17ROCPRIM_400000_NS6detail17trampoline_kernelINS0_14default_configENS1_38merge_sort_block_merge_config_selectorIjN6thrust23THRUST_200600_302600_NS5tupleIffNS6_9null_typeES8_S8_S8_S8_S8_S8_S8_EEEEZZNS1_27merge_sort_block_merge_implIS3_NS6_6detail15normal_iteratorINS6_10device_ptrIjEEEENSD_INSE_IS9_EEEEjNS1_19radix_merge_compareILb0ELb0EjNS0_19identity_decomposerEEEEE10hipError_tT0_T1_T2_jT3_P12ihipStream_tbPNSt15iterator_traitsISN_E10value_typeEPNST_ISO_E10value_typeEPSP_NS1_7vsmem_tEENKUlT_SN_SO_SP_E_clIPjSG_PS9_SI_EESM_S12_SN_SO_SP_EUlS12_E0_NS1_11comp_targetILNS1_3genE3ELNS1_11target_archE908ELNS1_3gpuE7ELNS1_3repE0EEENS1_38merge_mergepath_config_static_selectorELNS0_4arch9wavefront6targetE0EEEvSO_,@function
_ZN7rocprim17ROCPRIM_400000_NS6detail17trampoline_kernelINS0_14default_configENS1_38merge_sort_block_merge_config_selectorIjN6thrust23THRUST_200600_302600_NS5tupleIffNS6_9null_typeES8_S8_S8_S8_S8_S8_S8_EEEEZZNS1_27merge_sort_block_merge_implIS3_NS6_6detail15normal_iteratorINS6_10device_ptrIjEEEENSD_INSE_IS9_EEEEjNS1_19radix_merge_compareILb0ELb0EjNS0_19identity_decomposerEEEEE10hipError_tT0_T1_T2_jT3_P12ihipStream_tbPNSt15iterator_traitsISN_E10value_typeEPNST_ISO_E10value_typeEPSP_NS1_7vsmem_tEENKUlT_SN_SO_SP_E_clIPjSG_PS9_SI_EESM_S12_SN_SO_SP_EUlS12_E0_NS1_11comp_targetILNS1_3genE3ELNS1_11target_archE908ELNS1_3gpuE7ELNS1_3repE0EEENS1_38merge_mergepath_config_static_selectorELNS0_4arch9wavefront6targetE0EEEvSO_: ; @_ZN7rocprim17ROCPRIM_400000_NS6detail17trampoline_kernelINS0_14default_configENS1_38merge_sort_block_merge_config_selectorIjN6thrust23THRUST_200600_302600_NS5tupleIffNS6_9null_typeES8_S8_S8_S8_S8_S8_S8_EEEEZZNS1_27merge_sort_block_merge_implIS3_NS6_6detail15normal_iteratorINS6_10device_ptrIjEEEENSD_INSE_IS9_EEEEjNS1_19radix_merge_compareILb0ELb0EjNS0_19identity_decomposerEEEEE10hipError_tT0_T1_T2_jT3_P12ihipStream_tbPNSt15iterator_traitsISN_E10value_typeEPNST_ISO_E10value_typeEPSP_NS1_7vsmem_tEENKUlT_SN_SO_SP_E_clIPjSG_PS9_SI_EESM_S12_SN_SO_SP_EUlS12_E0_NS1_11comp_targetILNS1_3genE3ELNS1_11target_archE908ELNS1_3gpuE7ELNS1_3repE0EEENS1_38merge_mergepath_config_static_selectorELNS0_4arch9wavefront6targetE0EEEvSO_
; %bb.0:
	.section	.rodata,"a",@progbits
	.p2align	6, 0x0
	.amdhsa_kernel _ZN7rocprim17ROCPRIM_400000_NS6detail17trampoline_kernelINS0_14default_configENS1_38merge_sort_block_merge_config_selectorIjN6thrust23THRUST_200600_302600_NS5tupleIffNS6_9null_typeES8_S8_S8_S8_S8_S8_S8_EEEEZZNS1_27merge_sort_block_merge_implIS3_NS6_6detail15normal_iteratorINS6_10device_ptrIjEEEENSD_INSE_IS9_EEEEjNS1_19radix_merge_compareILb0ELb0EjNS0_19identity_decomposerEEEEE10hipError_tT0_T1_T2_jT3_P12ihipStream_tbPNSt15iterator_traitsISN_E10value_typeEPNST_ISO_E10value_typeEPSP_NS1_7vsmem_tEENKUlT_SN_SO_SP_E_clIPjSG_PS9_SI_EESM_S12_SN_SO_SP_EUlS12_E0_NS1_11comp_targetILNS1_3genE3ELNS1_11target_archE908ELNS1_3gpuE7ELNS1_3repE0EEENS1_38merge_mergepath_config_static_selectorELNS0_4arch9wavefront6targetE0EEEvSO_
		.amdhsa_group_segment_fixed_size 0
		.amdhsa_private_segment_fixed_size 0
		.amdhsa_kernarg_size 64
		.amdhsa_user_sgpr_count 2
		.amdhsa_user_sgpr_dispatch_ptr 0
		.amdhsa_user_sgpr_queue_ptr 0
		.amdhsa_user_sgpr_kernarg_segment_ptr 1
		.amdhsa_user_sgpr_dispatch_id 0
		.amdhsa_user_sgpr_private_segment_size 0
		.amdhsa_wavefront_size32 1
		.amdhsa_uses_dynamic_stack 0
		.amdhsa_enable_private_segment 0
		.amdhsa_system_sgpr_workgroup_id_x 1
		.amdhsa_system_sgpr_workgroup_id_y 0
		.amdhsa_system_sgpr_workgroup_id_z 0
		.amdhsa_system_sgpr_workgroup_info 0
		.amdhsa_system_vgpr_workitem_id 0
		.amdhsa_next_free_vgpr 1
		.amdhsa_next_free_sgpr 1
		.amdhsa_reserve_vcc 0
		.amdhsa_float_round_mode_32 0
		.amdhsa_float_round_mode_16_64 0
		.amdhsa_float_denorm_mode_32 3
		.amdhsa_float_denorm_mode_16_64 3
		.amdhsa_fp16_overflow 0
		.amdhsa_workgroup_processor_mode 1
		.amdhsa_memory_ordered 1
		.amdhsa_forward_progress 1
		.amdhsa_inst_pref_size 0
		.amdhsa_round_robin_scheduling 0
		.amdhsa_exception_fp_ieee_invalid_op 0
		.amdhsa_exception_fp_denorm_src 0
		.amdhsa_exception_fp_ieee_div_zero 0
		.amdhsa_exception_fp_ieee_overflow 0
		.amdhsa_exception_fp_ieee_underflow 0
		.amdhsa_exception_fp_ieee_inexact 0
		.amdhsa_exception_int_div_zero 0
	.end_amdhsa_kernel
	.section	.text._ZN7rocprim17ROCPRIM_400000_NS6detail17trampoline_kernelINS0_14default_configENS1_38merge_sort_block_merge_config_selectorIjN6thrust23THRUST_200600_302600_NS5tupleIffNS6_9null_typeES8_S8_S8_S8_S8_S8_S8_EEEEZZNS1_27merge_sort_block_merge_implIS3_NS6_6detail15normal_iteratorINS6_10device_ptrIjEEEENSD_INSE_IS9_EEEEjNS1_19radix_merge_compareILb0ELb0EjNS0_19identity_decomposerEEEEE10hipError_tT0_T1_T2_jT3_P12ihipStream_tbPNSt15iterator_traitsISN_E10value_typeEPNST_ISO_E10value_typeEPSP_NS1_7vsmem_tEENKUlT_SN_SO_SP_E_clIPjSG_PS9_SI_EESM_S12_SN_SO_SP_EUlS12_E0_NS1_11comp_targetILNS1_3genE3ELNS1_11target_archE908ELNS1_3gpuE7ELNS1_3repE0EEENS1_38merge_mergepath_config_static_selectorELNS0_4arch9wavefront6targetE0EEEvSO_,"axG",@progbits,_ZN7rocprim17ROCPRIM_400000_NS6detail17trampoline_kernelINS0_14default_configENS1_38merge_sort_block_merge_config_selectorIjN6thrust23THRUST_200600_302600_NS5tupleIffNS6_9null_typeES8_S8_S8_S8_S8_S8_S8_EEEEZZNS1_27merge_sort_block_merge_implIS3_NS6_6detail15normal_iteratorINS6_10device_ptrIjEEEENSD_INSE_IS9_EEEEjNS1_19radix_merge_compareILb0ELb0EjNS0_19identity_decomposerEEEEE10hipError_tT0_T1_T2_jT3_P12ihipStream_tbPNSt15iterator_traitsISN_E10value_typeEPNST_ISO_E10value_typeEPSP_NS1_7vsmem_tEENKUlT_SN_SO_SP_E_clIPjSG_PS9_SI_EESM_S12_SN_SO_SP_EUlS12_E0_NS1_11comp_targetILNS1_3genE3ELNS1_11target_archE908ELNS1_3gpuE7ELNS1_3repE0EEENS1_38merge_mergepath_config_static_selectorELNS0_4arch9wavefront6targetE0EEEvSO_,comdat
.Lfunc_end37:
	.size	_ZN7rocprim17ROCPRIM_400000_NS6detail17trampoline_kernelINS0_14default_configENS1_38merge_sort_block_merge_config_selectorIjN6thrust23THRUST_200600_302600_NS5tupleIffNS6_9null_typeES8_S8_S8_S8_S8_S8_S8_EEEEZZNS1_27merge_sort_block_merge_implIS3_NS6_6detail15normal_iteratorINS6_10device_ptrIjEEEENSD_INSE_IS9_EEEEjNS1_19radix_merge_compareILb0ELb0EjNS0_19identity_decomposerEEEEE10hipError_tT0_T1_T2_jT3_P12ihipStream_tbPNSt15iterator_traitsISN_E10value_typeEPNST_ISO_E10value_typeEPSP_NS1_7vsmem_tEENKUlT_SN_SO_SP_E_clIPjSG_PS9_SI_EESM_S12_SN_SO_SP_EUlS12_E0_NS1_11comp_targetILNS1_3genE3ELNS1_11target_archE908ELNS1_3gpuE7ELNS1_3repE0EEENS1_38merge_mergepath_config_static_selectorELNS0_4arch9wavefront6targetE0EEEvSO_, .Lfunc_end37-_ZN7rocprim17ROCPRIM_400000_NS6detail17trampoline_kernelINS0_14default_configENS1_38merge_sort_block_merge_config_selectorIjN6thrust23THRUST_200600_302600_NS5tupleIffNS6_9null_typeES8_S8_S8_S8_S8_S8_S8_EEEEZZNS1_27merge_sort_block_merge_implIS3_NS6_6detail15normal_iteratorINS6_10device_ptrIjEEEENSD_INSE_IS9_EEEEjNS1_19radix_merge_compareILb0ELb0EjNS0_19identity_decomposerEEEEE10hipError_tT0_T1_T2_jT3_P12ihipStream_tbPNSt15iterator_traitsISN_E10value_typeEPNST_ISO_E10value_typeEPSP_NS1_7vsmem_tEENKUlT_SN_SO_SP_E_clIPjSG_PS9_SI_EESM_S12_SN_SO_SP_EUlS12_E0_NS1_11comp_targetILNS1_3genE3ELNS1_11target_archE908ELNS1_3gpuE7ELNS1_3repE0EEENS1_38merge_mergepath_config_static_selectorELNS0_4arch9wavefront6targetE0EEEvSO_
                                        ; -- End function
	.set _ZN7rocprim17ROCPRIM_400000_NS6detail17trampoline_kernelINS0_14default_configENS1_38merge_sort_block_merge_config_selectorIjN6thrust23THRUST_200600_302600_NS5tupleIffNS6_9null_typeES8_S8_S8_S8_S8_S8_S8_EEEEZZNS1_27merge_sort_block_merge_implIS3_NS6_6detail15normal_iteratorINS6_10device_ptrIjEEEENSD_INSE_IS9_EEEEjNS1_19radix_merge_compareILb0ELb0EjNS0_19identity_decomposerEEEEE10hipError_tT0_T1_T2_jT3_P12ihipStream_tbPNSt15iterator_traitsISN_E10value_typeEPNST_ISO_E10value_typeEPSP_NS1_7vsmem_tEENKUlT_SN_SO_SP_E_clIPjSG_PS9_SI_EESM_S12_SN_SO_SP_EUlS12_E0_NS1_11comp_targetILNS1_3genE3ELNS1_11target_archE908ELNS1_3gpuE7ELNS1_3repE0EEENS1_38merge_mergepath_config_static_selectorELNS0_4arch9wavefront6targetE0EEEvSO_.num_vgpr, 0
	.set _ZN7rocprim17ROCPRIM_400000_NS6detail17trampoline_kernelINS0_14default_configENS1_38merge_sort_block_merge_config_selectorIjN6thrust23THRUST_200600_302600_NS5tupleIffNS6_9null_typeES8_S8_S8_S8_S8_S8_S8_EEEEZZNS1_27merge_sort_block_merge_implIS3_NS6_6detail15normal_iteratorINS6_10device_ptrIjEEEENSD_INSE_IS9_EEEEjNS1_19radix_merge_compareILb0ELb0EjNS0_19identity_decomposerEEEEE10hipError_tT0_T1_T2_jT3_P12ihipStream_tbPNSt15iterator_traitsISN_E10value_typeEPNST_ISO_E10value_typeEPSP_NS1_7vsmem_tEENKUlT_SN_SO_SP_E_clIPjSG_PS9_SI_EESM_S12_SN_SO_SP_EUlS12_E0_NS1_11comp_targetILNS1_3genE3ELNS1_11target_archE908ELNS1_3gpuE7ELNS1_3repE0EEENS1_38merge_mergepath_config_static_selectorELNS0_4arch9wavefront6targetE0EEEvSO_.num_agpr, 0
	.set _ZN7rocprim17ROCPRIM_400000_NS6detail17trampoline_kernelINS0_14default_configENS1_38merge_sort_block_merge_config_selectorIjN6thrust23THRUST_200600_302600_NS5tupleIffNS6_9null_typeES8_S8_S8_S8_S8_S8_S8_EEEEZZNS1_27merge_sort_block_merge_implIS3_NS6_6detail15normal_iteratorINS6_10device_ptrIjEEEENSD_INSE_IS9_EEEEjNS1_19radix_merge_compareILb0ELb0EjNS0_19identity_decomposerEEEEE10hipError_tT0_T1_T2_jT3_P12ihipStream_tbPNSt15iterator_traitsISN_E10value_typeEPNST_ISO_E10value_typeEPSP_NS1_7vsmem_tEENKUlT_SN_SO_SP_E_clIPjSG_PS9_SI_EESM_S12_SN_SO_SP_EUlS12_E0_NS1_11comp_targetILNS1_3genE3ELNS1_11target_archE908ELNS1_3gpuE7ELNS1_3repE0EEENS1_38merge_mergepath_config_static_selectorELNS0_4arch9wavefront6targetE0EEEvSO_.numbered_sgpr, 0
	.set _ZN7rocprim17ROCPRIM_400000_NS6detail17trampoline_kernelINS0_14default_configENS1_38merge_sort_block_merge_config_selectorIjN6thrust23THRUST_200600_302600_NS5tupleIffNS6_9null_typeES8_S8_S8_S8_S8_S8_S8_EEEEZZNS1_27merge_sort_block_merge_implIS3_NS6_6detail15normal_iteratorINS6_10device_ptrIjEEEENSD_INSE_IS9_EEEEjNS1_19radix_merge_compareILb0ELb0EjNS0_19identity_decomposerEEEEE10hipError_tT0_T1_T2_jT3_P12ihipStream_tbPNSt15iterator_traitsISN_E10value_typeEPNST_ISO_E10value_typeEPSP_NS1_7vsmem_tEENKUlT_SN_SO_SP_E_clIPjSG_PS9_SI_EESM_S12_SN_SO_SP_EUlS12_E0_NS1_11comp_targetILNS1_3genE3ELNS1_11target_archE908ELNS1_3gpuE7ELNS1_3repE0EEENS1_38merge_mergepath_config_static_selectorELNS0_4arch9wavefront6targetE0EEEvSO_.num_named_barrier, 0
	.set _ZN7rocprim17ROCPRIM_400000_NS6detail17trampoline_kernelINS0_14default_configENS1_38merge_sort_block_merge_config_selectorIjN6thrust23THRUST_200600_302600_NS5tupleIffNS6_9null_typeES8_S8_S8_S8_S8_S8_S8_EEEEZZNS1_27merge_sort_block_merge_implIS3_NS6_6detail15normal_iteratorINS6_10device_ptrIjEEEENSD_INSE_IS9_EEEEjNS1_19radix_merge_compareILb0ELb0EjNS0_19identity_decomposerEEEEE10hipError_tT0_T1_T2_jT3_P12ihipStream_tbPNSt15iterator_traitsISN_E10value_typeEPNST_ISO_E10value_typeEPSP_NS1_7vsmem_tEENKUlT_SN_SO_SP_E_clIPjSG_PS9_SI_EESM_S12_SN_SO_SP_EUlS12_E0_NS1_11comp_targetILNS1_3genE3ELNS1_11target_archE908ELNS1_3gpuE7ELNS1_3repE0EEENS1_38merge_mergepath_config_static_selectorELNS0_4arch9wavefront6targetE0EEEvSO_.private_seg_size, 0
	.set _ZN7rocprim17ROCPRIM_400000_NS6detail17trampoline_kernelINS0_14default_configENS1_38merge_sort_block_merge_config_selectorIjN6thrust23THRUST_200600_302600_NS5tupleIffNS6_9null_typeES8_S8_S8_S8_S8_S8_S8_EEEEZZNS1_27merge_sort_block_merge_implIS3_NS6_6detail15normal_iteratorINS6_10device_ptrIjEEEENSD_INSE_IS9_EEEEjNS1_19radix_merge_compareILb0ELb0EjNS0_19identity_decomposerEEEEE10hipError_tT0_T1_T2_jT3_P12ihipStream_tbPNSt15iterator_traitsISN_E10value_typeEPNST_ISO_E10value_typeEPSP_NS1_7vsmem_tEENKUlT_SN_SO_SP_E_clIPjSG_PS9_SI_EESM_S12_SN_SO_SP_EUlS12_E0_NS1_11comp_targetILNS1_3genE3ELNS1_11target_archE908ELNS1_3gpuE7ELNS1_3repE0EEENS1_38merge_mergepath_config_static_selectorELNS0_4arch9wavefront6targetE0EEEvSO_.uses_vcc, 0
	.set _ZN7rocprim17ROCPRIM_400000_NS6detail17trampoline_kernelINS0_14default_configENS1_38merge_sort_block_merge_config_selectorIjN6thrust23THRUST_200600_302600_NS5tupleIffNS6_9null_typeES8_S8_S8_S8_S8_S8_S8_EEEEZZNS1_27merge_sort_block_merge_implIS3_NS6_6detail15normal_iteratorINS6_10device_ptrIjEEEENSD_INSE_IS9_EEEEjNS1_19radix_merge_compareILb0ELb0EjNS0_19identity_decomposerEEEEE10hipError_tT0_T1_T2_jT3_P12ihipStream_tbPNSt15iterator_traitsISN_E10value_typeEPNST_ISO_E10value_typeEPSP_NS1_7vsmem_tEENKUlT_SN_SO_SP_E_clIPjSG_PS9_SI_EESM_S12_SN_SO_SP_EUlS12_E0_NS1_11comp_targetILNS1_3genE3ELNS1_11target_archE908ELNS1_3gpuE7ELNS1_3repE0EEENS1_38merge_mergepath_config_static_selectorELNS0_4arch9wavefront6targetE0EEEvSO_.uses_flat_scratch, 0
	.set _ZN7rocprim17ROCPRIM_400000_NS6detail17trampoline_kernelINS0_14default_configENS1_38merge_sort_block_merge_config_selectorIjN6thrust23THRUST_200600_302600_NS5tupleIffNS6_9null_typeES8_S8_S8_S8_S8_S8_S8_EEEEZZNS1_27merge_sort_block_merge_implIS3_NS6_6detail15normal_iteratorINS6_10device_ptrIjEEEENSD_INSE_IS9_EEEEjNS1_19radix_merge_compareILb0ELb0EjNS0_19identity_decomposerEEEEE10hipError_tT0_T1_T2_jT3_P12ihipStream_tbPNSt15iterator_traitsISN_E10value_typeEPNST_ISO_E10value_typeEPSP_NS1_7vsmem_tEENKUlT_SN_SO_SP_E_clIPjSG_PS9_SI_EESM_S12_SN_SO_SP_EUlS12_E0_NS1_11comp_targetILNS1_3genE3ELNS1_11target_archE908ELNS1_3gpuE7ELNS1_3repE0EEENS1_38merge_mergepath_config_static_selectorELNS0_4arch9wavefront6targetE0EEEvSO_.has_dyn_sized_stack, 0
	.set _ZN7rocprim17ROCPRIM_400000_NS6detail17trampoline_kernelINS0_14default_configENS1_38merge_sort_block_merge_config_selectorIjN6thrust23THRUST_200600_302600_NS5tupleIffNS6_9null_typeES8_S8_S8_S8_S8_S8_S8_EEEEZZNS1_27merge_sort_block_merge_implIS3_NS6_6detail15normal_iteratorINS6_10device_ptrIjEEEENSD_INSE_IS9_EEEEjNS1_19radix_merge_compareILb0ELb0EjNS0_19identity_decomposerEEEEE10hipError_tT0_T1_T2_jT3_P12ihipStream_tbPNSt15iterator_traitsISN_E10value_typeEPNST_ISO_E10value_typeEPSP_NS1_7vsmem_tEENKUlT_SN_SO_SP_E_clIPjSG_PS9_SI_EESM_S12_SN_SO_SP_EUlS12_E0_NS1_11comp_targetILNS1_3genE3ELNS1_11target_archE908ELNS1_3gpuE7ELNS1_3repE0EEENS1_38merge_mergepath_config_static_selectorELNS0_4arch9wavefront6targetE0EEEvSO_.has_recursion, 0
	.set _ZN7rocprim17ROCPRIM_400000_NS6detail17trampoline_kernelINS0_14default_configENS1_38merge_sort_block_merge_config_selectorIjN6thrust23THRUST_200600_302600_NS5tupleIffNS6_9null_typeES8_S8_S8_S8_S8_S8_S8_EEEEZZNS1_27merge_sort_block_merge_implIS3_NS6_6detail15normal_iteratorINS6_10device_ptrIjEEEENSD_INSE_IS9_EEEEjNS1_19radix_merge_compareILb0ELb0EjNS0_19identity_decomposerEEEEE10hipError_tT0_T1_T2_jT3_P12ihipStream_tbPNSt15iterator_traitsISN_E10value_typeEPNST_ISO_E10value_typeEPSP_NS1_7vsmem_tEENKUlT_SN_SO_SP_E_clIPjSG_PS9_SI_EESM_S12_SN_SO_SP_EUlS12_E0_NS1_11comp_targetILNS1_3genE3ELNS1_11target_archE908ELNS1_3gpuE7ELNS1_3repE0EEENS1_38merge_mergepath_config_static_selectorELNS0_4arch9wavefront6targetE0EEEvSO_.has_indirect_call, 0
	.section	.AMDGPU.csdata,"",@progbits
; Kernel info:
; codeLenInByte = 0
; TotalNumSgprs: 0
; NumVgprs: 0
; ScratchSize: 0
; MemoryBound: 0
; FloatMode: 240
; IeeeMode: 1
; LDSByteSize: 0 bytes/workgroup (compile time only)
; SGPRBlocks: 0
; VGPRBlocks: 0
; NumSGPRsForWavesPerEU: 1
; NumVGPRsForWavesPerEU: 1
; Occupancy: 16
; WaveLimiterHint : 0
; COMPUTE_PGM_RSRC2:SCRATCH_EN: 0
; COMPUTE_PGM_RSRC2:USER_SGPR: 2
; COMPUTE_PGM_RSRC2:TRAP_HANDLER: 0
; COMPUTE_PGM_RSRC2:TGID_X_EN: 1
; COMPUTE_PGM_RSRC2:TGID_Y_EN: 0
; COMPUTE_PGM_RSRC2:TGID_Z_EN: 0
; COMPUTE_PGM_RSRC2:TIDIG_COMP_CNT: 0
	.section	.text._ZN7rocprim17ROCPRIM_400000_NS6detail17trampoline_kernelINS0_14default_configENS1_38merge_sort_block_merge_config_selectorIjN6thrust23THRUST_200600_302600_NS5tupleIffNS6_9null_typeES8_S8_S8_S8_S8_S8_S8_EEEEZZNS1_27merge_sort_block_merge_implIS3_NS6_6detail15normal_iteratorINS6_10device_ptrIjEEEENSD_INSE_IS9_EEEEjNS1_19radix_merge_compareILb0ELb0EjNS0_19identity_decomposerEEEEE10hipError_tT0_T1_T2_jT3_P12ihipStream_tbPNSt15iterator_traitsISN_E10value_typeEPNST_ISO_E10value_typeEPSP_NS1_7vsmem_tEENKUlT_SN_SO_SP_E_clIPjSG_PS9_SI_EESM_S12_SN_SO_SP_EUlS12_E0_NS1_11comp_targetILNS1_3genE2ELNS1_11target_archE906ELNS1_3gpuE6ELNS1_3repE0EEENS1_38merge_mergepath_config_static_selectorELNS0_4arch9wavefront6targetE0EEEvSO_,"axG",@progbits,_ZN7rocprim17ROCPRIM_400000_NS6detail17trampoline_kernelINS0_14default_configENS1_38merge_sort_block_merge_config_selectorIjN6thrust23THRUST_200600_302600_NS5tupleIffNS6_9null_typeES8_S8_S8_S8_S8_S8_S8_EEEEZZNS1_27merge_sort_block_merge_implIS3_NS6_6detail15normal_iteratorINS6_10device_ptrIjEEEENSD_INSE_IS9_EEEEjNS1_19radix_merge_compareILb0ELb0EjNS0_19identity_decomposerEEEEE10hipError_tT0_T1_T2_jT3_P12ihipStream_tbPNSt15iterator_traitsISN_E10value_typeEPNST_ISO_E10value_typeEPSP_NS1_7vsmem_tEENKUlT_SN_SO_SP_E_clIPjSG_PS9_SI_EESM_S12_SN_SO_SP_EUlS12_E0_NS1_11comp_targetILNS1_3genE2ELNS1_11target_archE906ELNS1_3gpuE6ELNS1_3repE0EEENS1_38merge_mergepath_config_static_selectorELNS0_4arch9wavefront6targetE0EEEvSO_,comdat
	.protected	_ZN7rocprim17ROCPRIM_400000_NS6detail17trampoline_kernelINS0_14default_configENS1_38merge_sort_block_merge_config_selectorIjN6thrust23THRUST_200600_302600_NS5tupleIffNS6_9null_typeES8_S8_S8_S8_S8_S8_S8_EEEEZZNS1_27merge_sort_block_merge_implIS3_NS6_6detail15normal_iteratorINS6_10device_ptrIjEEEENSD_INSE_IS9_EEEEjNS1_19radix_merge_compareILb0ELb0EjNS0_19identity_decomposerEEEEE10hipError_tT0_T1_T2_jT3_P12ihipStream_tbPNSt15iterator_traitsISN_E10value_typeEPNST_ISO_E10value_typeEPSP_NS1_7vsmem_tEENKUlT_SN_SO_SP_E_clIPjSG_PS9_SI_EESM_S12_SN_SO_SP_EUlS12_E0_NS1_11comp_targetILNS1_3genE2ELNS1_11target_archE906ELNS1_3gpuE6ELNS1_3repE0EEENS1_38merge_mergepath_config_static_selectorELNS0_4arch9wavefront6targetE0EEEvSO_ ; -- Begin function _ZN7rocprim17ROCPRIM_400000_NS6detail17trampoline_kernelINS0_14default_configENS1_38merge_sort_block_merge_config_selectorIjN6thrust23THRUST_200600_302600_NS5tupleIffNS6_9null_typeES8_S8_S8_S8_S8_S8_S8_EEEEZZNS1_27merge_sort_block_merge_implIS3_NS6_6detail15normal_iteratorINS6_10device_ptrIjEEEENSD_INSE_IS9_EEEEjNS1_19radix_merge_compareILb0ELb0EjNS0_19identity_decomposerEEEEE10hipError_tT0_T1_T2_jT3_P12ihipStream_tbPNSt15iterator_traitsISN_E10value_typeEPNST_ISO_E10value_typeEPSP_NS1_7vsmem_tEENKUlT_SN_SO_SP_E_clIPjSG_PS9_SI_EESM_S12_SN_SO_SP_EUlS12_E0_NS1_11comp_targetILNS1_3genE2ELNS1_11target_archE906ELNS1_3gpuE6ELNS1_3repE0EEENS1_38merge_mergepath_config_static_selectorELNS0_4arch9wavefront6targetE0EEEvSO_
	.globl	_ZN7rocprim17ROCPRIM_400000_NS6detail17trampoline_kernelINS0_14default_configENS1_38merge_sort_block_merge_config_selectorIjN6thrust23THRUST_200600_302600_NS5tupleIffNS6_9null_typeES8_S8_S8_S8_S8_S8_S8_EEEEZZNS1_27merge_sort_block_merge_implIS3_NS6_6detail15normal_iteratorINS6_10device_ptrIjEEEENSD_INSE_IS9_EEEEjNS1_19radix_merge_compareILb0ELb0EjNS0_19identity_decomposerEEEEE10hipError_tT0_T1_T2_jT3_P12ihipStream_tbPNSt15iterator_traitsISN_E10value_typeEPNST_ISO_E10value_typeEPSP_NS1_7vsmem_tEENKUlT_SN_SO_SP_E_clIPjSG_PS9_SI_EESM_S12_SN_SO_SP_EUlS12_E0_NS1_11comp_targetILNS1_3genE2ELNS1_11target_archE906ELNS1_3gpuE6ELNS1_3repE0EEENS1_38merge_mergepath_config_static_selectorELNS0_4arch9wavefront6targetE0EEEvSO_
	.p2align	8
	.type	_ZN7rocprim17ROCPRIM_400000_NS6detail17trampoline_kernelINS0_14default_configENS1_38merge_sort_block_merge_config_selectorIjN6thrust23THRUST_200600_302600_NS5tupleIffNS6_9null_typeES8_S8_S8_S8_S8_S8_S8_EEEEZZNS1_27merge_sort_block_merge_implIS3_NS6_6detail15normal_iteratorINS6_10device_ptrIjEEEENSD_INSE_IS9_EEEEjNS1_19radix_merge_compareILb0ELb0EjNS0_19identity_decomposerEEEEE10hipError_tT0_T1_T2_jT3_P12ihipStream_tbPNSt15iterator_traitsISN_E10value_typeEPNST_ISO_E10value_typeEPSP_NS1_7vsmem_tEENKUlT_SN_SO_SP_E_clIPjSG_PS9_SI_EESM_S12_SN_SO_SP_EUlS12_E0_NS1_11comp_targetILNS1_3genE2ELNS1_11target_archE906ELNS1_3gpuE6ELNS1_3repE0EEENS1_38merge_mergepath_config_static_selectorELNS0_4arch9wavefront6targetE0EEEvSO_,@function
_ZN7rocprim17ROCPRIM_400000_NS6detail17trampoline_kernelINS0_14default_configENS1_38merge_sort_block_merge_config_selectorIjN6thrust23THRUST_200600_302600_NS5tupleIffNS6_9null_typeES8_S8_S8_S8_S8_S8_S8_EEEEZZNS1_27merge_sort_block_merge_implIS3_NS6_6detail15normal_iteratorINS6_10device_ptrIjEEEENSD_INSE_IS9_EEEEjNS1_19radix_merge_compareILb0ELb0EjNS0_19identity_decomposerEEEEE10hipError_tT0_T1_T2_jT3_P12ihipStream_tbPNSt15iterator_traitsISN_E10value_typeEPNST_ISO_E10value_typeEPSP_NS1_7vsmem_tEENKUlT_SN_SO_SP_E_clIPjSG_PS9_SI_EESM_S12_SN_SO_SP_EUlS12_E0_NS1_11comp_targetILNS1_3genE2ELNS1_11target_archE906ELNS1_3gpuE6ELNS1_3repE0EEENS1_38merge_mergepath_config_static_selectorELNS0_4arch9wavefront6targetE0EEEvSO_: ; @_ZN7rocprim17ROCPRIM_400000_NS6detail17trampoline_kernelINS0_14default_configENS1_38merge_sort_block_merge_config_selectorIjN6thrust23THRUST_200600_302600_NS5tupleIffNS6_9null_typeES8_S8_S8_S8_S8_S8_S8_EEEEZZNS1_27merge_sort_block_merge_implIS3_NS6_6detail15normal_iteratorINS6_10device_ptrIjEEEENSD_INSE_IS9_EEEEjNS1_19radix_merge_compareILb0ELb0EjNS0_19identity_decomposerEEEEE10hipError_tT0_T1_T2_jT3_P12ihipStream_tbPNSt15iterator_traitsISN_E10value_typeEPNST_ISO_E10value_typeEPSP_NS1_7vsmem_tEENKUlT_SN_SO_SP_E_clIPjSG_PS9_SI_EESM_S12_SN_SO_SP_EUlS12_E0_NS1_11comp_targetILNS1_3genE2ELNS1_11target_archE906ELNS1_3gpuE6ELNS1_3repE0EEENS1_38merge_mergepath_config_static_selectorELNS0_4arch9wavefront6targetE0EEEvSO_
; %bb.0:
	.section	.rodata,"a",@progbits
	.p2align	6, 0x0
	.amdhsa_kernel _ZN7rocprim17ROCPRIM_400000_NS6detail17trampoline_kernelINS0_14default_configENS1_38merge_sort_block_merge_config_selectorIjN6thrust23THRUST_200600_302600_NS5tupleIffNS6_9null_typeES8_S8_S8_S8_S8_S8_S8_EEEEZZNS1_27merge_sort_block_merge_implIS3_NS6_6detail15normal_iteratorINS6_10device_ptrIjEEEENSD_INSE_IS9_EEEEjNS1_19radix_merge_compareILb0ELb0EjNS0_19identity_decomposerEEEEE10hipError_tT0_T1_T2_jT3_P12ihipStream_tbPNSt15iterator_traitsISN_E10value_typeEPNST_ISO_E10value_typeEPSP_NS1_7vsmem_tEENKUlT_SN_SO_SP_E_clIPjSG_PS9_SI_EESM_S12_SN_SO_SP_EUlS12_E0_NS1_11comp_targetILNS1_3genE2ELNS1_11target_archE906ELNS1_3gpuE6ELNS1_3repE0EEENS1_38merge_mergepath_config_static_selectorELNS0_4arch9wavefront6targetE0EEEvSO_
		.amdhsa_group_segment_fixed_size 0
		.amdhsa_private_segment_fixed_size 0
		.amdhsa_kernarg_size 64
		.amdhsa_user_sgpr_count 2
		.amdhsa_user_sgpr_dispatch_ptr 0
		.amdhsa_user_sgpr_queue_ptr 0
		.amdhsa_user_sgpr_kernarg_segment_ptr 1
		.amdhsa_user_sgpr_dispatch_id 0
		.amdhsa_user_sgpr_private_segment_size 0
		.amdhsa_wavefront_size32 1
		.amdhsa_uses_dynamic_stack 0
		.amdhsa_enable_private_segment 0
		.amdhsa_system_sgpr_workgroup_id_x 1
		.amdhsa_system_sgpr_workgroup_id_y 0
		.amdhsa_system_sgpr_workgroup_id_z 0
		.amdhsa_system_sgpr_workgroup_info 0
		.amdhsa_system_vgpr_workitem_id 0
		.amdhsa_next_free_vgpr 1
		.amdhsa_next_free_sgpr 1
		.amdhsa_reserve_vcc 0
		.amdhsa_float_round_mode_32 0
		.amdhsa_float_round_mode_16_64 0
		.amdhsa_float_denorm_mode_32 3
		.amdhsa_float_denorm_mode_16_64 3
		.amdhsa_fp16_overflow 0
		.amdhsa_workgroup_processor_mode 1
		.amdhsa_memory_ordered 1
		.amdhsa_forward_progress 1
		.amdhsa_inst_pref_size 0
		.amdhsa_round_robin_scheduling 0
		.amdhsa_exception_fp_ieee_invalid_op 0
		.amdhsa_exception_fp_denorm_src 0
		.amdhsa_exception_fp_ieee_div_zero 0
		.amdhsa_exception_fp_ieee_overflow 0
		.amdhsa_exception_fp_ieee_underflow 0
		.amdhsa_exception_fp_ieee_inexact 0
		.amdhsa_exception_int_div_zero 0
	.end_amdhsa_kernel
	.section	.text._ZN7rocprim17ROCPRIM_400000_NS6detail17trampoline_kernelINS0_14default_configENS1_38merge_sort_block_merge_config_selectorIjN6thrust23THRUST_200600_302600_NS5tupleIffNS6_9null_typeES8_S8_S8_S8_S8_S8_S8_EEEEZZNS1_27merge_sort_block_merge_implIS3_NS6_6detail15normal_iteratorINS6_10device_ptrIjEEEENSD_INSE_IS9_EEEEjNS1_19radix_merge_compareILb0ELb0EjNS0_19identity_decomposerEEEEE10hipError_tT0_T1_T2_jT3_P12ihipStream_tbPNSt15iterator_traitsISN_E10value_typeEPNST_ISO_E10value_typeEPSP_NS1_7vsmem_tEENKUlT_SN_SO_SP_E_clIPjSG_PS9_SI_EESM_S12_SN_SO_SP_EUlS12_E0_NS1_11comp_targetILNS1_3genE2ELNS1_11target_archE906ELNS1_3gpuE6ELNS1_3repE0EEENS1_38merge_mergepath_config_static_selectorELNS0_4arch9wavefront6targetE0EEEvSO_,"axG",@progbits,_ZN7rocprim17ROCPRIM_400000_NS6detail17trampoline_kernelINS0_14default_configENS1_38merge_sort_block_merge_config_selectorIjN6thrust23THRUST_200600_302600_NS5tupleIffNS6_9null_typeES8_S8_S8_S8_S8_S8_S8_EEEEZZNS1_27merge_sort_block_merge_implIS3_NS6_6detail15normal_iteratorINS6_10device_ptrIjEEEENSD_INSE_IS9_EEEEjNS1_19radix_merge_compareILb0ELb0EjNS0_19identity_decomposerEEEEE10hipError_tT0_T1_T2_jT3_P12ihipStream_tbPNSt15iterator_traitsISN_E10value_typeEPNST_ISO_E10value_typeEPSP_NS1_7vsmem_tEENKUlT_SN_SO_SP_E_clIPjSG_PS9_SI_EESM_S12_SN_SO_SP_EUlS12_E0_NS1_11comp_targetILNS1_3genE2ELNS1_11target_archE906ELNS1_3gpuE6ELNS1_3repE0EEENS1_38merge_mergepath_config_static_selectorELNS0_4arch9wavefront6targetE0EEEvSO_,comdat
.Lfunc_end38:
	.size	_ZN7rocprim17ROCPRIM_400000_NS6detail17trampoline_kernelINS0_14default_configENS1_38merge_sort_block_merge_config_selectorIjN6thrust23THRUST_200600_302600_NS5tupleIffNS6_9null_typeES8_S8_S8_S8_S8_S8_S8_EEEEZZNS1_27merge_sort_block_merge_implIS3_NS6_6detail15normal_iteratorINS6_10device_ptrIjEEEENSD_INSE_IS9_EEEEjNS1_19radix_merge_compareILb0ELb0EjNS0_19identity_decomposerEEEEE10hipError_tT0_T1_T2_jT3_P12ihipStream_tbPNSt15iterator_traitsISN_E10value_typeEPNST_ISO_E10value_typeEPSP_NS1_7vsmem_tEENKUlT_SN_SO_SP_E_clIPjSG_PS9_SI_EESM_S12_SN_SO_SP_EUlS12_E0_NS1_11comp_targetILNS1_3genE2ELNS1_11target_archE906ELNS1_3gpuE6ELNS1_3repE0EEENS1_38merge_mergepath_config_static_selectorELNS0_4arch9wavefront6targetE0EEEvSO_, .Lfunc_end38-_ZN7rocprim17ROCPRIM_400000_NS6detail17trampoline_kernelINS0_14default_configENS1_38merge_sort_block_merge_config_selectorIjN6thrust23THRUST_200600_302600_NS5tupleIffNS6_9null_typeES8_S8_S8_S8_S8_S8_S8_EEEEZZNS1_27merge_sort_block_merge_implIS3_NS6_6detail15normal_iteratorINS6_10device_ptrIjEEEENSD_INSE_IS9_EEEEjNS1_19radix_merge_compareILb0ELb0EjNS0_19identity_decomposerEEEEE10hipError_tT0_T1_T2_jT3_P12ihipStream_tbPNSt15iterator_traitsISN_E10value_typeEPNST_ISO_E10value_typeEPSP_NS1_7vsmem_tEENKUlT_SN_SO_SP_E_clIPjSG_PS9_SI_EESM_S12_SN_SO_SP_EUlS12_E0_NS1_11comp_targetILNS1_3genE2ELNS1_11target_archE906ELNS1_3gpuE6ELNS1_3repE0EEENS1_38merge_mergepath_config_static_selectorELNS0_4arch9wavefront6targetE0EEEvSO_
                                        ; -- End function
	.set _ZN7rocprim17ROCPRIM_400000_NS6detail17trampoline_kernelINS0_14default_configENS1_38merge_sort_block_merge_config_selectorIjN6thrust23THRUST_200600_302600_NS5tupleIffNS6_9null_typeES8_S8_S8_S8_S8_S8_S8_EEEEZZNS1_27merge_sort_block_merge_implIS3_NS6_6detail15normal_iteratorINS6_10device_ptrIjEEEENSD_INSE_IS9_EEEEjNS1_19radix_merge_compareILb0ELb0EjNS0_19identity_decomposerEEEEE10hipError_tT0_T1_T2_jT3_P12ihipStream_tbPNSt15iterator_traitsISN_E10value_typeEPNST_ISO_E10value_typeEPSP_NS1_7vsmem_tEENKUlT_SN_SO_SP_E_clIPjSG_PS9_SI_EESM_S12_SN_SO_SP_EUlS12_E0_NS1_11comp_targetILNS1_3genE2ELNS1_11target_archE906ELNS1_3gpuE6ELNS1_3repE0EEENS1_38merge_mergepath_config_static_selectorELNS0_4arch9wavefront6targetE0EEEvSO_.num_vgpr, 0
	.set _ZN7rocprim17ROCPRIM_400000_NS6detail17trampoline_kernelINS0_14default_configENS1_38merge_sort_block_merge_config_selectorIjN6thrust23THRUST_200600_302600_NS5tupleIffNS6_9null_typeES8_S8_S8_S8_S8_S8_S8_EEEEZZNS1_27merge_sort_block_merge_implIS3_NS6_6detail15normal_iteratorINS6_10device_ptrIjEEEENSD_INSE_IS9_EEEEjNS1_19radix_merge_compareILb0ELb0EjNS0_19identity_decomposerEEEEE10hipError_tT0_T1_T2_jT3_P12ihipStream_tbPNSt15iterator_traitsISN_E10value_typeEPNST_ISO_E10value_typeEPSP_NS1_7vsmem_tEENKUlT_SN_SO_SP_E_clIPjSG_PS9_SI_EESM_S12_SN_SO_SP_EUlS12_E0_NS1_11comp_targetILNS1_3genE2ELNS1_11target_archE906ELNS1_3gpuE6ELNS1_3repE0EEENS1_38merge_mergepath_config_static_selectorELNS0_4arch9wavefront6targetE0EEEvSO_.num_agpr, 0
	.set _ZN7rocprim17ROCPRIM_400000_NS6detail17trampoline_kernelINS0_14default_configENS1_38merge_sort_block_merge_config_selectorIjN6thrust23THRUST_200600_302600_NS5tupleIffNS6_9null_typeES8_S8_S8_S8_S8_S8_S8_EEEEZZNS1_27merge_sort_block_merge_implIS3_NS6_6detail15normal_iteratorINS6_10device_ptrIjEEEENSD_INSE_IS9_EEEEjNS1_19radix_merge_compareILb0ELb0EjNS0_19identity_decomposerEEEEE10hipError_tT0_T1_T2_jT3_P12ihipStream_tbPNSt15iterator_traitsISN_E10value_typeEPNST_ISO_E10value_typeEPSP_NS1_7vsmem_tEENKUlT_SN_SO_SP_E_clIPjSG_PS9_SI_EESM_S12_SN_SO_SP_EUlS12_E0_NS1_11comp_targetILNS1_3genE2ELNS1_11target_archE906ELNS1_3gpuE6ELNS1_3repE0EEENS1_38merge_mergepath_config_static_selectorELNS0_4arch9wavefront6targetE0EEEvSO_.numbered_sgpr, 0
	.set _ZN7rocprim17ROCPRIM_400000_NS6detail17trampoline_kernelINS0_14default_configENS1_38merge_sort_block_merge_config_selectorIjN6thrust23THRUST_200600_302600_NS5tupleIffNS6_9null_typeES8_S8_S8_S8_S8_S8_S8_EEEEZZNS1_27merge_sort_block_merge_implIS3_NS6_6detail15normal_iteratorINS6_10device_ptrIjEEEENSD_INSE_IS9_EEEEjNS1_19radix_merge_compareILb0ELb0EjNS0_19identity_decomposerEEEEE10hipError_tT0_T1_T2_jT3_P12ihipStream_tbPNSt15iterator_traitsISN_E10value_typeEPNST_ISO_E10value_typeEPSP_NS1_7vsmem_tEENKUlT_SN_SO_SP_E_clIPjSG_PS9_SI_EESM_S12_SN_SO_SP_EUlS12_E0_NS1_11comp_targetILNS1_3genE2ELNS1_11target_archE906ELNS1_3gpuE6ELNS1_3repE0EEENS1_38merge_mergepath_config_static_selectorELNS0_4arch9wavefront6targetE0EEEvSO_.num_named_barrier, 0
	.set _ZN7rocprim17ROCPRIM_400000_NS6detail17trampoline_kernelINS0_14default_configENS1_38merge_sort_block_merge_config_selectorIjN6thrust23THRUST_200600_302600_NS5tupleIffNS6_9null_typeES8_S8_S8_S8_S8_S8_S8_EEEEZZNS1_27merge_sort_block_merge_implIS3_NS6_6detail15normal_iteratorINS6_10device_ptrIjEEEENSD_INSE_IS9_EEEEjNS1_19radix_merge_compareILb0ELb0EjNS0_19identity_decomposerEEEEE10hipError_tT0_T1_T2_jT3_P12ihipStream_tbPNSt15iterator_traitsISN_E10value_typeEPNST_ISO_E10value_typeEPSP_NS1_7vsmem_tEENKUlT_SN_SO_SP_E_clIPjSG_PS9_SI_EESM_S12_SN_SO_SP_EUlS12_E0_NS1_11comp_targetILNS1_3genE2ELNS1_11target_archE906ELNS1_3gpuE6ELNS1_3repE0EEENS1_38merge_mergepath_config_static_selectorELNS0_4arch9wavefront6targetE0EEEvSO_.private_seg_size, 0
	.set _ZN7rocprim17ROCPRIM_400000_NS6detail17trampoline_kernelINS0_14default_configENS1_38merge_sort_block_merge_config_selectorIjN6thrust23THRUST_200600_302600_NS5tupleIffNS6_9null_typeES8_S8_S8_S8_S8_S8_S8_EEEEZZNS1_27merge_sort_block_merge_implIS3_NS6_6detail15normal_iteratorINS6_10device_ptrIjEEEENSD_INSE_IS9_EEEEjNS1_19radix_merge_compareILb0ELb0EjNS0_19identity_decomposerEEEEE10hipError_tT0_T1_T2_jT3_P12ihipStream_tbPNSt15iterator_traitsISN_E10value_typeEPNST_ISO_E10value_typeEPSP_NS1_7vsmem_tEENKUlT_SN_SO_SP_E_clIPjSG_PS9_SI_EESM_S12_SN_SO_SP_EUlS12_E0_NS1_11comp_targetILNS1_3genE2ELNS1_11target_archE906ELNS1_3gpuE6ELNS1_3repE0EEENS1_38merge_mergepath_config_static_selectorELNS0_4arch9wavefront6targetE0EEEvSO_.uses_vcc, 0
	.set _ZN7rocprim17ROCPRIM_400000_NS6detail17trampoline_kernelINS0_14default_configENS1_38merge_sort_block_merge_config_selectorIjN6thrust23THRUST_200600_302600_NS5tupleIffNS6_9null_typeES8_S8_S8_S8_S8_S8_S8_EEEEZZNS1_27merge_sort_block_merge_implIS3_NS6_6detail15normal_iteratorINS6_10device_ptrIjEEEENSD_INSE_IS9_EEEEjNS1_19radix_merge_compareILb0ELb0EjNS0_19identity_decomposerEEEEE10hipError_tT0_T1_T2_jT3_P12ihipStream_tbPNSt15iterator_traitsISN_E10value_typeEPNST_ISO_E10value_typeEPSP_NS1_7vsmem_tEENKUlT_SN_SO_SP_E_clIPjSG_PS9_SI_EESM_S12_SN_SO_SP_EUlS12_E0_NS1_11comp_targetILNS1_3genE2ELNS1_11target_archE906ELNS1_3gpuE6ELNS1_3repE0EEENS1_38merge_mergepath_config_static_selectorELNS0_4arch9wavefront6targetE0EEEvSO_.uses_flat_scratch, 0
	.set _ZN7rocprim17ROCPRIM_400000_NS6detail17trampoline_kernelINS0_14default_configENS1_38merge_sort_block_merge_config_selectorIjN6thrust23THRUST_200600_302600_NS5tupleIffNS6_9null_typeES8_S8_S8_S8_S8_S8_S8_EEEEZZNS1_27merge_sort_block_merge_implIS3_NS6_6detail15normal_iteratorINS6_10device_ptrIjEEEENSD_INSE_IS9_EEEEjNS1_19radix_merge_compareILb0ELb0EjNS0_19identity_decomposerEEEEE10hipError_tT0_T1_T2_jT3_P12ihipStream_tbPNSt15iterator_traitsISN_E10value_typeEPNST_ISO_E10value_typeEPSP_NS1_7vsmem_tEENKUlT_SN_SO_SP_E_clIPjSG_PS9_SI_EESM_S12_SN_SO_SP_EUlS12_E0_NS1_11comp_targetILNS1_3genE2ELNS1_11target_archE906ELNS1_3gpuE6ELNS1_3repE0EEENS1_38merge_mergepath_config_static_selectorELNS0_4arch9wavefront6targetE0EEEvSO_.has_dyn_sized_stack, 0
	.set _ZN7rocprim17ROCPRIM_400000_NS6detail17trampoline_kernelINS0_14default_configENS1_38merge_sort_block_merge_config_selectorIjN6thrust23THRUST_200600_302600_NS5tupleIffNS6_9null_typeES8_S8_S8_S8_S8_S8_S8_EEEEZZNS1_27merge_sort_block_merge_implIS3_NS6_6detail15normal_iteratorINS6_10device_ptrIjEEEENSD_INSE_IS9_EEEEjNS1_19radix_merge_compareILb0ELb0EjNS0_19identity_decomposerEEEEE10hipError_tT0_T1_T2_jT3_P12ihipStream_tbPNSt15iterator_traitsISN_E10value_typeEPNST_ISO_E10value_typeEPSP_NS1_7vsmem_tEENKUlT_SN_SO_SP_E_clIPjSG_PS9_SI_EESM_S12_SN_SO_SP_EUlS12_E0_NS1_11comp_targetILNS1_3genE2ELNS1_11target_archE906ELNS1_3gpuE6ELNS1_3repE0EEENS1_38merge_mergepath_config_static_selectorELNS0_4arch9wavefront6targetE0EEEvSO_.has_recursion, 0
	.set _ZN7rocprim17ROCPRIM_400000_NS6detail17trampoline_kernelINS0_14default_configENS1_38merge_sort_block_merge_config_selectorIjN6thrust23THRUST_200600_302600_NS5tupleIffNS6_9null_typeES8_S8_S8_S8_S8_S8_S8_EEEEZZNS1_27merge_sort_block_merge_implIS3_NS6_6detail15normal_iteratorINS6_10device_ptrIjEEEENSD_INSE_IS9_EEEEjNS1_19radix_merge_compareILb0ELb0EjNS0_19identity_decomposerEEEEE10hipError_tT0_T1_T2_jT3_P12ihipStream_tbPNSt15iterator_traitsISN_E10value_typeEPNST_ISO_E10value_typeEPSP_NS1_7vsmem_tEENKUlT_SN_SO_SP_E_clIPjSG_PS9_SI_EESM_S12_SN_SO_SP_EUlS12_E0_NS1_11comp_targetILNS1_3genE2ELNS1_11target_archE906ELNS1_3gpuE6ELNS1_3repE0EEENS1_38merge_mergepath_config_static_selectorELNS0_4arch9wavefront6targetE0EEEvSO_.has_indirect_call, 0
	.section	.AMDGPU.csdata,"",@progbits
; Kernel info:
; codeLenInByte = 0
; TotalNumSgprs: 0
; NumVgprs: 0
; ScratchSize: 0
; MemoryBound: 0
; FloatMode: 240
; IeeeMode: 1
; LDSByteSize: 0 bytes/workgroup (compile time only)
; SGPRBlocks: 0
; VGPRBlocks: 0
; NumSGPRsForWavesPerEU: 1
; NumVGPRsForWavesPerEU: 1
; Occupancy: 16
; WaveLimiterHint : 0
; COMPUTE_PGM_RSRC2:SCRATCH_EN: 0
; COMPUTE_PGM_RSRC2:USER_SGPR: 2
; COMPUTE_PGM_RSRC2:TRAP_HANDLER: 0
; COMPUTE_PGM_RSRC2:TGID_X_EN: 1
; COMPUTE_PGM_RSRC2:TGID_Y_EN: 0
; COMPUTE_PGM_RSRC2:TGID_Z_EN: 0
; COMPUTE_PGM_RSRC2:TIDIG_COMP_CNT: 0
	.section	.text._ZN7rocprim17ROCPRIM_400000_NS6detail17trampoline_kernelINS0_14default_configENS1_38merge_sort_block_merge_config_selectorIjN6thrust23THRUST_200600_302600_NS5tupleIffNS6_9null_typeES8_S8_S8_S8_S8_S8_S8_EEEEZZNS1_27merge_sort_block_merge_implIS3_NS6_6detail15normal_iteratorINS6_10device_ptrIjEEEENSD_INSE_IS9_EEEEjNS1_19radix_merge_compareILb0ELb0EjNS0_19identity_decomposerEEEEE10hipError_tT0_T1_T2_jT3_P12ihipStream_tbPNSt15iterator_traitsISN_E10value_typeEPNST_ISO_E10value_typeEPSP_NS1_7vsmem_tEENKUlT_SN_SO_SP_E_clIPjSG_PS9_SI_EESM_S12_SN_SO_SP_EUlS12_E0_NS1_11comp_targetILNS1_3genE9ELNS1_11target_archE1100ELNS1_3gpuE3ELNS1_3repE0EEENS1_38merge_mergepath_config_static_selectorELNS0_4arch9wavefront6targetE0EEEvSO_,"axG",@progbits,_ZN7rocprim17ROCPRIM_400000_NS6detail17trampoline_kernelINS0_14default_configENS1_38merge_sort_block_merge_config_selectorIjN6thrust23THRUST_200600_302600_NS5tupleIffNS6_9null_typeES8_S8_S8_S8_S8_S8_S8_EEEEZZNS1_27merge_sort_block_merge_implIS3_NS6_6detail15normal_iteratorINS6_10device_ptrIjEEEENSD_INSE_IS9_EEEEjNS1_19radix_merge_compareILb0ELb0EjNS0_19identity_decomposerEEEEE10hipError_tT0_T1_T2_jT3_P12ihipStream_tbPNSt15iterator_traitsISN_E10value_typeEPNST_ISO_E10value_typeEPSP_NS1_7vsmem_tEENKUlT_SN_SO_SP_E_clIPjSG_PS9_SI_EESM_S12_SN_SO_SP_EUlS12_E0_NS1_11comp_targetILNS1_3genE9ELNS1_11target_archE1100ELNS1_3gpuE3ELNS1_3repE0EEENS1_38merge_mergepath_config_static_selectorELNS0_4arch9wavefront6targetE0EEEvSO_,comdat
	.protected	_ZN7rocprim17ROCPRIM_400000_NS6detail17trampoline_kernelINS0_14default_configENS1_38merge_sort_block_merge_config_selectorIjN6thrust23THRUST_200600_302600_NS5tupleIffNS6_9null_typeES8_S8_S8_S8_S8_S8_S8_EEEEZZNS1_27merge_sort_block_merge_implIS3_NS6_6detail15normal_iteratorINS6_10device_ptrIjEEEENSD_INSE_IS9_EEEEjNS1_19radix_merge_compareILb0ELb0EjNS0_19identity_decomposerEEEEE10hipError_tT0_T1_T2_jT3_P12ihipStream_tbPNSt15iterator_traitsISN_E10value_typeEPNST_ISO_E10value_typeEPSP_NS1_7vsmem_tEENKUlT_SN_SO_SP_E_clIPjSG_PS9_SI_EESM_S12_SN_SO_SP_EUlS12_E0_NS1_11comp_targetILNS1_3genE9ELNS1_11target_archE1100ELNS1_3gpuE3ELNS1_3repE0EEENS1_38merge_mergepath_config_static_selectorELNS0_4arch9wavefront6targetE0EEEvSO_ ; -- Begin function _ZN7rocprim17ROCPRIM_400000_NS6detail17trampoline_kernelINS0_14default_configENS1_38merge_sort_block_merge_config_selectorIjN6thrust23THRUST_200600_302600_NS5tupleIffNS6_9null_typeES8_S8_S8_S8_S8_S8_S8_EEEEZZNS1_27merge_sort_block_merge_implIS3_NS6_6detail15normal_iteratorINS6_10device_ptrIjEEEENSD_INSE_IS9_EEEEjNS1_19radix_merge_compareILb0ELb0EjNS0_19identity_decomposerEEEEE10hipError_tT0_T1_T2_jT3_P12ihipStream_tbPNSt15iterator_traitsISN_E10value_typeEPNST_ISO_E10value_typeEPSP_NS1_7vsmem_tEENKUlT_SN_SO_SP_E_clIPjSG_PS9_SI_EESM_S12_SN_SO_SP_EUlS12_E0_NS1_11comp_targetILNS1_3genE9ELNS1_11target_archE1100ELNS1_3gpuE3ELNS1_3repE0EEENS1_38merge_mergepath_config_static_selectorELNS0_4arch9wavefront6targetE0EEEvSO_
	.globl	_ZN7rocprim17ROCPRIM_400000_NS6detail17trampoline_kernelINS0_14default_configENS1_38merge_sort_block_merge_config_selectorIjN6thrust23THRUST_200600_302600_NS5tupleIffNS6_9null_typeES8_S8_S8_S8_S8_S8_S8_EEEEZZNS1_27merge_sort_block_merge_implIS3_NS6_6detail15normal_iteratorINS6_10device_ptrIjEEEENSD_INSE_IS9_EEEEjNS1_19radix_merge_compareILb0ELb0EjNS0_19identity_decomposerEEEEE10hipError_tT0_T1_T2_jT3_P12ihipStream_tbPNSt15iterator_traitsISN_E10value_typeEPNST_ISO_E10value_typeEPSP_NS1_7vsmem_tEENKUlT_SN_SO_SP_E_clIPjSG_PS9_SI_EESM_S12_SN_SO_SP_EUlS12_E0_NS1_11comp_targetILNS1_3genE9ELNS1_11target_archE1100ELNS1_3gpuE3ELNS1_3repE0EEENS1_38merge_mergepath_config_static_selectorELNS0_4arch9wavefront6targetE0EEEvSO_
	.p2align	8
	.type	_ZN7rocprim17ROCPRIM_400000_NS6detail17trampoline_kernelINS0_14default_configENS1_38merge_sort_block_merge_config_selectorIjN6thrust23THRUST_200600_302600_NS5tupleIffNS6_9null_typeES8_S8_S8_S8_S8_S8_S8_EEEEZZNS1_27merge_sort_block_merge_implIS3_NS6_6detail15normal_iteratorINS6_10device_ptrIjEEEENSD_INSE_IS9_EEEEjNS1_19radix_merge_compareILb0ELb0EjNS0_19identity_decomposerEEEEE10hipError_tT0_T1_T2_jT3_P12ihipStream_tbPNSt15iterator_traitsISN_E10value_typeEPNST_ISO_E10value_typeEPSP_NS1_7vsmem_tEENKUlT_SN_SO_SP_E_clIPjSG_PS9_SI_EESM_S12_SN_SO_SP_EUlS12_E0_NS1_11comp_targetILNS1_3genE9ELNS1_11target_archE1100ELNS1_3gpuE3ELNS1_3repE0EEENS1_38merge_mergepath_config_static_selectorELNS0_4arch9wavefront6targetE0EEEvSO_,@function
_ZN7rocprim17ROCPRIM_400000_NS6detail17trampoline_kernelINS0_14default_configENS1_38merge_sort_block_merge_config_selectorIjN6thrust23THRUST_200600_302600_NS5tupleIffNS6_9null_typeES8_S8_S8_S8_S8_S8_S8_EEEEZZNS1_27merge_sort_block_merge_implIS3_NS6_6detail15normal_iteratorINS6_10device_ptrIjEEEENSD_INSE_IS9_EEEEjNS1_19radix_merge_compareILb0ELb0EjNS0_19identity_decomposerEEEEE10hipError_tT0_T1_T2_jT3_P12ihipStream_tbPNSt15iterator_traitsISN_E10value_typeEPNST_ISO_E10value_typeEPSP_NS1_7vsmem_tEENKUlT_SN_SO_SP_E_clIPjSG_PS9_SI_EESM_S12_SN_SO_SP_EUlS12_E0_NS1_11comp_targetILNS1_3genE9ELNS1_11target_archE1100ELNS1_3gpuE3ELNS1_3repE0EEENS1_38merge_mergepath_config_static_selectorELNS0_4arch9wavefront6targetE0EEEvSO_: ; @_ZN7rocprim17ROCPRIM_400000_NS6detail17trampoline_kernelINS0_14default_configENS1_38merge_sort_block_merge_config_selectorIjN6thrust23THRUST_200600_302600_NS5tupleIffNS6_9null_typeES8_S8_S8_S8_S8_S8_S8_EEEEZZNS1_27merge_sort_block_merge_implIS3_NS6_6detail15normal_iteratorINS6_10device_ptrIjEEEENSD_INSE_IS9_EEEEjNS1_19radix_merge_compareILb0ELb0EjNS0_19identity_decomposerEEEEE10hipError_tT0_T1_T2_jT3_P12ihipStream_tbPNSt15iterator_traitsISN_E10value_typeEPNST_ISO_E10value_typeEPSP_NS1_7vsmem_tEENKUlT_SN_SO_SP_E_clIPjSG_PS9_SI_EESM_S12_SN_SO_SP_EUlS12_E0_NS1_11comp_targetILNS1_3genE9ELNS1_11target_archE1100ELNS1_3gpuE3ELNS1_3repE0EEENS1_38merge_mergepath_config_static_selectorELNS0_4arch9wavefront6targetE0EEEvSO_
; %bb.0:
	.section	.rodata,"a",@progbits
	.p2align	6, 0x0
	.amdhsa_kernel _ZN7rocprim17ROCPRIM_400000_NS6detail17trampoline_kernelINS0_14default_configENS1_38merge_sort_block_merge_config_selectorIjN6thrust23THRUST_200600_302600_NS5tupleIffNS6_9null_typeES8_S8_S8_S8_S8_S8_S8_EEEEZZNS1_27merge_sort_block_merge_implIS3_NS6_6detail15normal_iteratorINS6_10device_ptrIjEEEENSD_INSE_IS9_EEEEjNS1_19radix_merge_compareILb0ELb0EjNS0_19identity_decomposerEEEEE10hipError_tT0_T1_T2_jT3_P12ihipStream_tbPNSt15iterator_traitsISN_E10value_typeEPNST_ISO_E10value_typeEPSP_NS1_7vsmem_tEENKUlT_SN_SO_SP_E_clIPjSG_PS9_SI_EESM_S12_SN_SO_SP_EUlS12_E0_NS1_11comp_targetILNS1_3genE9ELNS1_11target_archE1100ELNS1_3gpuE3ELNS1_3repE0EEENS1_38merge_mergepath_config_static_selectorELNS0_4arch9wavefront6targetE0EEEvSO_
		.amdhsa_group_segment_fixed_size 0
		.amdhsa_private_segment_fixed_size 0
		.amdhsa_kernarg_size 64
		.amdhsa_user_sgpr_count 2
		.amdhsa_user_sgpr_dispatch_ptr 0
		.amdhsa_user_sgpr_queue_ptr 0
		.amdhsa_user_sgpr_kernarg_segment_ptr 1
		.amdhsa_user_sgpr_dispatch_id 0
		.amdhsa_user_sgpr_private_segment_size 0
		.amdhsa_wavefront_size32 1
		.amdhsa_uses_dynamic_stack 0
		.amdhsa_enable_private_segment 0
		.amdhsa_system_sgpr_workgroup_id_x 1
		.amdhsa_system_sgpr_workgroup_id_y 0
		.amdhsa_system_sgpr_workgroup_id_z 0
		.amdhsa_system_sgpr_workgroup_info 0
		.amdhsa_system_vgpr_workitem_id 0
		.amdhsa_next_free_vgpr 1
		.amdhsa_next_free_sgpr 1
		.amdhsa_reserve_vcc 0
		.amdhsa_float_round_mode_32 0
		.amdhsa_float_round_mode_16_64 0
		.amdhsa_float_denorm_mode_32 3
		.amdhsa_float_denorm_mode_16_64 3
		.amdhsa_fp16_overflow 0
		.amdhsa_workgroup_processor_mode 1
		.amdhsa_memory_ordered 1
		.amdhsa_forward_progress 1
		.amdhsa_inst_pref_size 0
		.amdhsa_round_robin_scheduling 0
		.amdhsa_exception_fp_ieee_invalid_op 0
		.amdhsa_exception_fp_denorm_src 0
		.amdhsa_exception_fp_ieee_div_zero 0
		.amdhsa_exception_fp_ieee_overflow 0
		.amdhsa_exception_fp_ieee_underflow 0
		.amdhsa_exception_fp_ieee_inexact 0
		.amdhsa_exception_int_div_zero 0
	.end_amdhsa_kernel
	.section	.text._ZN7rocprim17ROCPRIM_400000_NS6detail17trampoline_kernelINS0_14default_configENS1_38merge_sort_block_merge_config_selectorIjN6thrust23THRUST_200600_302600_NS5tupleIffNS6_9null_typeES8_S8_S8_S8_S8_S8_S8_EEEEZZNS1_27merge_sort_block_merge_implIS3_NS6_6detail15normal_iteratorINS6_10device_ptrIjEEEENSD_INSE_IS9_EEEEjNS1_19radix_merge_compareILb0ELb0EjNS0_19identity_decomposerEEEEE10hipError_tT0_T1_T2_jT3_P12ihipStream_tbPNSt15iterator_traitsISN_E10value_typeEPNST_ISO_E10value_typeEPSP_NS1_7vsmem_tEENKUlT_SN_SO_SP_E_clIPjSG_PS9_SI_EESM_S12_SN_SO_SP_EUlS12_E0_NS1_11comp_targetILNS1_3genE9ELNS1_11target_archE1100ELNS1_3gpuE3ELNS1_3repE0EEENS1_38merge_mergepath_config_static_selectorELNS0_4arch9wavefront6targetE0EEEvSO_,"axG",@progbits,_ZN7rocprim17ROCPRIM_400000_NS6detail17trampoline_kernelINS0_14default_configENS1_38merge_sort_block_merge_config_selectorIjN6thrust23THRUST_200600_302600_NS5tupleIffNS6_9null_typeES8_S8_S8_S8_S8_S8_S8_EEEEZZNS1_27merge_sort_block_merge_implIS3_NS6_6detail15normal_iteratorINS6_10device_ptrIjEEEENSD_INSE_IS9_EEEEjNS1_19radix_merge_compareILb0ELb0EjNS0_19identity_decomposerEEEEE10hipError_tT0_T1_T2_jT3_P12ihipStream_tbPNSt15iterator_traitsISN_E10value_typeEPNST_ISO_E10value_typeEPSP_NS1_7vsmem_tEENKUlT_SN_SO_SP_E_clIPjSG_PS9_SI_EESM_S12_SN_SO_SP_EUlS12_E0_NS1_11comp_targetILNS1_3genE9ELNS1_11target_archE1100ELNS1_3gpuE3ELNS1_3repE0EEENS1_38merge_mergepath_config_static_selectorELNS0_4arch9wavefront6targetE0EEEvSO_,comdat
.Lfunc_end39:
	.size	_ZN7rocprim17ROCPRIM_400000_NS6detail17trampoline_kernelINS0_14default_configENS1_38merge_sort_block_merge_config_selectorIjN6thrust23THRUST_200600_302600_NS5tupleIffNS6_9null_typeES8_S8_S8_S8_S8_S8_S8_EEEEZZNS1_27merge_sort_block_merge_implIS3_NS6_6detail15normal_iteratorINS6_10device_ptrIjEEEENSD_INSE_IS9_EEEEjNS1_19radix_merge_compareILb0ELb0EjNS0_19identity_decomposerEEEEE10hipError_tT0_T1_T2_jT3_P12ihipStream_tbPNSt15iterator_traitsISN_E10value_typeEPNST_ISO_E10value_typeEPSP_NS1_7vsmem_tEENKUlT_SN_SO_SP_E_clIPjSG_PS9_SI_EESM_S12_SN_SO_SP_EUlS12_E0_NS1_11comp_targetILNS1_3genE9ELNS1_11target_archE1100ELNS1_3gpuE3ELNS1_3repE0EEENS1_38merge_mergepath_config_static_selectorELNS0_4arch9wavefront6targetE0EEEvSO_, .Lfunc_end39-_ZN7rocprim17ROCPRIM_400000_NS6detail17trampoline_kernelINS0_14default_configENS1_38merge_sort_block_merge_config_selectorIjN6thrust23THRUST_200600_302600_NS5tupleIffNS6_9null_typeES8_S8_S8_S8_S8_S8_S8_EEEEZZNS1_27merge_sort_block_merge_implIS3_NS6_6detail15normal_iteratorINS6_10device_ptrIjEEEENSD_INSE_IS9_EEEEjNS1_19radix_merge_compareILb0ELb0EjNS0_19identity_decomposerEEEEE10hipError_tT0_T1_T2_jT3_P12ihipStream_tbPNSt15iterator_traitsISN_E10value_typeEPNST_ISO_E10value_typeEPSP_NS1_7vsmem_tEENKUlT_SN_SO_SP_E_clIPjSG_PS9_SI_EESM_S12_SN_SO_SP_EUlS12_E0_NS1_11comp_targetILNS1_3genE9ELNS1_11target_archE1100ELNS1_3gpuE3ELNS1_3repE0EEENS1_38merge_mergepath_config_static_selectorELNS0_4arch9wavefront6targetE0EEEvSO_
                                        ; -- End function
	.set _ZN7rocprim17ROCPRIM_400000_NS6detail17trampoline_kernelINS0_14default_configENS1_38merge_sort_block_merge_config_selectorIjN6thrust23THRUST_200600_302600_NS5tupleIffNS6_9null_typeES8_S8_S8_S8_S8_S8_S8_EEEEZZNS1_27merge_sort_block_merge_implIS3_NS6_6detail15normal_iteratorINS6_10device_ptrIjEEEENSD_INSE_IS9_EEEEjNS1_19radix_merge_compareILb0ELb0EjNS0_19identity_decomposerEEEEE10hipError_tT0_T1_T2_jT3_P12ihipStream_tbPNSt15iterator_traitsISN_E10value_typeEPNST_ISO_E10value_typeEPSP_NS1_7vsmem_tEENKUlT_SN_SO_SP_E_clIPjSG_PS9_SI_EESM_S12_SN_SO_SP_EUlS12_E0_NS1_11comp_targetILNS1_3genE9ELNS1_11target_archE1100ELNS1_3gpuE3ELNS1_3repE0EEENS1_38merge_mergepath_config_static_selectorELNS0_4arch9wavefront6targetE0EEEvSO_.num_vgpr, 0
	.set _ZN7rocprim17ROCPRIM_400000_NS6detail17trampoline_kernelINS0_14default_configENS1_38merge_sort_block_merge_config_selectorIjN6thrust23THRUST_200600_302600_NS5tupleIffNS6_9null_typeES8_S8_S8_S8_S8_S8_S8_EEEEZZNS1_27merge_sort_block_merge_implIS3_NS6_6detail15normal_iteratorINS6_10device_ptrIjEEEENSD_INSE_IS9_EEEEjNS1_19radix_merge_compareILb0ELb0EjNS0_19identity_decomposerEEEEE10hipError_tT0_T1_T2_jT3_P12ihipStream_tbPNSt15iterator_traitsISN_E10value_typeEPNST_ISO_E10value_typeEPSP_NS1_7vsmem_tEENKUlT_SN_SO_SP_E_clIPjSG_PS9_SI_EESM_S12_SN_SO_SP_EUlS12_E0_NS1_11comp_targetILNS1_3genE9ELNS1_11target_archE1100ELNS1_3gpuE3ELNS1_3repE0EEENS1_38merge_mergepath_config_static_selectorELNS0_4arch9wavefront6targetE0EEEvSO_.num_agpr, 0
	.set _ZN7rocprim17ROCPRIM_400000_NS6detail17trampoline_kernelINS0_14default_configENS1_38merge_sort_block_merge_config_selectorIjN6thrust23THRUST_200600_302600_NS5tupleIffNS6_9null_typeES8_S8_S8_S8_S8_S8_S8_EEEEZZNS1_27merge_sort_block_merge_implIS3_NS6_6detail15normal_iteratorINS6_10device_ptrIjEEEENSD_INSE_IS9_EEEEjNS1_19radix_merge_compareILb0ELb0EjNS0_19identity_decomposerEEEEE10hipError_tT0_T1_T2_jT3_P12ihipStream_tbPNSt15iterator_traitsISN_E10value_typeEPNST_ISO_E10value_typeEPSP_NS1_7vsmem_tEENKUlT_SN_SO_SP_E_clIPjSG_PS9_SI_EESM_S12_SN_SO_SP_EUlS12_E0_NS1_11comp_targetILNS1_3genE9ELNS1_11target_archE1100ELNS1_3gpuE3ELNS1_3repE0EEENS1_38merge_mergepath_config_static_selectorELNS0_4arch9wavefront6targetE0EEEvSO_.numbered_sgpr, 0
	.set _ZN7rocprim17ROCPRIM_400000_NS6detail17trampoline_kernelINS0_14default_configENS1_38merge_sort_block_merge_config_selectorIjN6thrust23THRUST_200600_302600_NS5tupleIffNS6_9null_typeES8_S8_S8_S8_S8_S8_S8_EEEEZZNS1_27merge_sort_block_merge_implIS3_NS6_6detail15normal_iteratorINS6_10device_ptrIjEEEENSD_INSE_IS9_EEEEjNS1_19radix_merge_compareILb0ELb0EjNS0_19identity_decomposerEEEEE10hipError_tT0_T1_T2_jT3_P12ihipStream_tbPNSt15iterator_traitsISN_E10value_typeEPNST_ISO_E10value_typeEPSP_NS1_7vsmem_tEENKUlT_SN_SO_SP_E_clIPjSG_PS9_SI_EESM_S12_SN_SO_SP_EUlS12_E0_NS1_11comp_targetILNS1_3genE9ELNS1_11target_archE1100ELNS1_3gpuE3ELNS1_3repE0EEENS1_38merge_mergepath_config_static_selectorELNS0_4arch9wavefront6targetE0EEEvSO_.num_named_barrier, 0
	.set _ZN7rocprim17ROCPRIM_400000_NS6detail17trampoline_kernelINS0_14default_configENS1_38merge_sort_block_merge_config_selectorIjN6thrust23THRUST_200600_302600_NS5tupleIffNS6_9null_typeES8_S8_S8_S8_S8_S8_S8_EEEEZZNS1_27merge_sort_block_merge_implIS3_NS6_6detail15normal_iteratorINS6_10device_ptrIjEEEENSD_INSE_IS9_EEEEjNS1_19radix_merge_compareILb0ELb0EjNS0_19identity_decomposerEEEEE10hipError_tT0_T1_T2_jT3_P12ihipStream_tbPNSt15iterator_traitsISN_E10value_typeEPNST_ISO_E10value_typeEPSP_NS1_7vsmem_tEENKUlT_SN_SO_SP_E_clIPjSG_PS9_SI_EESM_S12_SN_SO_SP_EUlS12_E0_NS1_11comp_targetILNS1_3genE9ELNS1_11target_archE1100ELNS1_3gpuE3ELNS1_3repE0EEENS1_38merge_mergepath_config_static_selectorELNS0_4arch9wavefront6targetE0EEEvSO_.private_seg_size, 0
	.set _ZN7rocprim17ROCPRIM_400000_NS6detail17trampoline_kernelINS0_14default_configENS1_38merge_sort_block_merge_config_selectorIjN6thrust23THRUST_200600_302600_NS5tupleIffNS6_9null_typeES8_S8_S8_S8_S8_S8_S8_EEEEZZNS1_27merge_sort_block_merge_implIS3_NS6_6detail15normal_iteratorINS6_10device_ptrIjEEEENSD_INSE_IS9_EEEEjNS1_19radix_merge_compareILb0ELb0EjNS0_19identity_decomposerEEEEE10hipError_tT0_T1_T2_jT3_P12ihipStream_tbPNSt15iterator_traitsISN_E10value_typeEPNST_ISO_E10value_typeEPSP_NS1_7vsmem_tEENKUlT_SN_SO_SP_E_clIPjSG_PS9_SI_EESM_S12_SN_SO_SP_EUlS12_E0_NS1_11comp_targetILNS1_3genE9ELNS1_11target_archE1100ELNS1_3gpuE3ELNS1_3repE0EEENS1_38merge_mergepath_config_static_selectorELNS0_4arch9wavefront6targetE0EEEvSO_.uses_vcc, 0
	.set _ZN7rocprim17ROCPRIM_400000_NS6detail17trampoline_kernelINS0_14default_configENS1_38merge_sort_block_merge_config_selectorIjN6thrust23THRUST_200600_302600_NS5tupleIffNS6_9null_typeES8_S8_S8_S8_S8_S8_S8_EEEEZZNS1_27merge_sort_block_merge_implIS3_NS6_6detail15normal_iteratorINS6_10device_ptrIjEEEENSD_INSE_IS9_EEEEjNS1_19radix_merge_compareILb0ELb0EjNS0_19identity_decomposerEEEEE10hipError_tT0_T1_T2_jT3_P12ihipStream_tbPNSt15iterator_traitsISN_E10value_typeEPNST_ISO_E10value_typeEPSP_NS1_7vsmem_tEENKUlT_SN_SO_SP_E_clIPjSG_PS9_SI_EESM_S12_SN_SO_SP_EUlS12_E0_NS1_11comp_targetILNS1_3genE9ELNS1_11target_archE1100ELNS1_3gpuE3ELNS1_3repE0EEENS1_38merge_mergepath_config_static_selectorELNS0_4arch9wavefront6targetE0EEEvSO_.uses_flat_scratch, 0
	.set _ZN7rocprim17ROCPRIM_400000_NS6detail17trampoline_kernelINS0_14default_configENS1_38merge_sort_block_merge_config_selectorIjN6thrust23THRUST_200600_302600_NS5tupleIffNS6_9null_typeES8_S8_S8_S8_S8_S8_S8_EEEEZZNS1_27merge_sort_block_merge_implIS3_NS6_6detail15normal_iteratorINS6_10device_ptrIjEEEENSD_INSE_IS9_EEEEjNS1_19radix_merge_compareILb0ELb0EjNS0_19identity_decomposerEEEEE10hipError_tT0_T1_T2_jT3_P12ihipStream_tbPNSt15iterator_traitsISN_E10value_typeEPNST_ISO_E10value_typeEPSP_NS1_7vsmem_tEENKUlT_SN_SO_SP_E_clIPjSG_PS9_SI_EESM_S12_SN_SO_SP_EUlS12_E0_NS1_11comp_targetILNS1_3genE9ELNS1_11target_archE1100ELNS1_3gpuE3ELNS1_3repE0EEENS1_38merge_mergepath_config_static_selectorELNS0_4arch9wavefront6targetE0EEEvSO_.has_dyn_sized_stack, 0
	.set _ZN7rocprim17ROCPRIM_400000_NS6detail17trampoline_kernelINS0_14default_configENS1_38merge_sort_block_merge_config_selectorIjN6thrust23THRUST_200600_302600_NS5tupleIffNS6_9null_typeES8_S8_S8_S8_S8_S8_S8_EEEEZZNS1_27merge_sort_block_merge_implIS3_NS6_6detail15normal_iteratorINS6_10device_ptrIjEEEENSD_INSE_IS9_EEEEjNS1_19radix_merge_compareILb0ELb0EjNS0_19identity_decomposerEEEEE10hipError_tT0_T1_T2_jT3_P12ihipStream_tbPNSt15iterator_traitsISN_E10value_typeEPNST_ISO_E10value_typeEPSP_NS1_7vsmem_tEENKUlT_SN_SO_SP_E_clIPjSG_PS9_SI_EESM_S12_SN_SO_SP_EUlS12_E0_NS1_11comp_targetILNS1_3genE9ELNS1_11target_archE1100ELNS1_3gpuE3ELNS1_3repE0EEENS1_38merge_mergepath_config_static_selectorELNS0_4arch9wavefront6targetE0EEEvSO_.has_recursion, 0
	.set _ZN7rocprim17ROCPRIM_400000_NS6detail17trampoline_kernelINS0_14default_configENS1_38merge_sort_block_merge_config_selectorIjN6thrust23THRUST_200600_302600_NS5tupleIffNS6_9null_typeES8_S8_S8_S8_S8_S8_S8_EEEEZZNS1_27merge_sort_block_merge_implIS3_NS6_6detail15normal_iteratorINS6_10device_ptrIjEEEENSD_INSE_IS9_EEEEjNS1_19radix_merge_compareILb0ELb0EjNS0_19identity_decomposerEEEEE10hipError_tT0_T1_T2_jT3_P12ihipStream_tbPNSt15iterator_traitsISN_E10value_typeEPNST_ISO_E10value_typeEPSP_NS1_7vsmem_tEENKUlT_SN_SO_SP_E_clIPjSG_PS9_SI_EESM_S12_SN_SO_SP_EUlS12_E0_NS1_11comp_targetILNS1_3genE9ELNS1_11target_archE1100ELNS1_3gpuE3ELNS1_3repE0EEENS1_38merge_mergepath_config_static_selectorELNS0_4arch9wavefront6targetE0EEEvSO_.has_indirect_call, 0
	.section	.AMDGPU.csdata,"",@progbits
; Kernel info:
; codeLenInByte = 0
; TotalNumSgprs: 0
; NumVgprs: 0
; ScratchSize: 0
; MemoryBound: 0
; FloatMode: 240
; IeeeMode: 1
; LDSByteSize: 0 bytes/workgroup (compile time only)
; SGPRBlocks: 0
; VGPRBlocks: 0
; NumSGPRsForWavesPerEU: 1
; NumVGPRsForWavesPerEU: 1
; Occupancy: 16
; WaveLimiterHint : 0
; COMPUTE_PGM_RSRC2:SCRATCH_EN: 0
; COMPUTE_PGM_RSRC2:USER_SGPR: 2
; COMPUTE_PGM_RSRC2:TRAP_HANDLER: 0
; COMPUTE_PGM_RSRC2:TGID_X_EN: 1
; COMPUTE_PGM_RSRC2:TGID_Y_EN: 0
; COMPUTE_PGM_RSRC2:TGID_Z_EN: 0
; COMPUTE_PGM_RSRC2:TIDIG_COMP_CNT: 0
	.section	.text._ZN7rocprim17ROCPRIM_400000_NS6detail17trampoline_kernelINS0_14default_configENS1_38merge_sort_block_merge_config_selectorIjN6thrust23THRUST_200600_302600_NS5tupleIffNS6_9null_typeES8_S8_S8_S8_S8_S8_S8_EEEEZZNS1_27merge_sort_block_merge_implIS3_NS6_6detail15normal_iteratorINS6_10device_ptrIjEEEENSD_INSE_IS9_EEEEjNS1_19radix_merge_compareILb0ELb0EjNS0_19identity_decomposerEEEEE10hipError_tT0_T1_T2_jT3_P12ihipStream_tbPNSt15iterator_traitsISN_E10value_typeEPNST_ISO_E10value_typeEPSP_NS1_7vsmem_tEENKUlT_SN_SO_SP_E_clIPjSG_PS9_SI_EESM_S12_SN_SO_SP_EUlS12_E0_NS1_11comp_targetILNS1_3genE8ELNS1_11target_archE1030ELNS1_3gpuE2ELNS1_3repE0EEENS1_38merge_mergepath_config_static_selectorELNS0_4arch9wavefront6targetE0EEEvSO_,"axG",@progbits,_ZN7rocprim17ROCPRIM_400000_NS6detail17trampoline_kernelINS0_14default_configENS1_38merge_sort_block_merge_config_selectorIjN6thrust23THRUST_200600_302600_NS5tupleIffNS6_9null_typeES8_S8_S8_S8_S8_S8_S8_EEEEZZNS1_27merge_sort_block_merge_implIS3_NS6_6detail15normal_iteratorINS6_10device_ptrIjEEEENSD_INSE_IS9_EEEEjNS1_19radix_merge_compareILb0ELb0EjNS0_19identity_decomposerEEEEE10hipError_tT0_T1_T2_jT3_P12ihipStream_tbPNSt15iterator_traitsISN_E10value_typeEPNST_ISO_E10value_typeEPSP_NS1_7vsmem_tEENKUlT_SN_SO_SP_E_clIPjSG_PS9_SI_EESM_S12_SN_SO_SP_EUlS12_E0_NS1_11comp_targetILNS1_3genE8ELNS1_11target_archE1030ELNS1_3gpuE2ELNS1_3repE0EEENS1_38merge_mergepath_config_static_selectorELNS0_4arch9wavefront6targetE0EEEvSO_,comdat
	.protected	_ZN7rocprim17ROCPRIM_400000_NS6detail17trampoline_kernelINS0_14default_configENS1_38merge_sort_block_merge_config_selectorIjN6thrust23THRUST_200600_302600_NS5tupleIffNS6_9null_typeES8_S8_S8_S8_S8_S8_S8_EEEEZZNS1_27merge_sort_block_merge_implIS3_NS6_6detail15normal_iteratorINS6_10device_ptrIjEEEENSD_INSE_IS9_EEEEjNS1_19radix_merge_compareILb0ELb0EjNS0_19identity_decomposerEEEEE10hipError_tT0_T1_T2_jT3_P12ihipStream_tbPNSt15iterator_traitsISN_E10value_typeEPNST_ISO_E10value_typeEPSP_NS1_7vsmem_tEENKUlT_SN_SO_SP_E_clIPjSG_PS9_SI_EESM_S12_SN_SO_SP_EUlS12_E0_NS1_11comp_targetILNS1_3genE8ELNS1_11target_archE1030ELNS1_3gpuE2ELNS1_3repE0EEENS1_38merge_mergepath_config_static_selectorELNS0_4arch9wavefront6targetE0EEEvSO_ ; -- Begin function _ZN7rocprim17ROCPRIM_400000_NS6detail17trampoline_kernelINS0_14default_configENS1_38merge_sort_block_merge_config_selectorIjN6thrust23THRUST_200600_302600_NS5tupleIffNS6_9null_typeES8_S8_S8_S8_S8_S8_S8_EEEEZZNS1_27merge_sort_block_merge_implIS3_NS6_6detail15normal_iteratorINS6_10device_ptrIjEEEENSD_INSE_IS9_EEEEjNS1_19radix_merge_compareILb0ELb0EjNS0_19identity_decomposerEEEEE10hipError_tT0_T1_T2_jT3_P12ihipStream_tbPNSt15iterator_traitsISN_E10value_typeEPNST_ISO_E10value_typeEPSP_NS1_7vsmem_tEENKUlT_SN_SO_SP_E_clIPjSG_PS9_SI_EESM_S12_SN_SO_SP_EUlS12_E0_NS1_11comp_targetILNS1_3genE8ELNS1_11target_archE1030ELNS1_3gpuE2ELNS1_3repE0EEENS1_38merge_mergepath_config_static_selectorELNS0_4arch9wavefront6targetE0EEEvSO_
	.globl	_ZN7rocprim17ROCPRIM_400000_NS6detail17trampoline_kernelINS0_14default_configENS1_38merge_sort_block_merge_config_selectorIjN6thrust23THRUST_200600_302600_NS5tupleIffNS6_9null_typeES8_S8_S8_S8_S8_S8_S8_EEEEZZNS1_27merge_sort_block_merge_implIS3_NS6_6detail15normal_iteratorINS6_10device_ptrIjEEEENSD_INSE_IS9_EEEEjNS1_19radix_merge_compareILb0ELb0EjNS0_19identity_decomposerEEEEE10hipError_tT0_T1_T2_jT3_P12ihipStream_tbPNSt15iterator_traitsISN_E10value_typeEPNST_ISO_E10value_typeEPSP_NS1_7vsmem_tEENKUlT_SN_SO_SP_E_clIPjSG_PS9_SI_EESM_S12_SN_SO_SP_EUlS12_E0_NS1_11comp_targetILNS1_3genE8ELNS1_11target_archE1030ELNS1_3gpuE2ELNS1_3repE0EEENS1_38merge_mergepath_config_static_selectorELNS0_4arch9wavefront6targetE0EEEvSO_
	.p2align	8
	.type	_ZN7rocprim17ROCPRIM_400000_NS6detail17trampoline_kernelINS0_14default_configENS1_38merge_sort_block_merge_config_selectorIjN6thrust23THRUST_200600_302600_NS5tupleIffNS6_9null_typeES8_S8_S8_S8_S8_S8_S8_EEEEZZNS1_27merge_sort_block_merge_implIS3_NS6_6detail15normal_iteratorINS6_10device_ptrIjEEEENSD_INSE_IS9_EEEEjNS1_19radix_merge_compareILb0ELb0EjNS0_19identity_decomposerEEEEE10hipError_tT0_T1_T2_jT3_P12ihipStream_tbPNSt15iterator_traitsISN_E10value_typeEPNST_ISO_E10value_typeEPSP_NS1_7vsmem_tEENKUlT_SN_SO_SP_E_clIPjSG_PS9_SI_EESM_S12_SN_SO_SP_EUlS12_E0_NS1_11comp_targetILNS1_3genE8ELNS1_11target_archE1030ELNS1_3gpuE2ELNS1_3repE0EEENS1_38merge_mergepath_config_static_selectorELNS0_4arch9wavefront6targetE0EEEvSO_,@function
_ZN7rocprim17ROCPRIM_400000_NS6detail17trampoline_kernelINS0_14default_configENS1_38merge_sort_block_merge_config_selectorIjN6thrust23THRUST_200600_302600_NS5tupleIffNS6_9null_typeES8_S8_S8_S8_S8_S8_S8_EEEEZZNS1_27merge_sort_block_merge_implIS3_NS6_6detail15normal_iteratorINS6_10device_ptrIjEEEENSD_INSE_IS9_EEEEjNS1_19radix_merge_compareILb0ELb0EjNS0_19identity_decomposerEEEEE10hipError_tT0_T1_T2_jT3_P12ihipStream_tbPNSt15iterator_traitsISN_E10value_typeEPNST_ISO_E10value_typeEPSP_NS1_7vsmem_tEENKUlT_SN_SO_SP_E_clIPjSG_PS9_SI_EESM_S12_SN_SO_SP_EUlS12_E0_NS1_11comp_targetILNS1_3genE8ELNS1_11target_archE1030ELNS1_3gpuE2ELNS1_3repE0EEENS1_38merge_mergepath_config_static_selectorELNS0_4arch9wavefront6targetE0EEEvSO_: ; @_ZN7rocprim17ROCPRIM_400000_NS6detail17trampoline_kernelINS0_14default_configENS1_38merge_sort_block_merge_config_selectorIjN6thrust23THRUST_200600_302600_NS5tupleIffNS6_9null_typeES8_S8_S8_S8_S8_S8_S8_EEEEZZNS1_27merge_sort_block_merge_implIS3_NS6_6detail15normal_iteratorINS6_10device_ptrIjEEEENSD_INSE_IS9_EEEEjNS1_19radix_merge_compareILb0ELb0EjNS0_19identity_decomposerEEEEE10hipError_tT0_T1_T2_jT3_P12ihipStream_tbPNSt15iterator_traitsISN_E10value_typeEPNST_ISO_E10value_typeEPSP_NS1_7vsmem_tEENKUlT_SN_SO_SP_E_clIPjSG_PS9_SI_EESM_S12_SN_SO_SP_EUlS12_E0_NS1_11comp_targetILNS1_3genE8ELNS1_11target_archE1030ELNS1_3gpuE2ELNS1_3repE0EEENS1_38merge_mergepath_config_static_selectorELNS0_4arch9wavefront6targetE0EEEvSO_
; %bb.0:
	.section	.rodata,"a",@progbits
	.p2align	6, 0x0
	.amdhsa_kernel _ZN7rocprim17ROCPRIM_400000_NS6detail17trampoline_kernelINS0_14default_configENS1_38merge_sort_block_merge_config_selectorIjN6thrust23THRUST_200600_302600_NS5tupleIffNS6_9null_typeES8_S8_S8_S8_S8_S8_S8_EEEEZZNS1_27merge_sort_block_merge_implIS3_NS6_6detail15normal_iteratorINS6_10device_ptrIjEEEENSD_INSE_IS9_EEEEjNS1_19radix_merge_compareILb0ELb0EjNS0_19identity_decomposerEEEEE10hipError_tT0_T1_T2_jT3_P12ihipStream_tbPNSt15iterator_traitsISN_E10value_typeEPNST_ISO_E10value_typeEPSP_NS1_7vsmem_tEENKUlT_SN_SO_SP_E_clIPjSG_PS9_SI_EESM_S12_SN_SO_SP_EUlS12_E0_NS1_11comp_targetILNS1_3genE8ELNS1_11target_archE1030ELNS1_3gpuE2ELNS1_3repE0EEENS1_38merge_mergepath_config_static_selectorELNS0_4arch9wavefront6targetE0EEEvSO_
		.amdhsa_group_segment_fixed_size 0
		.amdhsa_private_segment_fixed_size 0
		.amdhsa_kernarg_size 64
		.amdhsa_user_sgpr_count 2
		.amdhsa_user_sgpr_dispatch_ptr 0
		.amdhsa_user_sgpr_queue_ptr 0
		.amdhsa_user_sgpr_kernarg_segment_ptr 1
		.amdhsa_user_sgpr_dispatch_id 0
		.amdhsa_user_sgpr_private_segment_size 0
		.amdhsa_wavefront_size32 1
		.amdhsa_uses_dynamic_stack 0
		.amdhsa_enable_private_segment 0
		.amdhsa_system_sgpr_workgroup_id_x 1
		.amdhsa_system_sgpr_workgroup_id_y 0
		.amdhsa_system_sgpr_workgroup_id_z 0
		.amdhsa_system_sgpr_workgroup_info 0
		.amdhsa_system_vgpr_workitem_id 0
		.amdhsa_next_free_vgpr 1
		.amdhsa_next_free_sgpr 1
		.amdhsa_reserve_vcc 0
		.amdhsa_float_round_mode_32 0
		.amdhsa_float_round_mode_16_64 0
		.amdhsa_float_denorm_mode_32 3
		.amdhsa_float_denorm_mode_16_64 3
		.amdhsa_fp16_overflow 0
		.amdhsa_workgroup_processor_mode 1
		.amdhsa_memory_ordered 1
		.amdhsa_forward_progress 1
		.amdhsa_inst_pref_size 0
		.amdhsa_round_robin_scheduling 0
		.amdhsa_exception_fp_ieee_invalid_op 0
		.amdhsa_exception_fp_denorm_src 0
		.amdhsa_exception_fp_ieee_div_zero 0
		.amdhsa_exception_fp_ieee_overflow 0
		.amdhsa_exception_fp_ieee_underflow 0
		.amdhsa_exception_fp_ieee_inexact 0
		.amdhsa_exception_int_div_zero 0
	.end_amdhsa_kernel
	.section	.text._ZN7rocprim17ROCPRIM_400000_NS6detail17trampoline_kernelINS0_14default_configENS1_38merge_sort_block_merge_config_selectorIjN6thrust23THRUST_200600_302600_NS5tupleIffNS6_9null_typeES8_S8_S8_S8_S8_S8_S8_EEEEZZNS1_27merge_sort_block_merge_implIS3_NS6_6detail15normal_iteratorINS6_10device_ptrIjEEEENSD_INSE_IS9_EEEEjNS1_19radix_merge_compareILb0ELb0EjNS0_19identity_decomposerEEEEE10hipError_tT0_T1_T2_jT3_P12ihipStream_tbPNSt15iterator_traitsISN_E10value_typeEPNST_ISO_E10value_typeEPSP_NS1_7vsmem_tEENKUlT_SN_SO_SP_E_clIPjSG_PS9_SI_EESM_S12_SN_SO_SP_EUlS12_E0_NS1_11comp_targetILNS1_3genE8ELNS1_11target_archE1030ELNS1_3gpuE2ELNS1_3repE0EEENS1_38merge_mergepath_config_static_selectorELNS0_4arch9wavefront6targetE0EEEvSO_,"axG",@progbits,_ZN7rocprim17ROCPRIM_400000_NS6detail17trampoline_kernelINS0_14default_configENS1_38merge_sort_block_merge_config_selectorIjN6thrust23THRUST_200600_302600_NS5tupleIffNS6_9null_typeES8_S8_S8_S8_S8_S8_S8_EEEEZZNS1_27merge_sort_block_merge_implIS3_NS6_6detail15normal_iteratorINS6_10device_ptrIjEEEENSD_INSE_IS9_EEEEjNS1_19radix_merge_compareILb0ELb0EjNS0_19identity_decomposerEEEEE10hipError_tT0_T1_T2_jT3_P12ihipStream_tbPNSt15iterator_traitsISN_E10value_typeEPNST_ISO_E10value_typeEPSP_NS1_7vsmem_tEENKUlT_SN_SO_SP_E_clIPjSG_PS9_SI_EESM_S12_SN_SO_SP_EUlS12_E0_NS1_11comp_targetILNS1_3genE8ELNS1_11target_archE1030ELNS1_3gpuE2ELNS1_3repE0EEENS1_38merge_mergepath_config_static_selectorELNS0_4arch9wavefront6targetE0EEEvSO_,comdat
.Lfunc_end40:
	.size	_ZN7rocprim17ROCPRIM_400000_NS6detail17trampoline_kernelINS0_14default_configENS1_38merge_sort_block_merge_config_selectorIjN6thrust23THRUST_200600_302600_NS5tupleIffNS6_9null_typeES8_S8_S8_S8_S8_S8_S8_EEEEZZNS1_27merge_sort_block_merge_implIS3_NS6_6detail15normal_iteratorINS6_10device_ptrIjEEEENSD_INSE_IS9_EEEEjNS1_19radix_merge_compareILb0ELb0EjNS0_19identity_decomposerEEEEE10hipError_tT0_T1_T2_jT3_P12ihipStream_tbPNSt15iterator_traitsISN_E10value_typeEPNST_ISO_E10value_typeEPSP_NS1_7vsmem_tEENKUlT_SN_SO_SP_E_clIPjSG_PS9_SI_EESM_S12_SN_SO_SP_EUlS12_E0_NS1_11comp_targetILNS1_3genE8ELNS1_11target_archE1030ELNS1_3gpuE2ELNS1_3repE0EEENS1_38merge_mergepath_config_static_selectorELNS0_4arch9wavefront6targetE0EEEvSO_, .Lfunc_end40-_ZN7rocprim17ROCPRIM_400000_NS6detail17trampoline_kernelINS0_14default_configENS1_38merge_sort_block_merge_config_selectorIjN6thrust23THRUST_200600_302600_NS5tupleIffNS6_9null_typeES8_S8_S8_S8_S8_S8_S8_EEEEZZNS1_27merge_sort_block_merge_implIS3_NS6_6detail15normal_iteratorINS6_10device_ptrIjEEEENSD_INSE_IS9_EEEEjNS1_19radix_merge_compareILb0ELb0EjNS0_19identity_decomposerEEEEE10hipError_tT0_T1_T2_jT3_P12ihipStream_tbPNSt15iterator_traitsISN_E10value_typeEPNST_ISO_E10value_typeEPSP_NS1_7vsmem_tEENKUlT_SN_SO_SP_E_clIPjSG_PS9_SI_EESM_S12_SN_SO_SP_EUlS12_E0_NS1_11comp_targetILNS1_3genE8ELNS1_11target_archE1030ELNS1_3gpuE2ELNS1_3repE0EEENS1_38merge_mergepath_config_static_selectorELNS0_4arch9wavefront6targetE0EEEvSO_
                                        ; -- End function
	.set _ZN7rocprim17ROCPRIM_400000_NS6detail17trampoline_kernelINS0_14default_configENS1_38merge_sort_block_merge_config_selectorIjN6thrust23THRUST_200600_302600_NS5tupleIffNS6_9null_typeES8_S8_S8_S8_S8_S8_S8_EEEEZZNS1_27merge_sort_block_merge_implIS3_NS6_6detail15normal_iteratorINS6_10device_ptrIjEEEENSD_INSE_IS9_EEEEjNS1_19radix_merge_compareILb0ELb0EjNS0_19identity_decomposerEEEEE10hipError_tT0_T1_T2_jT3_P12ihipStream_tbPNSt15iterator_traitsISN_E10value_typeEPNST_ISO_E10value_typeEPSP_NS1_7vsmem_tEENKUlT_SN_SO_SP_E_clIPjSG_PS9_SI_EESM_S12_SN_SO_SP_EUlS12_E0_NS1_11comp_targetILNS1_3genE8ELNS1_11target_archE1030ELNS1_3gpuE2ELNS1_3repE0EEENS1_38merge_mergepath_config_static_selectorELNS0_4arch9wavefront6targetE0EEEvSO_.num_vgpr, 0
	.set _ZN7rocprim17ROCPRIM_400000_NS6detail17trampoline_kernelINS0_14default_configENS1_38merge_sort_block_merge_config_selectorIjN6thrust23THRUST_200600_302600_NS5tupleIffNS6_9null_typeES8_S8_S8_S8_S8_S8_S8_EEEEZZNS1_27merge_sort_block_merge_implIS3_NS6_6detail15normal_iteratorINS6_10device_ptrIjEEEENSD_INSE_IS9_EEEEjNS1_19radix_merge_compareILb0ELb0EjNS0_19identity_decomposerEEEEE10hipError_tT0_T1_T2_jT3_P12ihipStream_tbPNSt15iterator_traitsISN_E10value_typeEPNST_ISO_E10value_typeEPSP_NS1_7vsmem_tEENKUlT_SN_SO_SP_E_clIPjSG_PS9_SI_EESM_S12_SN_SO_SP_EUlS12_E0_NS1_11comp_targetILNS1_3genE8ELNS1_11target_archE1030ELNS1_3gpuE2ELNS1_3repE0EEENS1_38merge_mergepath_config_static_selectorELNS0_4arch9wavefront6targetE0EEEvSO_.num_agpr, 0
	.set _ZN7rocprim17ROCPRIM_400000_NS6detail17trampoline_kernelINS0_14default_configENS1_38merge_sort_block_merge_config_selectorIjN6thrust23THRUST_200600_302600_NS5tupleIffNS6_9null_typeES8_S8_S8_S8_S8_S8_S8_EEEEZZNS1_27merge_sort_block_merge_implIS3_NS6_6detail15normal_iteratorINS6_10device_ptrIjEEEENSD_INSE_IS9_EEEEjNS1_19radix_merge_compareILb0ELb0EjNS0_19identity_decomposerEEEEE10hipError_tT0_T1_T2_jT3_P12ihipStream_tbPNSt15iterator_traitsISN_E10value_typeEPNST_ISO_E10value_typeEPSP_NS1_7vsmem_tEENKUlT_SN_SO_SP_E_clIPjSG_PS9_SI_EESM_S12_SN_SO_SP_EUlS12_E0_NS1_11comp_targetILNS1_3genE8ELNS1_11target_archE1030ELNS1_3gpuE2ELNS1_3repE0EEENS1_38merge_mergepath_config_static_selectorELNS0_4arch9wavefront6targetE0EEEvSO_.numbered_sgpr, 0
	.set _ZN7rocprim17ROCPRIM_400000_NS6detail17trampoline_kernelINS0_14default_configENS1_38merge_sort_block_merge_config_selectorIjN6thrust23THRUST_200600_302600_NS5tupleIffNS6_9null_typeES8_S8_S8_S8_S8_S8_S8_EEEEZZNS1_27merge_sort_block_merge_implIS3_NS6_6detail15normal_iteratorINS6_10device_ptrIjEEEENSD_INSE_IS9_EEEEjNS1_19radix_merge_compareILb0ELb0EjNS0_19identity_decomposerEEEEE10hipError_tT0_T1_T2_jT3_P12ihipStream_tbPNSt15iterator_traitsISN_E10value_typeEPNST_ISO_E10value_typeEPSP_NS1_7vsmem_tEENKUlT_SN_SO_SP_E_clIPjSG_PS9_SI_EESM_S12_SN_SO_SP_EUlS12_E0_NS1_11comp_targetILNS1_3genE8ELNS1_11target_archE1030ELNS1_3gpuE2ELNS1_3repE0EEENS1_38merge_mergepath_config_static_selectorELNS0_4arch9wavefront6targetE0EEEvSO_.num_named_barrier, 0
	.set _ZN7rocprim17ROCPRIM_400000_NS6detail17trampoline_kernelINS0_14default_configENS1_38merge_sort_block_merge_config_selectorIjN6thrust23THRUST_200600_302600_NS5tupleIffNS6_9null_typeES8_S8_S8_S8_S8_S8_S8_EEEEZZNS1_27merge_sort_block_merge_implIS3_NS6_6detail15normal_iteratorINS6_10device_ptrIjEEEENSD_INSE_IS9_EEEEjNS1_19radix_merge_compareILb0ELb0EjNS0_19identity_decomposerEEEEE10hipError_tT0_T1_T2_jT3_P12ihipStream_tbPNSt15iterator_traitsISN_E10value_typeEPNST_ISO_E10value_typeEPSP_NS1_7vsmem_tEENKUlT_SN_SO_SP_E_clIPjSG_PS9_SI_EESM_S12_SN_SO_SP_EUlS12_E0_NS1_11comp_targetILNS1_3genE8ELNS1_11target_archE1030ELNS1_3gpuE2ELNS1_3repE0EEENS1_38merge_mergepath_config_static_selectorELNS0_4arch9wavefront6targetE0EEEvSO_.private_seg_size, 0
	.set _ZN7rocprim17ROCPRIM_400000_NS6detail17trampoline_kernelINS0_14default_configENS1_38merge_sort_block_merge_config_selectorIjN6thrust23THRUST_200600_302600_NS5tupleIffNS6_9null_typeES8_S8_S8_S8_S8_S8_S8_EEEEZZNS1_27merge_sort_block_merge_implIS3_NS6_6detail15normal_iteratorINS6_10device_ptrIjEEEENSD_INSE_IS9_EEEEjNS1_19radix_merge_compareILb0ELb0EjNS0_19identity_decomposerEEEEE10hipError_tT0_T1_T2_jT3_P12ihipStream_tbPNSt15iterator_traitsISN_E10value_typeEPNST_ISO_E10value_typeEPSP_NS1_7vsmem_tEENKUlT_SN_SO_SP_E_clIPjSG_PS9_SI_EESM_S12_SN_SO_SP_EUlS12_E0_NS1_11comp_targetILNS1_3genE8ELNS1_11target_archE1030ELNS1_3gpuE2ELNS1_3repE0EEENS1_38merge_mergepath_config_static_selectorELNS0_4arch9wavefront6targetE0EEEvSO_.uses_vcc, 0
	.set _ZN7rocprim17ROCPRIM_400000_NS6detail17trampoline_kernelINS0_14default_configENS1_38merge_sort_block_merge_config_selectorIjN6thrust23THRUST_200600_302600_NS5tupleIffNS6_9null_typeES8_S8_S8_S8_S8_S8_S8_EEEEZZNS1_27merge_sort_block_merge_implIS3_NS6_6detail15normal_iteratorINS6_10device_ptrIjEEEENSD_INSE_IS9_EEEEjNS1_19radix_merge_compareILb0ELb0EjNS0_19identity_decomposerEEEEE10hipError_tT0_T1_T2_jT3_P12ihipStream_tbPNSt15iterator_traitsISN_E10value_typeEPNST_ISO_E10value_typeEPSP_NS1_7vsmem_tEENKUlT_SN_SO_SP_E_clIPjSG_PS9_SI_EESM_S12_SN_SO_SP_EUlS12_E0_NS1_11comp_targetILNS1_3genE8ELNS1_11target_archE1030ELNS1_3gpuE2ELNS1_3repE0EEENS1_38merge_mergepath_config_static_selectorELNS0_4arch9wavefront6targetE0EEEvSO_.uses_flat_scratch, 0
	.set _ZN7rocprim17ROCPRIM_400000_NS6detail17trampoline_kernelINS0_14default_configENS1_38merge_sort_block_merge_config_selectorIjN6thrust23THRUST_200600_302600_NS5tupleIffNS6_9null_typeES8_S8_S8_S8_S8_S8_S8_EEEEZZNS1_27merge_sort_block_merge_implIS3_NS6_6detail15normal_iteratorINS6_10device_ptrIjEEEENSD_INSE_IS9_EEEEjNS1_19radix_merge_compareILb0ELb0EjNS0_19identity_decomposerEEEEE10hipError_tT0_T1_T2_jT3_P12ihipStream_tbPNSt15iterator_traitsISN_E10value_typeEPNST_ISO_E10value_typeEPSP_NS1_7vsmem_tEENKUlT_SN_SO_SP_E_clIPjSG_PS9_SI_EESM_S12_SN_SO_SP_EUlS12_E0_NS1_11comp_targetILNS1_3genE8ELNS1_11target_archE1030ELNS1_3gpuE2ELNS1_3repE0EEENS1_38merge_mergepath_config_static_selectorELNS0_4arch9wavefront6targetE0EEEvSO_.has_dyn_sized_stack, 0
	.set _ZN7rocprim17ROCPRIM_400000_NS6detail17trampoline_kernelINS0_14default_configENS1_38merge_sort_block_merge_config_selectorIjN6thrust23THRUST_200600_302600_NS5tupleIffNS6_9null_typeES8_S8_S8_S8_S8_S8_S8_EEEEZZNS1_27merge_sort_block_merge_implIS3_NS6_6detail15normal_iteratorINS6_10device_ptrIjEEEENSD_INSE_IS9_EEEEjNS1_19radix_merge_compareILb0ELb0EjNS0_19identity_decomposerEEEEE10hipError_tT0_T1_T2_jT3_P12ihipStream_tbPNSt15iterator_traitsISN_E10value_typeEPNST_ISO_E10value_typeEPSP_NS1_7vsmem_tEENKUlT_SN_SO_SP_E_clIPjSG_PS9_SI_EESM_S12_SN_SO_SP_EUlS12_E0_NS1_11comp_targetILNS1_3genE8ELNS1_11target_archE1030ELNS1_3gpuE2ELNS1_3repE0EEENS1_38merge_mergepath_config_static_selectorELNS0_4arch9wavefront6targetE0EEEvSO_.has_recursion, 0
	.set _ZN7rocprim17ROCPRIM_400000_NS6detail17trampoline_kernelINS0_14default_configENS1_38merge_sort_block_merge_config_selectorIjN6thrust23THRUST_200600_302600_NS5tupleIffNS6_9null_typeES8_S8_S8_S8_S8_S8_S8_EEEEZZNS1_27merge_sort_block_merge_implIS3_NS6_6detail15normal_iteratorINS6_10device_ptrIjEEEENSD_INSE_IS9_EEEEjNS1_19radix_merge_compareILb0ELb0EjNS0_19identity_decomposerEEEEE10hipError_tT0_T1_T2_jT3_P12ihipStream_tbPNSt15iterator_traitsISN_E10value_typeEPNST_ISO_E10value_typeEPSP_NS1_7vsmem_tEENKUlT_SN_SO_SP_E_clIPjSG_PS9_SI_EESM_S12_SN_SO_SP_EUlS12_E0_NS1_11comp_targetILNS1_3genE8ELNS1_11target_archE1030ELNS1_3gpuE2ELNS1_3repE0EEENS1_38merge_mergepath_config_static_selectorELNS0_4arch9wavefront6targetE0EEEvSO_.has_indirect_call, 0
	.section	.AMDGPU.csdata,"",@progbits
; Kernel info:
; codeLenInByte = 0
; TotalNumSgprs: 0
; NumVgprs: 0
; ScratchSize: 0
; MemoryBound: 0
; FloatMode: 240
; IeeeMode: 1
; LDSByteSize: 0 bytes/workgroup (compile time only)
; SGPRBlocks: 0
; VGPRBlocks: 0
; NumSGPRsForWavesPerEU: 1
; NumVGPRsForWavesPerEU: 1
; Occupancy: 16
; WaveLimiterHint : 0
; COMPUTE_PGM_RSRC2:SCRATCH_EN: 0
; COMPUTE_PGM_RSRC2:USER_SGPR: 2
; COMPUTE_PGM_RSRC2:TRAP_HANDLER: 0
; COMPUTE_PGM_RSRC2:TGID_X_EN: 1
; COMPUTE_PGM_RSRC2:TGID_Y_EN: 0
; COMPUTE_PGM_RSRC2:TGID_Z_EN: 0
; COMPUTE_PGM_RSRC2:TIDIG_COMP_CNT: 0
	.section	.text._ZN7rocprim17ROCPRIM_400000_NS6detail17trampoline_kernelINS0_14default_configENS1_38merge_sort_block_merge_config_selectorIjN6thrust23THRUST_200600_302600_NS5tupleIffNS6_9null_typeES8_S8_S8_S8_S8_S8_S8_EEEEZZNS1_27merge_sort_block_merge_implIS3_NS6_6detail15normal_iteratorINS6_10device_ptrIjEEEENSD_INSE_IS9_EEEEjNS1_19radix_merge_compareILb0ELb0EjNS0_19identity_decomposerEEEEE10hipError_tT0_T1_T2_jT3_P12ihipStream_tbPNSt15iterator_traitsISN_E10value_typeEPNST_ISO_E10value_typeEPSP_NS1_7vsmem_tEENKUlT_SN_SO_SP_E_clIPjSG_PS9_SI_EESM_S12_SN_SO_SP_EUlS12_E1_NS1_11comp_targetILNS1_3genE0ELNS1_11target_archE4294967295ELNS1_3gpuE0ELNS1_3repE0EEENS1_36merge_oddeven_config_static_selectorELNS0_4arch9wavefront6targetE0EEEvSO_,"axG",@progbits,_ZN7rocprim17ROCPRIM_400000_NS6detail17trampoline_kernelINS0_14default_configENS1_38merge_sort_block_merge_config_selectorIjN6thrust23THRUST_200600_302600_NS5tupleIffNS6_9null_typeES8_S8_S8_S8_S8_S8_S8_EEEEZZNS1_27merge_sort_block_merge_implIS3_NS6_6detail15normal_iteratorINS6_10device_ptrIjEEEENSD_INSE_IS9_EEEEjNS1_19radix_merge_compareILb0ELb0EjNS0_19identity_decomposerEEEEE10hipError_tT0_T1_T2_jT3_P12ihipStream_tbPNSt15iterator_traitsISN_E10value_typeEPNST_ISO_E10value_typeEPSP_NS1_7vsmem_tEENKUlT_SN_SO_SP_E_clIPjSG_PS9_SI_EESM_S12_SN_SO_SP_EUlS12_E1_NS1_11comp_targetILNS1_3genE0ELNS1_11target_archE4294967295ELNS1_3gpuE0ELNS1_3repE0EEENS1_36merge_oddeven_config_static_selectorELNS0_4arch9wavefront6targetE0EEEvSO_,comdat
	.protected	_ZN7rocprim17ROCPRIM_400000_NS6detail17trampoline_kernelINS0_14default_configENS1_38merge_sort_block_merge_config_selectorIjN6thrust23THRUST_200600_302600_NS5tupleIffNS6_9null_typeES8_S8_S8_S8_S8_S8_S8_EEEEZZNS1_27merge_sort_block_merge_implIS3_NS6_6detail15normal_iteratorINS6_10device_ptrIjEEEENSD_INSE_IS9_EEEEjNS1_19radix_merge_compareILb0ELb0EjNS0_19identity_decomposerEEEEE10hipError_tT0_T1_T2_jT3_P12ihipStream_tbPNSt15iterator_traitsISN_E10value_typeEPNST_ISO_E10value_typeEPSP_NS1_7vsmem_tEENKUlT_SN_SO_SP_E_clIPjSG_PS9_SI_EESM_S12_SN_SO_SP_EUlS12_E1_NS1_11comp_targetILNS1_3genE0ELNS1_11target_archE4294967295ELNS1_3gpuE0ELNS1_3repE0EEENS1_36merge_oddeven_config_static_selectorELNS0_4arch9wavefront6targetE0EEEvSO_ ; -- Begin function _ZN7rocprim17ROCPRIM_400000_NS6detail17trampoline_kernelINS0_14default_configENS1_38merge_sort_block_merge_config_selectorIjN6thrust23THRUST_200600_302600_NS5tupleIffNS6_9null_typeES8_S8_S8_S8_S8_S8_S8_EEEEZZNS1_27merge_sort_block_merge_implIS3_NS6_6detail15normal_iteratorINS6_10device_ptrIjEEEENSD_INSE_IS9_EEEEjNS1_19radix_merge_compareILb0ELb0EjNS0_19identity_decomposerEEEEE10hipError_tT0_T1_T2_jT3_P12ihipStream_tbPNSt15iterator_traitsISN_E10value_typeEPNST_ISO_E10value_typeEPSP_NS1_7vsmem_tEENKUlT_SN_SO_SP_E_clIPjSG_PS9_SI_EESM_S12_SN_SO_SP_EUlS12_E1_NS1_11comp_targetILNS1_3genE0ELNS1_11target_archE4294967295ELNS1_3gpuE0ELNS1_3repE0EEENS1_36merge_oddeven_config_static_selectorELNS0_4arch9wavefront6targetE0EEEvSO_
	.globl	_ZN7rocprim17ROCPRIM_400000_NS6detail17trampoline_kernelINS0_14default_configENS1_38merge_sort_block_merge_config_selectorIjN6thrust23THRUST_200600_302600_NS5tupleIffNS6_9null_typeES8_S8_S8_S8_S8_S8_S8_EEEEZZNS1_27merge_sort_block_merge_implIS3_NS6_6detail15normal_iteratorINS6_10device_ptrIjEEEENSD_INSE_IS9_EEEEjNS1_19radix_merge_compareILb0ELb0EjNS0_19identity_decomposerEEEEE10hipError_tT0_T1_T2_jT3_P12ihipStream_tbPNSt15iterator_traitsISN_E10value_typeEPNST_ISO_E10value_typeEPSP_NS1_7vsmem_tEENKUlT_SN_SO_SP_E_clIPjSG_PS9_SI_EESM_S12_SN_SO_SP_EUlS12_E1_NS1_11comp_targetILNS1_3genE0ELNS1_11target_archE4294967295ELNS1_3gpuE0ELNS1_3repE0EEENS1_36merge_oddeven_config_static_selectorELNS0_4arch9wavefront6targetE0EEEvSO_
	.p2align	8
	.type	_ZN7rocprim17ROCPRIM_400000_NS6detail17trampoline_kernelINS0_14default_configENS1_38merge_sort_block_merge_config_selectorIjN6thrust23THRUST_200600_302600_NS5tupleIffNS6_9null_typeES8_S8_S8_S8_S8_S8_S8_EEEEZZNS1_27merge_sort_block_merge_implIS3_NS6_6detail15normal_iteratorINS6_10device_ptrIjEEEENSD_INSE_IS9_EEEEjNS1_19radix_merge_compareILb0ELb0EjNS0_19identity_decomposerEEEEE10hipError_tT0_T1_T2_jT3_P12ihipStream_tbPNSt15iterator_traitsISN_E10value_typeEPNST_ISO_E10value_typeEPSP_NS1_7vsmem_tEENKUlT_SN_SO_SP_E_clIPjSG_PS9_SI_EESM_S12_SN_SO_SP_EUlS12_E1_NS1_11comp_targetILNS1_3genE0ELNS1_11target_archE4294967295ELNS1_3gpuE0ELNS1_3repE0EEENS1_36merge_oddeven_config_static_selectorELNS0_4arch9wavefront6targetE0EEEvSO_,@function
_ZN7rocprim17ROCPRIM_400000_NS6detail17trampoline_kernelINS0_14default_configENS1_38merge_sort_block_merge_config_selectorIjN6thrust23THRUST_200600_302600_NS5tupleIffNS6_9null_typeES8_S8_S8_S8_S8_S8_S8_EEEEZZNS1_27merge_sort_block_merge_implIS3_NS6_6detail15normal_iteratorINS6_10device_ptrIjEEEENSD_INSE_IS9_EEEEjNS1_19radix_merge_compareILb0ELb0EjNS0_19identity_decomposerEEEEE10hipError_tT0_T1_T2_jT3_P12ihipStream_tbPNSt15iterator_traitsISN_E10value_typeEPNST_ISO_E10value_typeEPSP_NS1_7vsmem_tEENKUlT_SN_SO_SP_E_clIPjSG_PS9_SI_EESM_S12_SN_SO_SP_EUlS12_E1_NS1_11comp_targetILNS1_3genE0ELNS1_11target_archE4294967295ELNS1_3gpuE0ELNS1_3repE0EEENS1_36merge_oddeven_config_static_selectorELNS0_4arch9wavefront6targetE0EEEvSO_: ; @_ZN7rocprim17ROCPRIM_400000_NS6detail17trampoline_kernelINS0_14default_configENS1_38merge_sort_block_merge_config_selectorIjN6thrust23THRUST_200600_302600_NS5tupleIffNS6_9null_typeES8_S8_S8_S8_S8_S8_S8_EEEEZZNS1_27merge_sort_block_merge_implIS3_NS6_6detail15normal_iteratorINS6_10device_ptrIjEEEENSD_INSE_IS9_EEEEjNS1_19radix_merge_compareILb0ELb0EjNS0_19identity_decomposerEEEEE10hipError_tT0_T1_T2_jT3_P12ihipStream_tbPNSt15iterator_traitsISN_E10value_typeEPNST_ISO_E10value_typeEPSP_NS1_7vsmem_tEENKUlT_SN_SO_SP_E_clIPjSG_PS9_SI_EESM_S12_SN_SO_SP_EUlS12_E1_NS1_11comp_targetILNS1_3genE0ELNS1_11target_archE4294967295ELNS1_3gpuE0ELNS1_3repE0EEENS1_36merge_oddeven_config_static_selectorELNS0_4arch9wavefront6targetE0EEEvSO_
; %bb.0:
	.section	.rodata,"a",@progbits
	.p2align	6, 0x0
	.amdhsa_kernel _ZN7rocprim17ROCPRIM_400000_NS6detail17trampoline_kernelINS0_14default_configENS1_38merge_sort_block_merge_config_selectorIjN6thrust23THRUST_200600_302600_NS5tupleIffNS6_9null_typeES8_S8_S8_S8_S8_S8_S8_EEEEZZNS1_27merge_sort_block_merge_implIS3_NS6_6detail15normal_iteratorINS6_10device_ptrIjEEEENSD_INSE_IS9_EEEEjNS1_19radix_merge_compareILb0ELb0EjNS0_19identity_decomposerEEEEE10hipError_tT0_T1_T2_jT3_P12ihipStream_tbPNSt15iterator_traitsISN_E10value_typeEPNST_ISO_E10value_typeEPSP_NS1_7vsmem_tEENKUlT_SN_SO_SP_E_clIPjSG_PS9_SI_EESM_S12_SN_SO_SP_EUlS12_E1_NS1_11comp_targetILNS1_3genE0ELNS1_11target_archE4294967295ELNS1_3gpuE0ELNS1_3repE0EEENS1_36merge_oddeven_config_static_selectorELNS0_4arch9wavefront6targetE0EEEvSO_
		.amdhsa_group_segment_fixed_size 0
		.amdhsa_private_segment_fixed_size 0
		.amdhsa_kernarg_size 48
		.amdhsa_user_sgpr_count 2
		.amdhsa_user_sgpr_dispatch_ptr 0
		.amdhsa_user_sgpr_queue_ptr 0
		.amdhsa_user_sgpr_kernarg_segment_ptr 1
		.amdhsa_user_sgpr_dispatch_id 0
		.amdhsa_user_sgpr_private_segment_size 0
		.amdhsa_wavefront_size32 1
		.amdhsa_uses_dynamic_stack 0
		.amdhsa_enable_private_segment 0
		.amdhsa_system_sgpr_workgroup_id_x 1
		.amdhsa_system_sgpr_workgroup_id_y 0
		.amdhsa_system_sgpr_workgroup_id_z 0
		.amdhsa_system_sgpr_workgroup_info 0
		.amdhsa_system_vgpr_workitem_id 0
		.amdhsa_next_free_vgpr 1
		.amdhsa_next_free_sgpr 1
		.amdhsa_reserve_vcc 0
		.amdhsa_float_round_mode_32 0
		.amdhsa_float_round_mode_16_64 0
		.amdhsa_float_denorm_mode_32 3
		.amdhsa_float_denorm_mode_16_64 3
		.amdhsa_fp16_overflow 0
		.amdhsa_workgroup_processor_mode 1
		.amdhsa_memory_ordered 1
		.amdhsa_forward_progress 1
		.amdhsa_inst_pref_size 0
		.amdhsa_round_robin_scheduling 0
		.amdhsa_exception_fp_ieee_invalid_op 0
		.amdhsa_exception_fp_denorm_src 0
		.amdhsa_exception_fp_ieee_div_zero 0
		.amdhsa_exception_fp_ieee_overflow 0
		.amdhsa_exception_fp_ieee_underflow 0
		.amdhsa_exception_fp_ieee_inexact 0
		.amdhsa_exception_int_div_zero 0
	.end_amdhsa_kernel
	.section	.text._ZN7rocprim17ROCPRIM_400000_NS6detail17trampoline_kernelINS0_14default_configENS1_38merge_sort_block_merge_config_selectorIjN6thrust23THRUST_200600_302600_NS5tupleIffNS6_9null_typeES8_S8_S8_S8_S8_S8_S8_EEEEZZNS1_27merge_sort_block_merge_implIS3_NS6_6detail15normal_iteratorINS6_10device_ptrIjEEEENSD_INSE_IS9_EEEEjNS1_19radix_merge_compareILb0ELb0EjNS0_19identity_decomposerEEEEE10hipError_tT0_T1_T2_jT3_P12ihipStream_tbPNSt15iterator_traitsISN_E10value_typeEPNST_ISO_E10value_typeEPSP_NS1_7vsmem_tEENKUlT_SN_SO_SP_E_clIPjSG_PS9_SI_EESM_S12_SN_SO_SP_EUlS12_E1_NS1_11comp_targetILNS1_3genE0ELNS1_11target_archE4294967295ELNS1_3gpuE0ELNS1_3repE0EEENS1_36merge_oddeven_config_static_selectorELNS0_4arch9wavefront6targetE0EEEvSO_,"axG",@progbits,_ZN7rocprim17ROCPRIM_400000_NS6detail17trampoline_kernelINS0_14default_configENS1_38merge_sort_block_merge_config_selectorIjN6thrust23THRUST_200600_302600_NS5tupleIffNS6_9null_typeES8_S8_S8_S8_S8_S8_S8_EEEEZZNS1_27merge_sort_block_merge_implIS3_NS6_6detail15normal_iteratorINS6_10device_ptrIjEEEENSD_INSE_IS9_EEEEjNS1_19radix_merge_compareILb0ELb0EjNS0_19identity_decomposerEEEEE10hipError_tT0_T1_T2_jT3_P12ihipStream_tbPNSt15iterator_traitsISN_E10value_typeEPNST_ISO_E10value_typeEPSP_NS1_7vsmem_tEENKUlT_SN_SO_SP_E_clIPjSG_PS9_SI_EESM_S12_SN_SO_SP_EUlS12_E1_NS1_11comp_targetILNS1_3genE0ELNS1_11target_archE4294967295ELNS1_3gpuE0ELNS1_3repE0EEENS1_36merge_oddeven_config_static_selectorELNS0_4arch9wavefront6targetE0EEEvSO_,comdat
.Lfunc_end41:
	.size	_ZN7rocprim17ROCPRIM_400000_NS6detail17trampoline_kernelINS0_14default_configENS1_38merge_sort_block_merge_config_selectorIjN6thrust23THRUST_200600_302600_NS5tupleIffNS6_9null_typeES8_S8_S8_S8_S8_S8_S8_EEEEZZNS1_27merge_sort_block_merge_implIS3_NS6_6detail15normal_iteratorINS6_10device_ptrIjEEEENSD_INSE_IS9_EEEEjNS1_19radix_merge_compareILb0ELb0EjNS0_19identity_decomposerEEEEE10hipError_tT0_T1_T2_jT3_P12ihipStream_tbPNSt15iterator_traitsISN_E10value_typeEPNST_ISO_E10value_typeEPSP_NS1_7vsmem_tEENKUlT_SN_SO_SP_E_clIPjSG_PS9_SI_EESM_S12_SN_SO_SP_EUlS12_E1_NS1_11comp_targetILNS1_3genE0ELNS1_11target_archE4294967295ELNS1_3gpuE0ELNS1_3repE0EEENS1_36merge_oddeven_config_static_selectorELNS0_4arch9wavefront6targetE0EEEvSO_, .Lfunc_end41-_ZN7rocprim17ROCPRIM_400000_NS6detail17trampoline_kernelINS0_14default_configENS1_38merge_sort_block_merge_config_selectorIjN6thrust23THRUST_200600_302600_NS5tupleIffNS6_9null_typeES8_S8_S8_S8_S8_S8_S8_EEEEZZNS1_27merge_sort_block_merge_implIS3_NS6_6detail15normal_iteratorINS6_10device_ptrIjEEEENSD_INSE_IS9_EEEEjNS1_19radix_merge_compareILb0ELb0EjNS0_19identity_decomposerEEEEE10hipError_tT0_T1_T2_jT3_P12ihipStream_tbPNSt15iterator_traitsISN_E10value_typeEPNST_ISO_E10value_typeEPSP_NS1_7vsmem_tEENKUlT_SN_SO_SP_E_clIPjSG_PS9_SI_EESM_S12_SN_SO_SP_EUlS12_E1_NS1_11comp_targetILNS1_3genE0ELNS1_11target_archE4294967295ELNS1_3gpuE0ELNS1_3repE0EEENS1_36merge_oddeven_config_static_selectorELNS0_4arch9wavefront6targetE0EEEvSO_
                                        ; -- End function
	.set _ZN7rocprim17ROCPRIM_400000_NS6detail17trampoline_kernelINS0_14default_configENS1_38merge_sort_block_merge_config_selectorIjN6thrust23THRUST_200600_302600_NS5tupleIffNS6_9null_typeES8_S8_S8_S8_S8_S8_S8_EEEEZZNS1_27merge_sort_block_merge_implIS3_NS6_6detail15normal_iteratorINS6_10device_ptrIjEEEENSD_INSE_IS9_EEEEjNS1_19radix_merge_compareILb0ELb0EjNS0_19identity_decomposerEEEEE10hipError_tT0_T1_T2_jT3_P12ihipStream_tbPNSt15iterator_traitsISN_E10value_typeEPNST_ISO_E10value_typeEPSP_NS1_7vsmem_tEENKUlT_SN_SO_SP_E_clIPjSG_PS9_SI_EESM_S12_SN_SO_SP_EUlS12_E1_NS1_11comp_targetILNS1_3genE0ELNS1_11target_archE4294967295ELNS1_3gpuE0ELNS1_3repE0EEENS1_36merge_oddeven_config_static_selectorELNS0_4arch9wavefront6targetE0EEEvSO_.num_vgpr, 0
	.set _ZN7rocprim17ROCPRIM_400000_NS6detail17trampoline_kernelINS0_14default_configENS1_38merge_sort_block_merge_config_selectorIjN6thrust23THRUST_200600_302600_NS5tupleIffNS6_9null_typeES8_S8_S8_S8_S8_S8_S8_EEEEZZNS1_27merge_sort_block_merge_implIS3_NS6_6detail15normal_iteratorINS6_10device_ptrIjEEEENSD_INSE_IS9_EEEEjNS1_19radix_merge_compareILb0ELb0EjNS0_19identity_decomposerEEEEE10hipError_tT0_T1_T2_jT3_P12ihipStream_tbPNSt15iterator_traitsISN_E10value_typeEPNST_ISO_E10value_typeEPSP_NS1_7vsmem_tEENKUlT_SN_SO_SP_E_clIPjSG_PS9_SI_EESM_S12_SN_SO_SP_EUlS12_E1_NS1_11comp_targetILNS1_3genE0ELNS1_11target_archE4294967295ELNS1_3gpuE0ELNS1_3repE0EEENS1_36merge_oddeven_config_static_selectorELNS0_4arch9wavefront6targetE0EEEvSO_.num_agpr, 0
	.set _ZN7rocprim17ROCPRIM_400000_NS6detail17trampoline_kernelINS0_14default_configENS1_38merge_sort_block_merge_config_selectorIjN6thrust23THRUST_200600_302600_NS5tupleIffNS6_9null_typeES8_S8_S8_S8_S8_S8_S8_EEEEZZNS1_27merge_sort_block_merge_implIS3_NS6_6detail15normal_iteratorINS6_10device_ptrIjEEEENSD_INSE_IS9_EEEEjNS1_19radix_merge_compareILb0ELb0EjNS0_19identity_decomposerEEEEE10hipError_tT0_T1_T2_jT3_P12ihipStream_tbPNSt15iterator_traitsISN_E10value_typeEPNST_ISO_E10value_typeEPSP_NS1_7vsmem_tEENKUlT_SN_SO_SP_E_clIPjSG_PS9_SI_EESM_S12_SN_SO_SP_EUlS12_E1_NS1_11comp_targetILNS1_3genE0ELNS1_11target_archE4294967295ELNS1_3gpuE0ELNS1_3repE0EEENS1_36merge_oddeven_config_static_selectorELNS0_4arch9wavefront6targetE0EEEvSO_.numbered_sgpr, 0
	.set _ZN7rocprim17ROCPRIM_400000_NS6detail17trampoline_kernelINS0_14default_configENS1_38merge_sort_block_merge_config_selectorIjN6thrust23THRUST_200600_302600_NS5tupleIffNS6_9null_typeES8_S8_S8_S8_S8_S8_S8_EEEEZZNS1_27merge_sort_block_merge_implIS3_NS6_6detail15normal_iteratorINS6_10device_ptrIjEEEENSD_INSE_IS9_EEEEjNS1_19radix_merge_compareILb0ELb0EjNS0_19identity_decomposerEEEEE10hipError_tT0_T1_T2_jT3_P12ihipStream_tbPNSt15iterator_traitsISN_E10value_typeEPNST_ISO_E10value_typeEPSP_NS1_7vsmem_tEENKUlT_SN_SO_SP_E_clIPjSG_PS9_SI_EESM_S12_SN_SO_SP_EUlS12_E1_NS1_11comp_targetILNS1_3genE0ELNS1_11target_archE4294967295ELNS1_3gpuE0ELNS1_3repE0EEENS1_36merge_oddeven_config_static_selectorELNS0_4arch9wavefront6targetE0EEEvSO_.num_named_barrier, 0
	.set _ZN7rocprim17ROCPRIM_400000_NS6detail17trampoline_kernelINS0_14default_configENS1_38merge_sort_block_merge_config_selectorIjN6thrust23THRUST_200600_302600_NS5tupleIffNS6_9null_typeES8_S8_S8_S8_S8_S8_S8_EEEEZZNS1_27merge_sort_block_merge_implIS3_NS6_6detail15normal_iteratorINS6_10device_ptrIjEEEENSD_INSE_IS9_EEEEjNS1_19radix_merge_compareILb0ELb0EjNS0_19identity_decomposerEEEEE10hipError_tT0_T1_T2_jT3_P12ihipStream_tbPNSt15iterator_traitsISN_E10value_typeEPNST_ISO_E10value_typeEPSP_NS1_7vsmem_tEENKUlT_SN_SO_SP_E_clIPjSG_PS9_SI_EESM_S12_SN_SO_SP_EUlS12_E1_NS1_11comp_targetILNS1_3genE0ELNS1_11target_archE4294967295ELNS1_3gpuE0ELNS1_3repE0EEENS1_36merge_oddeven_config_static_selectorELNS0_4arch9wavefront6targetE0EEEvSO_.private_seg_size, 0
	.set _ZN7rocprim17ROCPRIM_400000_NS6detail17trampoline_kernelINS0_14default_configENS1_38merge_sort_block_merge_config_selectorIjN6thrust23THRUST_200600_302600_NS5tupleIffNS6_9null_typeES8_S8_S8_S8_S8_S8_S8_EEEEZZNS1_27merge_sort_block_merge_implIS3_NS6_6detail15normal_iteratorINS6_10device_ptrIjEEEENSD_INSE_IS9_EEEEjNS1_19radix_merge_compareILb0ELb0EjNS0_19identity_decomposerEEEEE10hipError_tT0_T1_T2_jT3_P12ihipStream_tbPNSt15iterator_traitsISN_E10value_typeEPNST_ISO_E10value_typeEPSP_NS1_7vsmem_tEENKUlT_SN_SO_SP_E_clIPjSG_PS9_SI_EESM_S12_SN_SO_SP_EUlS12_E1_NS1_11comp_targetILNS1_3genE0ELNS1_11target_archE4294967295ELNS1_3gpuE0ELNS1_3repE0EEENS1_36merge_oddeven_config_static_selectorELNS0_4arch9wavefront6targetE0EEEvSO_.uses_vcc, 0
	.set _ZN7rocprim17ROCPRIM_400000_NS6detail17trampoline_kernelINS0_14default_configENS1_38merge_sort_block_merge_config_selectorIjN6thrust23THRUST_200600_302600_NS5tupleIffNS6_9null_typeES8_S8_S8_S8_S8_S8_S8_EEEEZZNS1_27merge_sort_block_merge_implIS3_NS6_6detail15normal_iteratorINS6_10device_ptrIjEEEENSD_INSE_IS9_EEEEjNS1_19radix_merge_compareILb0ELb0EjNS0_19identity_decomposerEEEEE10hipError_tT0_T1_T2_jT3_P12ihipStream_tbPNSt15iterator_traitsISN_E10value_typeEPNST_ISO_E10value_typeEPSP_NS1_7vsmem_tEENKUlT_SN_SO_SP_E_clIPjSG_PS9_SI_EESM_S12_SN_SO_SP_EUlS12_E1_NS1_11comp_targetILNS1_3genE0ELNS1_11target_archE4294967295ELNS1_3gpuE0ELNS1_3repE0EEENS1_36merge_oddeven_config_static_selectorELNS0_4arch9wavefront6targetE0EEEvSO_.uses_flat_scratch, 0
	.set _ZN7rocprim17ROCPRIM_400000_NS6detail17trampoline_kernelINS0_14default_configENS1_38merge_sort_block_merge_config_selectorIjN6thrust23THRUST_200600_302600_NS5tupleIffNS6_9null_typeES8_S8_S8_S8_S8_S8_S8_EEEEZZNS1_27merge_sort_block_merge_implIS3_NS6_6detail15normal_iteratorINS6_10device_ptrIjEEEENSD_INSE_IS9_EEEEjNS1_19radix_merge_compareILb0ELb0EjNS0_19identity_decomposerEEEEE10hipError_tT0_T1_T2_jT3_P12ihipStream_tbPNSt15iterator_traitsISN_E10value_typeEPNST_ISO_E10value_typeEPSP_NS1_7vsmem_tEENKUlT_SN_SO_SP_E_clIPjSG_PS9_SI_EESM_S12_SN_SO_SP_EUlS12_E1_NS1_11comp_targetILNS1_3genE0ELNS1_11target_archE4294967295ELNS1_3gpuE0ELNS1_3repE0EEENS1_36merge_oddeven_config_static_selectorELNS0_4arch9wavefront6targetE0EEEvSO_.has_dyn_sized_stack, 0
	.set _ZN7rocprim17ROCPRIM_400000_NS6detail17trampoline_kernelINS0_14default_configENS1_38merge_sort_block_merge_config_selectorIjN6thrust23THRUST_200600_302600_NS5tupleIffNS6_9null_typeES8_S8_S8_S8_S8_S8_S8_EEEEZZNS1_27merge_sort_block_merge_implIS3_NS6_6detail15normal_iteratorINS6_10device_ptrIjEEEENSD_INSE_IS9_EEEEjNS1_19radix_merge_compareILb0ELb0EjNS0_19identity_decomposerEEEEE10hipError_tT0_T1_T2_jT3_P12ihipStream_tbPNSt15iterator_traitsISN_E10value_typeEPNST_ISO_E10value_typeEPSP_NS1_7vsmem_tEENKUlT_SN_SO_SP_E_clIPjSG_PS9_SI_EESM_S12_SN_SO_SP_EUlS12_E1_NS1_11comp_targetILNS1_3genE0ELNS1_11target_archE4294967295ELNS1_3gpuE0ELNS1_3repE0EEENS1_36merge_oddeven_config_static_selectorELNS0_4arch9wavefront6targetE0EEEvSO_.has_recursion, 0
	.set _ZN7rocprim17ROCPRIM_400000_NS6detail17trampoline_kernelINS0_14default_configENS1_38merge_sort_block_merge_config_selectorIjN6thrust23THRUST_200600_302600_NS5tupleIffNS6_9null_typeES8_S8_S8_S8_S8_S8_S8_EEEEZZNS1_27merge_sort_block_merge_implIS3_NS6_6detail15normal_iteratorINS6_10device_ptrIjEEEENSD_INSE_IS9_EEEEjNS1_19radix_merge_compareILb0ELb0EjNS0_19identity_decomposerEEEEE10hipError_tT0_T1_T2_jT3_P12ihipStream_tbPNSt15iterator_traitsISN_E10value_typeEPNST_ISO_E10value_typeEPSP_NS1_7vsmem_tEENKUlT_SN_SO_SP_E_clIPjSG_PS9_SI_EESM_S12_SN_SO_SP_EUlS12_E1_NS1_11comp_targetILNS1_3genE0ELNS1_11target_archE4294967295ELNS1_3gpuE0ELNS1_3repE0EEENS1_36merge_oddeven_config_static_selectorELNS0_4arch9wavefront6targetE0EEEvSO_.has_indirect_call, 0
	.section	.AMDGPU.csdata,"",@progbits
; Kernel info:
; codeLenInByte = 0
; TotalNumSgprs: 0
; NumVgprs: 0
; ScratchSize: 0
; MemoryBound: 0
; FloatMode: 240
; IeeeMode: 1
; LDSByteSize: 0 bytes/workgroup (compile time only)
; SGPRBlocks: 0
; VGPRBlocks: 0
; NumSGPRsForWavesPerEU: 1
; NumVGPRsForWavesPerEU: 1
; Occupancy: 16
; WaveLimiterHint : 0
; COMPUTE_PGM_RSRC2:SCRATCH_EN: 0
; COMPUTE_PGM_RSRC2:USER_SGPR: 2
; COMPUTE_PGM_RSRC2:TRAP_HANDLER: 0
; COMPUTE_PGM_RSRC2:TGID_X_EN: 1
; COMPUTE_PGM_RSRC2:TGID_Y_EN: 0
; COMPUTE_PGM_RSRC2:TGID_Z_EN: 0
; COMPUTE_PGM_RSRC2:TIDIG_COMP_CNT: 0
	.section	.text._ZN7rocprim17ROCPRIM_400000_NS6detail17trampoline_kernelINS0_14default_configENS1_38merge_sort_block_merge_config_selectorIjN6thrust23THRUST_200600_302600_NS5tupleIffNS6_9null_typeES8_S8_S8_S8_S8_S8_S8_EEEEZZNS1_27merge_sort_block_merge_implIS3_NS6_6detail15normal_iteratorINS6_10device_ptrIjEEEENSD_INSE_IS9_EEEEjNS1_19radix_merge_compareILb0ELb0EjNS0_19identity_decomposerEEEEE10hipError_tT0_T1_T2_jT3_P12ihipStream_tbPNSt15iterator_traitsISN_E10value_typeEPNST_ISO_E10value_typeEPSP_NS1_7vsmem_tEENKUlT_SN_SO_SP_E_clIPjSG_PS9_SI_EESM_S12_SN_SO_SP_EUlS12_E1_NS1_11comp_targetILNS1_3genE10ELNS1_11target_archE1201ELNS1_3gpuE5ELNS1_3repE0EEENS1_36merge_oddeven_config_static_selectorELNS0_4arch9wavefront6targetE0EEEvSO_,"axG",@progbits,_ZN7rocprim17ROCPRIM_400000_NS6detail17trampoline_kernelINS0_14default_configENS1_38merge_sort_block_merge_config_selectorIjN6thrust23THRUST_200600_302600_NS5tupleIffNS6_9null_typeES8_S8_S8_S8_S8_S8_S8_EEEEZZNS1_27merge_sort_block_merge_implIS3_NS6_6detail15normal_iteratorINS6_10device_ptrIjEEEENSD_INSE_IS9_EEEEjNS1_19radix_merge_compareILb0ELb0EjNS0_19identity_decomposerEEEEE10hipError_tT0_T1_T2_jT3_P12ihipStream_tbPNSt15iterator_traitsISN_E10value_typeEPNST_ISO_E10value_typeEPSP_NS1_7vsmem_tEENKUlT_SN_SO_SP_E_clIPjSG_PS9_SI_EESM_S12_SN_SO_SP_EUlS12_E1_NS1_11comp_targetILNS1_3genE10ELNS1_11target_archE1201ELNS1_3gpuE5ELNS1_3repE0EEENS1_36merge_oddeven_config_static_selectorELNS0_4arch9wavefront6targetE0EEEvSO_,comdat
	.protected	_ZN7rocprim17ROCPRIM_400000_NS6detail17trampoline_kernelINS0_14default_configENS1_38merge_sort_block_merge_config_selectorIjN6thrust23THRUST_200600_302600_NS5tupleIffNS6_9null_typeES8_S8_S8_S8_S8_S8_S8_EEEEZZNS1_27merge_sort_block_merge_implIS3_NS6_6detail15normal_iteratorINS6_10device_ptrIjEEEENSD_INSE_IS9_EEEEjNS1_19radix_merge_compareILb0ELb0EjNS0_19identity_decomposerEEEEE10hipError_tT0_T1_T2_jT3_P12ihipStream_tbPNSt15iterator_traitsISN_E10value_typeEPNST_ISO_E10value_typeEPSP_NS1_7vsmem_tEENKUlT_SN_SO_SP_E_clIPjSG_PS9_SI_EESM_S12_SN_SO_SP_EUlS12_E1_NS1_11comp_targetILNS1_3genE10ELNS1_11target_archE1201ELNS1_3gpuE5ELNS1_3repE0EEENS1_36merge_oddeven_config_static_selectorELNS0_4arch9wavefront6targetE0EEEvSO_ ; -- Begin function _ZN7rocprim17ROCPRIM_400000_NS6detail17trampoline_kernelINS0_14default_configENS1_38merge_sort_block_merge_config_selectorIjN6thrust23THRUST_200600_302600_NS5tupleIffNS6_9null_typeES8_S8_S8_S8_S8_S8_S8_EEEEZZNS1_27merge_sort_block_merge_implIS3_NS6_6detail15normal_iteratorINS6_10device_ptrIjEEEENSD_INSE_IS9_EEEEjNS1_19radix_merge_compareILb0ELb0EjNS0_19identity_decomposerEEEEE10hipError_tT0_T1_T2_jT3_P12ihipStream_tbPNSt15iterator_traitsISN_E10value_typeEPNST_ISO_E10value_typeEPSP_NS1_7vsmem_tEENKUlT_SN_SO_SP_E_clIPjSG_PS9_SI_EESM_S12_SN_SO_SP_EUlS12_E1_NS1_11comp_targetILNS1_3genE10ELNS1_11target_archE1201ELNS1_3gpuE5ELNS1_3repE0EEENS1_36merge_oddeven_config_static_selectorELNS0_4arch9wavefront6targetE0EEEvSO_
	.globl	_ZN7rocprim17ROCPRIM_400000_NS6detail17trampoline_kernelINS0_14default_configENS1_38merge_sort_block_merge_config_selectorIjN6thrust23THRUST_200600_302600_NS5tupleIffNS6_9null_typeES8_S8_S8_S8_S8_S8_S8_EEEEZZNS1_27merge_sort_block_merge_implIS3_NS6_6detail15normal_iteratorINS6_10device_ptrIjEEEENSD_INSE_IS9_EEEEjNS1_19radix_merge_compareILb0ELb0EjNS0_19identity_decomposerEEEEE10hipError_tT0_T1_T2_jT3_P12ihipStream_tbPNSt15iterator_traitsISN_E10value_typeEPNST_ISO_E10value_typeEPSP_NS1_7vsmem_tEENKUlT_SN_SO_SP_E_clIPjSG_PS9_SI_EESM_S12_SN_SO_SP_EUlS12_E1_NS1_11comp_targetILNS1_3genE10ELNS1_11target_archE1201ELNS1_3gpuE5ELNS1_3repE0EEENS1_36merge_oddeven_config_static_selectorELNS0_4arch9wavefront6targetE0EEEvSO_
	.p2align	8
	.type	_ZN7rocprim17ROCPRIM_400000_NS6detail17trampoline_kernelINS0_14default_configENS1_38merge_sort_block_merge_config_selectorIjN6thrust23THRUST_200600_302600_NS5tupleIffNS6_9null_typeES8_S8_S8_S8_S8_S8_S8_EEEEZZNS1_27merge_sort_block_merge_implIS3_NS6_6detail15normal_iteratorINS6_10device_ptrIjEEEENSD_INSE_IS9_EEEEjNS1_19radix_merge_compareILb0ELb0EjNS0_19identity_decomposerEEEEE10hipError_tT0_T1_T2_jT3_P12ihipStream_tbPNSt15iterator_traitsISN_E10value_typeEPNST_ISO_E10value_typeEPSP_NS1_7vsmem_tEENKUlT_SN_SO_SP_E_clIPjSG_PS9_SI_EESM_S12_SN_SO_SP_EUlS12_E1_NS1_11comp_targetILNS1_3genE10ELNS1_11target_archE1201ELNS1_3gpuE5ELNS1_3repE0EEENS1_36merge_oddeven_config_static_selectorELNS0_4arch9wavefront6targetE0EEEvSO_,@function
_ZN7rocprim17ROCPRIM_400000_NS6detail17trampoline_kernelINS0_14default_configENS1_38merge_sort_block_merge_config_selectorIjN6thrust23THRUST_200600_302600_NS5tupleIffNS6_9null_typeES8_S8_S8_S8_S8_S8_S8_EEEEZZNS1_27merge_sort_block_merge_implIS3_NS6_6detail15normal_iteratorINS6_10device_ptrIjEEEENSD_INSE_IS9_EEEEjNS1_19radix_merge_compareILb0ELb0EjNS0_19identity_decomposerEEEEE10hipError_tT0_T1_T2_jT3_P12ihipStream_tbPNSt15iterator_traitsISN_E10value_typeEPNST_ISO_E10value_typeEPSP_NS1_7vsmem_tEENKUlT_SN_SO_SP_E_clIPjSG_PS9_SI_EESM_S12_SN_SO_SP_EUlS12_E1_NS1_11comp_targetILNS1_3genE10ELNS1_11target_archE1201ELNS1_3gpuE5ELNS1_3repE0EEENS1_36merge_oddeven_config_static_selectorELNS0_4arch9wavefront6targetE0EEEvSO_: ; @_ZN7rocprim17ROCPRIM_400000_NS6detail17trampoline_kernelINS0_14default_configENS1_38merge_sort_block_merge_config_selectorIjN6thrust23THRUST_200600_302600_NS5tupleIffNS6_9null_typeES8_S8_S8_S8_S8_S8_S8_EEEEZZNS1_27merge_sort_block_merge_implIS3_NS6_6detail15normal_iteratorINS6_10device_ptrIjEEEENSD_INSE_IS9_EEEEjNS1_19radix_merge_compareILb0ELb0EjNS0_19identity_decomposerEEEEE10hipError_tT0_T1_T2_jT3_P12ihipStream_tbPNSt15iterator_traitsISN_E10value_typeEPNST_ISO_E10value_typeEPSP_NS1_7vsmem_tEENKUlT_SN_SO_SP_E_clIPjSG_PS9_SI_EESM_S12_SN_SO_SP_EUlS12_E1_NS1_11comp_targetILNS1_3genE10ELNS1_11target_archE1201ELNS1_3gpuE5ELNS1_3repE0EEENS1_36merge_oddeven_config_static_selectorELNS0_4arch9wavefront6targetE0EEEvSO_
; %bb.0:
	s_load_b32 s3, s[0:1], 0x20
	s_lshl_b32 s12, ttmp9, 8
	s_wait_kmcnt 0x0
	s_lshr_b32 s2, s3, 8
	s_delay_alu instid0(SALU_CYCLE_1) | instskip(SKIP_4) | instid1(SALU_CYCLE_1)
	s_cmp_eq_u32 ttmp9, s2
	s_cselect_b32 s14, -1, 0
	s_cmp_lg_u32 ttmp9, s2
	s_cselect_b32 s4, -1, 0
	s_sub_co_i32 s2, s3, s12
	v_cmp_gt_u32_e64 s2, s2, v0
	s_or_b32 s4, s4, s2
	s_delay_alu instid0(SALU_CYCLE_1)
	s_and_saveexec_b32 s5, s4
	s_cbranch_execz .LBB42_24
; %bb.1:
	s_load_b256 s[4:11], s[0:1], 0x0
	s_mov_b32 s13, 0
	v_lshlrev_b32_e32 v1, 2, v0
	v_lshlrev_b32_e32 v2, 3, v0
	s_lshl_b64 s[16:17], s[12:13], 2
	s_lshl_b64 s[18:19], s[12:13], 3
	v_add_nc_u32_e32 v3, s12, v0
	s_wait_kmcnt 0x0
	s_add_nc_u64 s[16:17], s[4:5], s[16:17]
	s_add_nc_u64 s[8:9], s[8:9], s[18:19]
	global_load_b32 v5, v1, s[16:17]
	global_load_b64 v[1:2], v2, s[8:9]
	s_load_b32 s9, s[0:1], 0x24
	s_wait_kmcnt 0x0
	s_lshr_b32 s0, s9, 8
	s_delay_alu instid0(SALU_CYCLE_1) | instskip(NEXT) | instid1(SALU_CYCLE_1)
	s_sub_co_i32 s1, 0, s0
	s_and_b32 s1, ttmp9, s1
	s_delay_alu instid0(SALU_CYCLE_1) | instskip(SKIP_4) | instid1(SALU_CYCLE_1)
	s_and_b32 s0, s1, s0
	s_lshl_b32 s13, s1, 8
	s_sub_co_i32 s1, 0, s9
	s_cmp_eq_u32 s0, 0
	s_cselect_b32 s0, -1, 0
	s_and_b32 s8, s0, exec_lo
	s_cselect_b32 s1, s9, s1
	s_mov_b32 s8, -1
	s_wait_alu 0xfffe
	s_add_co_i32 s1, s1, s13
	s_delay_alu instid0(SALU_CYCLE_1)
	s_cmp_gt_u32 s3, s1
	s_cbranch_scc1 .LBB42_9
; %bb.2:
	s_and_b32 vcc_lo, exec_lo, s14
	s_cbranch_vccz .LBB42_6
; %bb.3:
	s_mov_b32 s8, exec_lo
	v_cmpx_gt_u32_e64 s3, v3
	s_cbranch_execz .LBB42_5
; %bb.4:
	v_mov_b32_e32 v4, 0
	s_delay_alu instid0(VALU_DEP_1) | instskip(SKIP_1) | instid1(VALU_DEP_2)
	v_lshlrev_b64_e32 v[6:7], 2, v[3:4]
	v_lshlrev_b64_e32 v[8:9], 3, v[3:4]
	v_add_co_u32 v6, vcc_lo, s6, v6
	s_delay_alu instid0(VALU_DEP_1) | instskip(NEXT) | instid1(VALU_DEP_3)
	v_add_co_ci_u32_e64 v7, null, s7, v7, vcc_lo
	v_add_co_u32 v8, vcc_lo, s10, v8
	s_wait_alu 0xfffd
	s_delay_alu instid0(VALU_DEP_4)
	v_add_co_ci_u32_e64 v9, null, s11, v9, vcc_lo
	s_wait_loadcnt 0x1
	global_store_b32 v[6:7], v5, off
	s_wait_loadcnt 0x0
	global_store_b64 v[8:9], v[1:2], off
.LBB42_5:
	s_or_b32 exec_lo, exec_lo, s8
	s_mov_b32 s8, 0
.LBB42_6:
	s_delay_alu instid0(SALU_CYCLE_1)
	s_and_not1_b32 vcc_lo, exec_lo, s8
	s_wait_alu 0xfffe
	s_cbranch_vccnz .LBB42_8
; %bb.7:
	v_mov_b32_e32 v4, 0
	s_delay_alu instid0(VALU_DEP_1) | instskip(SKIP_1) | instid1(VALU_DEP_2)
	v_lshlrev_b64_e32 v[6:7], 2, v[3:4]
	v_lshlrev_b64_e32 v[8:9], 3, v[3:4]
	v_add_co_u32 v6, vcc_lo, s6, v6
	s_wait_alu 0xfffd
	s_delay_alu instid0(VALU_DEP_3) | instskip(NEXT) | instid1(VALU_DEP_3)
	v_add_co_ci_u32_e64 v7, null, s7, v7, vcc_lo
	v_add_co_u32 v8, vcc_lo, s10, v8
	s_wait_alu 0xfffd
	v_add_co_ci_u32_e64 v9, null, s11, v9, vcc_lo
	s_wait_loadcnt 0x1
	global_store_b32 v[6:7], v5, off
	s_wait_loadcnt 0x0
	global_store_b64 v[8:9], v[1:2], off
.LBB42_8:
	s_mov_b32 s8, 0
.LBB42_9:
	s_delay_alu instid0(SALU_CYCLE_1)
	s_and_not1_b32 vcc_lo, exec_lo, s8
	s_wait_alu 0xfffe
	s_cbranch_vccnz .LBB42_24
; %bb.10:
	s_min_u32 s8, s1, s3
	s_and_b32 vcc_lo, exec_lo, s14
	s_add_co_i32 s12, s13, s8
	s_add_co_i32 s9, s8, s9
	s_wait_alu 0xfffe
	v_subrev_nc_u32_e32 v0, s12, v3
	s_min_u32 s12, s13, s8
	s_min_u32 s3, s9, s3
	s_mov_b32 s9, -1
	s_wait_alu 0xfffe
	v_add_nc_u32_e32 v0, s12, v0
	s_cbranch_vccz .LBB42_18
; %bb.11:
	s_and_saveexec_b32 s9, s2
	s_cbranch_execz .LBB42_17
; %bb.12:
	v_mov_b32_e32 v6, s8
	s_cmp_ge_u32 s1, s3
	s_cbranch_scc1 .LBB42_16
; %bb.13:
	v_dual_mov_b32 v7, s3 :: v_dual_mov_b32 v6, s8
	v_mov_b32_e32 v4, 0
	s_mov_b32 s2, 0
.LBB42_14:                              ; =>This Inner Loop Header: Depth=1
	s_delay_alu instid0(VALU_DEP_2) | instskip(NEXT) | instid1(VALU_DEP_1)
	v_add_nc_u32_e32 v3, v6, v7
	v_lshrrev_b32_e32 v3, 1, v3
	s_delay_alu instid0(VALU_DEP_1) | instskip(NEXT) | instid1(VALU_DEP_1)
	v_lshlrev_b64_e32 v[8:9], 2, v[3:4]
	v_add_co_u32 v8, vcc_lo, s4, v8
	s_wait_alu 0xfffd
	s_delay_alu instid0(VALU_DEP_2)
	v_add_co_ci_u32_e64 v9, null, s5, v9, vcc_lo
	global_load_b32 v8, v[8:9], off
	s_wait_loadcnt 0x0
	v_cmp_gt_u32_e32 vcc_lo, v5, v8
	s_wait_alu 0xfffd
	v_cndmask_b32_e64 v9, 0, 1, vcc_lo
	v_cmp_le_u32_e32 vcc_lo, v8, v5
	s_wait_alu 0xfffd
	v_cndmask_b32_e64 v8, 0, 1, vcc_lo
	s_delay_alu instid0(VALU_DEP_1) | instskip(SKIP_1) | instid1(VALU_DEP_2)
	v_cndmask_b32_e64 v8, v8, v9, s0
	v_add_nc_u32_e32 v9, 1, v3
	v_and_b32_e32 v8, 1, v8
	s_delay_alu instid0(VALU_DEP_1) | instskip(SKIP_1) | instid1(VALU_DEP_3)
	v_cmp_eq_u32_e32 vcc_lo, 1, v8
	s_wait_alu 0xfffd
	v_dual_cndmask_b32 v7, v3, v7 :: v_dual_cndmask_b32 v6, v6, v9
	s_delay_alu instid0(VALU_DEP_1)
	v_cmp_ge_u32_e32 vcc_lo, v6, v7
	s_wait_alu 0xfffe
	s_or_b32 s2, vcc_lo, s2
	s_wait_alu 0xfffe
	s_and_not1_b32 exec_lo, exec_lo, s2
	s_cbranch_execnz .LBB42_14
; %bb.15:
	s_or_b32 exec_lo, exec_lo, s2
.LBB42_16:
	s_delay_alu instid0(VALU_DEP_1) | instskip(NEXT) | instid1(VALU_DEP_1)
	v_dual_mov_b32 v4, 0 :: v_dual_add_nc_u32 v3, v6, v0
	v_lshlrev_b64_e32 v[6:7], 2, v[3:4]
	v_lshlrev_b64_e32 v[3:4], 3, v[3:4]
	s_delay_alu instid0(VALU_DEP_2) | instskip(SKIP_1) | instid1(VALU_DEP_3)
	v_add_co_u32 v6, vcc_lo, s6, v6
	s_wait_alu 0xfffd
	v_add_co_ci_u32_e64 v7, null, s7, v7, vcc_lo
	s_delay_alu instid0(VALU_DEP_3)
	v_add_co_u32 v3, vcc_lo, s10, v3
	s_wait_alu 0xfffd
	v_add_co_ci_u32_e64 v4, null, s11, v4, vcc_lo
	s_wait_loadcnt 0x1
	global_store_b32 v[6:7], v5, off
	s_wait_loadcnt 0x0
	global_store_b64 v[3:4], v[1:2], off
.LBB42_17:
	s_or_b32 exec_lo, exec_lo, s9
	s_mov_b32 s9, 0
.LBB42_18:
	s_wait_alu 0xfffe
	s_and_not1_b32 vcc_lo, exec_lo, s9
	s_wait_alu 0xfffe
	s_cbranch_vccnz .LBB42_24
; %bb.19:
	v_mov_b32_e32 v6, s8
	s_cmp_ge_u32 s1, s3
	s_cbranch_scc1 .LBB42_23
; %bb.20:
	v_dual_mov_b32 v7, s3 :: v_dual_mov_b32 v6, s8
	v_mov_b32_e32 v4, 0
	s_mov_b32 s1, 0
.LBB42_21:                              ; =>This Inner Loop Header: Depth=1
	s_delay_alu instid0(VALU_DEP_2) | instskip(NEXT) | instid1(VALU_DEP_1)
	v_add_nc_u32_e32 v3, v6, v7
	v_lshrrev_b32_e32 v3, 1, v3
	s_delay_alu instid0(VALU_DEP_1) | instskip(NEXT) | instid1(VALU_DEP_1)
	v_lshlrev_b64_e32 v[8:9], 2, v[3:4]
	v_add_co_u32 v8, vcc_lo, s4, v8
	s_wait_alu 0xfffd
	s_delay_alu instid0(VALU_DEP_2)
	v_add_co_ci_u32_e64 v9, null, s5, v9, vcc_lo
	global_load_b32 v8, v[8:9], off
	s_wait_loadcnt 0x0
	v_cmp_gt_u32_e32 vcc_lo, v5, v8
	s_wait_alu 0xfffd
	v_cndmask_b32_e64 v9, 0, 1, vcc_lo
	v_cmp_le_u32_e32 vcc_lo, v8, v5
	s_wait_alu 0xfffd
	v_cndmask_b32_e64 v8, 0, 1, vcc_lo
	s_delay_alu instid0(VALU_DEP_1) | instskip(SKIP_1) | instid1(VALU_DEP_2)
	v_cndmask_b32_e64 v8, v8, v9, s0
	v_add_nc_u32_e32 v9, 1, v3
	v_and_b32_e32 v8, 1, v8
	s_delay_alu instid0(VALU_DEP_1) | instskip(SKIP_1) | instid1(VALU_DEP_3)
	v_cmp_eq_u32_e32 vcc_lo, 1, v8
	s_wait_alu 0xfffd
	v_dual_cndmask_b32 v7, v3, v7 :: v_dual_cndmask_b32 v6, v6, v9
	s_delay_alu instid0(VALU_DEP_1)
	v_cmp_ge_u32_e32 vcc_lo, v6, v7
	s_wait_alu 0xfffe
	s_or_b32 s1, vcc_lo, s1
	s_wait_alu 0xfffe
	s_and_not1_b32 exec_lo, exec_lo, s1
	s_cbranch_execnz .LBB42_21
; %bb.22:
	s_or_b32 exec_lo, exec_lo, s1
.LBB42_23:
	s_delay_alu instid0(VALU_DEP_1) | instskip(NEXT) | instid1(VALU_DEP_1)
	v_dual_mov_b32 v4, 0 :: v_dual_add_nc_u32 v3, v6, v0
	v_lshlrev_b64_e32 v[6:7], 2, v[3:4]
	v_lshlrev_b64_e32 v[3:4], 3, v[3:4]
	s_delay_alu instid0(VALU_DEP_2) | instskip(SKIP_1) | instid1(VALU_DEP_3)
	v_add_co_u32 v6, vcc_lo, s6, v6
	s_wait_alu 0xfffd
	v_add_co_ci_u32_e64 v7, null, s7, v7, vcc_lo
	s_delay_alu instid0(VALU_DEP_3)
	v_add_co_u32 v3, vcc_lo, s10, v3
	s_wait_alu 0xfffd
	v_add_co_ci_u32_e64 v4, null, s11, v4, vcc_lo
	s_wait_loadcnt 0x1
	global_store_b32 v[6:7], v5, off
	s_wait_loadcnt 0x0
	global_store_b64 v[3:4], v[1:2], off
.LBB42_24:
	s_endpgm
	.section	.rodata,"a",@progbits
	.p2align	6, 0x0
	.amdhsa_kernel _ZN7rocprim17ROCPRIM_400000_NS6detail17trampoline_kernelINS0_14default_configENS1_38merge_sort_block_merge_config_selectorIjN6thrust23THRUST_200600_302600_NS5tupleIffNS6_9null_typeES8_S8_S8_S8_S8_S8_S8_EEEEZZNS1_27merge_sort_block_merge_implIS3_NS6_6detail15normal_iteratorINS6_10device_ptrIjEEEENSD_INSE_IS9_EEEEjNS1_19radix_merge_compareILb0ELb0EjNS0_19identity_decomposerEEEEE10hipError_tT0_T1_T2_jT3_P12ihipStream_tbPNSt15iterator_traitsISN_E10value_typeEPNST_ISO_E10value_typeEPSP_NS1_7vsmem_tEENKUlT_SN_SO_SP_E_clIPjSG_PS9_SI_EESM_S12_SN_SO_SP_EUlS12_E1_NS1_11comp_targetILNS1_3genE10ELNS1_11target_archE1201ELNS1_3gpuE5ELNS1_3repE0EEENS1_36merge_oddeven_config_static_selectorELNS0_4arch9wavefront6targetE0EEEvSO_
		.amdhsa_group_segment_fixed_size 0
		.amdhsa_private_segment_fixed_size 0
		.amdhsa_kernarg_size 48
		.amdhsa_user_sgpr_count 2
		.amdhsa_user_sgpr_dispatch_ptr 0
		.amdhsa_user_sgpr_queue_ptr 0
		.amdhsa_user_sgpr_kernarg_segment_ptr 1
		.amdhsa_user_sgpr_dispatch_id 0
		.amdhsa_user_sgpr_private_segment_size 0
		.amdhsa_wavefront_size32 1
		.amdhsa_uses_dynamic_stack 0
		.amdhsa_enable_private_segment 0
		.amdhsa_system_sgpr_workgroup_id_x 1
		.amdhsa_system_sgpr_workgroup_id_y 0
		.amdhsa_system_sgpr_workgroup_id_z 0
		.amdhsa_system_sgpr_workgroup_info 0
		.amdhsa_system_vgpr_workitem_id 0
		.amdhsa_next_free_vgpr 10
		.amdhsa_next_free_sgpr 20
		.amdhsa_reserve_vcc 1
		.amdhsa_float_round_mode_32 0
		.amdhsa_float_round_mode_16_64 0
		.amdhsa_float_denorm_mode_32 3
		.amdhsa_float_denorm_mode_16_64 3
		.amdhsa_fp16_overflow 0
		.amdhsa_workgroup_processor_mode 1
		.amdhsa_memory_ordered 1
		.amdhsa_forward_progress 1
		.amdhsa_inst_pref_size 9
		.amdhsa_round_robin_scheduling 0
		.amdhsa_exception_fp_ieee_invalid_op 0
		.amdhsa_exception_fp_denorm_src 0
		.amdhsa_exception_fp_ieee_div_zero 0
		.amdhsa_exception_fp_ieee_overflow 0
		.amdhsa_exception_fp_ieee_underflow 0
		.amdhsa_exception_fp_ieee_inexact 0
		.amdhsa_exception_int_div_zero 0
	.end_amdhsa_kernel
	.section	.text._ZN7rocprim17ROCPRIM_400000_NS6detail17trampoline_kernelINS0_14default_configENS1_38merge_sort_block_merge_config_selectorIjN6thrust23THRUST_200600_302600_NS5tupleIffNS6_9null_typeES8_S8_S8_S8_S8_S8_S8_EEEEZZNS1_27merge_sort_block_merge_implIS3_NS6_6detail15normal_iteratorINS6_10device_ptrIjEEEENSD_INSE_IS9_EEEEjNS1_19radix_merge_compareILb0ELb0EjNS0_19identity_decomposerEEEEE10hipError_tT0_T1_T2_jT3_P12ihipStream_tbPNSt15iterator_traitsISN_E10value_typeEPNST_ISO_E10value_typeEPSP_NS1_7vsmem_tEENKUlT_SN_SO_SP_E_clIPjSG_PS9_SI_EESM_S12_SN_SO_SP_EUlS12_E1_NS1_11comp_targetILNS1_3genE10ELNS1_11target_archE1201ELNS1_3gpuE5ELNS1_3repE0EEENS1_36merge_oddeven_config_static_selectorELNS0_4arch9wavefront6targetE0EEEvSO_,"axG",@progbits,_ZN7rocprim17ROCPRIM_400000_NS6detail17trampoline_kernelINS0_14default_configENS1_38merge_sort_block_merge_config_selectorIjN6thrust23THRUST_200600_302600_NS5tupleIffNS6_9null_typeES8_S8_S8_S8_S8_S8_S8_EEEEZZNS1_27merge_sort_block_merge_implIS3_NS6_6detail15normal_iteratorINS6_10device_ptrIjEEEENSD_INSE_IS9_EEEEjNS1_19radix_merge_compareILb0ELb0EjNS0_19identity_decomposerEEEEE10hipError_tT0_T1_T2_jT3_P12ihipStream_tbPNSt15iterator_traitsISN_E10value_typeEPNST_ISO_E10value_typeEPSP_NS1_7vsmem_tEENKUlT_SN_SO_SP_E_clIPjSG_PS9_SI_EESM_S12_SN_SO_SP_EUlS12_E1_NS1_11comp_targetILNS1_3genE10ELNS1_11target_archE1201ELNS1_3gpuE5ELNS1_3repE0EEENS1_36merge_oddeven_config_static_selectorELNS0_4arch9wavefront6targetE0EEEvSO_,comdat
.Lfunc_end42:
	.size	_ZN7rocprim17ROCPRIM_400000_NS6detail17trampoline_kernelINS0_14default_configENS1_38merge_sort_block_merge_config_selectorIjN6thrust23THRUST_200600_302600_NS5tupleIffNS6_9null_typeES8_S8_S8_S8_S8_S8_S8_EEEEZZNS1_27merge_sort_block_merge_implIS3_NS6_6detail15normal_iteratorINS6_10device_ptrIjEEEENSD_INSE_IS9_EEEEjNS1_19radix_merge_compareILb0ELb0EjNS0_19identity_decomposerEEEEE10hipError_tT0_T1_T2_jT3_P12ihipStream_tbPNSt15iterator_traitsISN_E10value_typeEPNST_ISO_E10value_typeEPSP_NS1_7vsmem_tEENKUlT_SN_SO_SP_E_clIPjSG_PS9_SI_EESM_S12_SN_SO_SP_EUlS12_E1_NS1_11comp_targetILNS1_3genE10ELNS1_11target_archE1201ELNS1_3gpuE5ELNS1_3repE0EEENS1_36merge_oddeven_config_static_selectorELNS0_4arch9wavefront6targetE0EEEvSO_, .Lfunc_end42-_ZN7rocprim17ROCPRIM_400000_NS6detail17trampoline_kernelINS0_14default_configENS1_38merge_sort_block_merge_config_selectorIjN6thrust23THRUST_200600_302600_NS5tupleIffNS6_9null_typeES8_S8_S8_S8_S8_S8_S8_EEEEZZNS1_27merge_sort_block_merge_implIS3_NS6_6detail15normal_iteratorINS6_10device_ptrIjEEEENSD_INSE_IS9_EEEEjNS1_19radix_merge_compareILb0ELb0EjNS0_19identity_decomposerEEEEE10hipError_tT0_T1_T2_jT3_P12ihipStream_tbPNSt15iterator_traitsISN_E10value_typeEPNST_ISO_E10value_typeEPSP_NS1_7vsmem_tEENKUlT_SN_SO_SP_E_clIPjSG_PS9_SI_EESM_S12_SN_SO_SP_EUlS12_E1_NS1_11comp_targetILNS1_3genE10ELNS1_11target_archE1201ELNS1_3gpuE5ELNS1_3repE0EEENS1_36merge_oddeven_config_static_selectorELNS0_4arch9wavefront6targetE0EEEvSO_
                                        ; -- End function
	.set _ZN7rocprim17ROCPRIM_400000_NS6detail17trampoline_kernelINS0_14default_configENS1_38merge_sort_block_merge_config_selectorIjN6thrust23THRUST_200600_302600_NS5tupleIffNS6_9null_typeES8_S8_S8_S8_S8_S8_S8_EEEEZZNS1_27merge_sort_block_merge_implIS3_NS6_6detail15normal_iteratorINS6_10device_ptrIjEEEENSD_INSE_IS9_EEEEjNS1_19radix_merge_compareILb0ELb0EjNS0_19identity_decomposerEEEEE10hipError_tT0_T1_T2_jT3_P12ihipStream_tbPNSt15iterator_traitsISN_E10value_typeEPNST_ISO_E10value_typeEPSP_NS1_7vsmem_tEENKUlT_SN_SO_SP_E_clIPjSG_PS9_SI_EESM_S12_SN_SO_SP_EUlS12_E1_NS1_11comp_targetILNS1_3genE10ELNS1_11target_archE1201ELNS1_3gpuE5ELNS1_3repE0EEENS1_36merge_oddeven_config_static_selectorELNS0_4arch9wavefront6targetE0EEEvSO_.num_vgpr, 10
	.set _ZN7rocprim17ROCPRIM_400000_NS6detail17trampoline_kernelINS0_14default_configENS1_38merge_sort_block_merge_config_selectorIjN6thrust23THRUST_200600_302600_NS5tupleIffNS6_9null_typeES8_S8_S8_S8_S8_S8_S8_EEEEZZNS1_27merge_sort_block_merge_implIS3_NS6_6detail15normal_iteratorINS6_10device_ptrIjEEEENSD_INSE_IS9_EEEEjNS1_19radix_merge_compareILb0ELb0EjNS0_19identity_decomposerEEEEE10hipError_tT0_T1_T2_jT3_P12ihipStream_tbPNSt15iterator_traitsISN_E10value_typeEPNST_ISO_E10value_typeEPSP_NS1_7vsmem_tEENKUlT_SN_SO_SP_E_clIPjSG_PS9_SI_EESM_S12_SN_SO_SP_EUlS12_E1_NS1_11comp_targetILNS1_3genE10ELNS1_11target_archE1201ELNS1_3gpuE5ELNS1_3repE0EEENS1_36merge_oddeven_config_static_selectorELNS0_4arch9wavefront6targetE0EEEvSO_.num_agpr, 0
	.set _ZN7rocprim17ROCPRIM_400000_NS6detail17trampoline_kernelINS0_14default_configENS1_38merge_sort_block_merge_config_selectorIjN6thrust23THRUST_200600_302600_NS5tupleIffNS6_9null_typeES8_S8_S8_S8_S8_S8_S8_EEEEZZNS1_27merge_sort_block_merge_implIS3_NS6_6detail15normal_iteratorINS6_10device_ptrIjEEEENSD_INSE_IS9_EEEEjNS1_19radix_merge_compareILb0ELb0EjNS0_19identity_decomposerEEEEE10hipError_tT0_T1_T2_jT3_P12ihipStream_tbPNSt15iterator_traitsISN_E10value_typeEPNST_ISO_E10value_typeEPSP_NS1_7vsmem_tEENKUlT_SN_SO_SP_E_clIPjSG_PS9_SI_EESM_S12_SN_SO_SP_EUlS12_E1_NS1_11comp_targetILNS1_3genE10ELNS1_11target_archE1201ELNS1_3gpuE5ELNS1_3repE0EEENS1_36merge_oddeven_config_static_selectorELNS0_4arch9wavefront6targetE0EEEvSO_.numbered_sgpr, 20
	.set _ZN7rocprim17ROCPRIM_400000_NS6detail17trampoline_kernelINS0_14default_configENS1_38merge_sort_block_merge_config_selectorIjN6thrust23THRUST_200600_302600_NS5tupleIffNS6_9null_typeES8_S8_S8_S8_S8_S8_S8_EEEEZZNS1_27merge_sort_block_merge_implIS3_NS6_6detail15normal_iteratorINS6_10device_ptrIjEEEENSD_INSE_IS9_EEEEjNS1_19radix_merge_compareILb0ELb0EjNS0_19identity_decomposerEEEEE10hipError_tT0_T1_T2_jT3_P12ihipStream_tbPNSt15iterator_traitsISN_E10value_typeEPNST_ISO_E10value_typeEPSP_NS1_7vsmem_tEENKUlT_SN_SO_SP_E_clIPjSG_PS9_SI_EESM_S12_SN_SO_SP_EUlS12_E1_NS1_11comp_targetILNS1_3genE10ELNS1_11target_archE1201ELNS1_3gpuE5ELNS1_3repE0EEENS1_36merge_oddeven_config_static_selectorELNS0_4arch9wavefront6targetE0EEEvSO_.num_named_barrier, 0
	.set _ZN7rocprim17ROCPRIM_400000_NS6detail17trampoline_kernelINS0_14default_configENS1_38merge_sort_block_merge_config_selectorIjN6thrust23THRUST_200600_302600_NS5tupleIffNS6_9null_typeES8_S8_S8_S8_S8_S8_S8_EEEEZZNS1_27merge_sort_block_merge_implIS3_NS6_6detail15normal_iteratorINS6_10device_ptrIjEEEENSD_INSE_IS9_EEEEjNS1_19radix_merge_compareILb0ELb0EjNS0_19identity_decomposerEEEEE10hipError_tT0_T1_T2_jT3_P12ihipStream_tbPNSt15iterator_traitsISN_E10value_typeEPNST_ISO_E10value_typeEPSP_NS1_7vsmem_tEENKUlT_SN_SO_SP_E_clIPjSG_PS9_SI_EESM_S12_SN_SO_SP_EUlS12_E1_NS1_11comp_targetILNS1_3genE10ELNS1_11target_archE1201ELNS1_3gpuE5ELNS1_3repE0EEENS1_36merge_oddeven_config_static_selectorELNS0_4arch9wavefront6targetE0EEEvSO_.private_seg_size, 0
	.set _ZN7rocprim17ROCPRIM_400000_NS6detail17trampoline_kernelINS0_14default_configENS1_38merge_sort_block_merge_config_selectorIjN6thrust23THRUST_200600_302600_NS5tupleIffNS6_9null_typeES8_S8_S8_S8_S8_S8_S8_EEEEZZNS1_27merge_sort_block_merge_implIS3_NS6_6detail15normal_iteratorINS6_10device_ptrIjEEEENSD_INSE_IS9_EEEEjNS1_19radix_merge_compareILb0ELb0EjNS0_19identity_decomposerEEEEE10hipError_tT0_T1_T2_jT3_P12ihipStream_tbPNSt15iterator_traitsISN_E10value_typeEPNST_ISO_E10value_typeEPSP_NS1_7vsmem_tEENKUlT_SN_SO_SP_E_clIPjSG_PS9_SI_EESM_S12_SN_SO_SP_EUlS12_E1_NS1_11comp_targetILNS1_3genE10ELNS1_11target_archE1201ELNS1_3gpuE5ELNS1_3repE0EEENS1_36merge_oddeven_config_static_selectorELNS0_4arch9wavefront6targetE0EEEvSO_.uses_vcc, 1
	.set _ZN7rocprim17ROCPRIM_400000_NS6detail17trampoline_kernelINS0_14default_configENS1_38merge_sort_block_merge_config_selectorIjN6thrust23THRUST_200600_302600_NS5tupleIffNS6_9null_typeES8_S8_S8_S8_S8_S8_S8_EEEEZZNS1_27merge_sort_block_merge_implIS3_NS6_6detail15normal_iteratorINS6_10device_ptrIjEEEENSD_INSE_IS9_EEEEjNS1_19radix_merge_compareILb0ELb0EjNS0_19identity_decomposerEEEEE10hipError_tT0_T1_T2_jT3_P12ihipStream_tbPNSt15iterator_traitsISN_E10value_typeEPNST_ISO_E10value_typeEPSP_NS1_7vsmem_tEENKUlT_SN_SO_SP_E_clIPjSG_PS9_SI_EESM_S12_SN_SO_SP_EUlS12_E1_NS1_11comp_targetILNS1_3genE10ELNS1_11target_archE1201ELNS1_3gpuE5ELNS1_3repE0EEENS1_36merge_oddeven_config_static_selectorELNS0_4arch9wavefront6targetE0EEEvSO_.uses_flat_scratch, 0
	.set _ZN7rocprim17ROCPRIM_400000_NS6detail17trampoline_kernelINS0_14default_configENS1_38merge_sort_block_merge_config_selectorIjN6thrust23THRUST_200600_302600_NS5tupleIffNS6_9null_typeES8_S8_S8_S8_S8_S8_S8_EEEEZZNS1_27merge_sort_block_merge_implIS3_NS6_6detail15normal_iteratorINS6_10device_ptrIjEEEENSD_INSE_IS9_EEEEjNS1_19radix_merge_compareILb0ELb0EjNS0_19identity_decomposerEEEEE10hipError_tT0_T1_T2_jT3_P12ihipStream_tbPNSt15iterator_traitsISN_E10value_typeEPNST_ISO_E10value_typeEPSP_NS1_7vsmem_tEENKUlT_SN_SO_SP_E_clIPjSG_PS9_SI_EESM_S12_SN_SO_SP_EUlS12_E1_NS1_11comp_targetILNS1_3genE10ELNS1_11target_archE1201ELNS1_3gpuE5ELNS1_3repE0EEENS1_36merge_oddeven_config_static_selectorELNS0_4arch9wavefront6targetE0EEEvSO_.has_dyn_sized_stack, 0
	.set _ZN7rocprim17ROCPRIM_400000_NS6detail17trampoline_kernelINS0_14default_configENS1_38merge_sort_block_merge_config_selectorIjN6thrust23THRUST_200600_302600_NS5tupleIffNS6_9null_typeES8_S8_S8_S8_S8_S8_S8_EEEEZZNS1_27merge_sort_block_merge_implIS3_NS6_6detail15normal_iteratorINS6_10device_ptrIjEEEENSD_INSE_IS9_EEEEjNS1_19radix_merge_compareILb0ELb0EjNS0_19identity_decomposerEEEEE10hipError_tT0_T1_T2_jT3_P12ihipStream_tbPNSt15iterator_traitsISN_E10value_typeEPNST_ISO_E10value_typeEPSP_NS1_7vsmem_tEENKUlT_SN_SO_SP_E_clIPjSG_PS9_SI_EESM_S12_SN_SO_SP_EUlS12_E1_NS1_11comp_targetILNS1_3genE10ELNS1_11target_archE1201ELNS1_3gpuE5ELNS1_3repE0EEENS1_36merge_oddeven_config_static_selectorELNS0_4arch9wavefront6targetE0EEEvSO_.has_recursion, 0
	.set _ZN7rocprim17ROCPRIM_400000_NS6detail17trampoline_kernelINS0_14default_configENS1_38merge_sort_block_merge_config_selectorIjN6thrust23THRUST_200600_302600_NS5tupleIffNS6_9null_typeES8_S8_S8_S8_S8_S8_S8_EEEEZZNS1_27merge_sort_block_merge_implIS3_NS6_6detail15normal_iteratorINS6_10device_ptrIjEEEENSD_INSE_IS9_EEEEjNS1_19radix_merge_compareILb0ELb0EjNS0_19identity_decomposerEEEEE10hipError_tT0_T1_T2_jT3_P12ihipStream_tbPNSt15iterator_traitsISN_E10value_typeEPNST_ISO_E10value_typeEPSP_NS1_7vsmem_tEENKUlT_SN_SO_SP_E_clIPjSG_PS9_SI_EESM_S12_SN_SO_SP_EUlS12_E1_NS1_11comp_targetILNS1_3genE10ELNS1_11target_archE1201ELNS1_3gpuE5ELNS1_3repE0EEENS1_36merge_oddeven_config_static_selectorELNS0_4arch9wavefront6targetE0EEEvSO_.has_indirect_call, 0
	.section	.AMDGPU.csdata,"",@progbits
; Kernel info:
; codeLenInByte = 1140
; TotalNumSgprs: 22
; NumVgprs: 10
; ScratchSize: 0
; MemoryBound: 0
; FloatMode: 240
; IeeeMode: 1
; LDSByteSize: 0 bytes/workgroup (compile time only)
; SGPRBlocks: 0
; VGPRBlocks: 1
; NumSGPRsForWavesPerEU: 22
; NumVGPRsForWavesPerEU: 10
; Occupancy: 16
; WaveLimiterHint : 0
; COMPUTE_PGM_RSRC2:SCRATCH_EN: 0
; COMPUTE_PGM_RSRC2:USER_SGPR: 2
; COMPUTE_PGM_RSRC2:TRAP_HANDLER: 0
; COMPUTE_PGM_RSRC2:TGID_X_EN: 1
; COMPUTE_PGM_RSRC2:TGID_Y_EN: 0
; COMPUTE_PGM_RSRC2:TGID_Z_EN: 0
; COMPUTE_PGM_RSRC2:TIDIG_COMP_CNT: 0
	.section	.text._ZN7rocprim17ROCPRIM_400000_NS6detail17trampoline_kernelINS0_14default_configENS1_38merge_sort_block_merge_config_selectorIjN6thrust23THRUST_200600_302600_NS5tupleIffNS6_9null_typeES8_S8_S8_S8_S8_S8_S8_EEEEZZNS1_27merge_sort_block_merge_implIS3_NS6_6detail15normal_iteratorINS6_10device_ptrIjEEEENSD_INSE_IS9_EEEEjNS1_19radix_merge_compareILb0ELb0EjNS0_19identity_decomposerEEEEE10hipError_tT0_T1_T2_jT3_P12ihipStream_tbPNSt15iterator_traitsISN_E10value_typeEPNST_ISO_E10value_typeEPSP_NS1_7vsmem_tEENKUlT_SN_SO_SP_E_clIPjSG_PS9_SI_EESM_S12_SN_SO_SP_EUlS12_E1_NS1_11comp_targetILNS1_3genE5ELNS1_11target_archE942ELNS1_3gpuE9ELNS1_3repE0EEENS1_36merge_oddeven_config_static_selectorELNS0_4arch9wavefront6targetE0EEEvSO_,"axG",@progbits,_ZN7rocprim17ROCPRIM_400000_NS6detail17trampoline_kernelINS0_14default_configENS1_38merge_sort_block_merge_config_selectorIjN6thrust23THRUST_200600_302600_NS5tupleIffNS6_9null_typeES8_S8_S8_S8_S8_S8_S8_EEEEZZNS1_27merge_sort_block_merge_implIS3_NS6_6detail15normal_iteratorINS6_10device_ptrIjEEEENSD_INSE_IS9_EEEEjNS1_19radix_merge_compareILb0ELb0EjNS0_19identity_decomposerEEEEE10hipError_tT0_T1_T2_jT3_P12ihipStream_tbPNSt15iterator_traitsISN_E10value_typeEPNST_ISO_E10value_typeEPSP_NS1_7vsmem_tEENKUlT_SN_SO_SP_E_clIPjSG_PS9_SI_EESM_S12_SN_SO_SP_EUlS12_E1_NS1_11comp_targetILNS1_3genE5ELNS1_11target_archE942ELNS1_3gpuE9ELNS1_3repE0EEENS1_36merge_oddeven_config_static_selectorELNS0_4arch9wavefront6targetE0EEEvSO_,comdat
	.protected	_ZN7rocprim17ROCPRIM_400000_NS6detail17trampoline_kernelINS0_14default_configENS1_38merge_sort_block_merge_config_selectorIjN6thrust23THRUST_200600_302600_NS5tupleIffNS6_9null_typeES8_S8_S8_S8_S8_S8_S8_EEEEZZNS1_27merge_sort_block_merge_implIS3_NS6_6detail15normal_iteratorINS6_10device_ptrIjEEEENSD_INSE_IS9_EEEEjNS1_19radix_merge_compareILb0ELb0EjNS0_19identity_decomposerEEEEE10hipError_tT0_T1_T2_jT3_P12ihipStream_tbPNSt15iterator_traitsISN_E10value_typeEPNST_ISO_E10value_typeEPSP_NS1_7vsmem_tEENKUlT_SN_SO_SP_E_clIPjSG_PS9_SI_EESM_S12_SN_SO_SP_EUlS12_E1_NS1_11comp_targetILNS1_3genE5ELNS1_11target_archE942ELNS1_3gpuE9ELNS1_3repE0EEENS1_36merge_oddeven_config_static_selectorELNS0_4arch9wavefront6targetE0EEEvSO_ ; -- Begin function _ZN7rocprim17ROCPRIM_400000_NS6detail17trampoline_kernelINS0_14default_configENS1_38merge_sort_block_merge_config_selectorIjN6thrust23THRUST_200600_302600_NS5tupleIffNS6_9null_typeES8_S8_S8_S8_S8_S8_S8_EEEEZZNS1_27merge_sort_block_merge_implIS3_NS6_6detail15normal_iteratorINS6_10device_ptrIjEEEENSD_INSE_IS9_EEEEjNS1_19radix_merge_compareILb0ELb0EjNS0_19identity_decomposerEEEEE10hipError_tT0_T1_T2_jT3_P12ihipStream_tbPNSt15iterator_traitsISN_E10value_typeEPNST_ISO_E10value_typeEPSP_NS1_7vsmem_tEENKUlT_SN_SO_SP_E_clIPjSG_PS9_SI_EESM_S12_SN_SO_SP_EUlS12_E1_NS1_11comp_targetILNS1_3genE5ELNS1_11target_archE942ELNS1_3gpuE9ELNS1_3repE0EEENS1_36merge_oddeven_config_static_selectorELNS0_4arch9wavefront6targetE0EEEvSO_
	.globl	_ZN7rocprim17ROCPRIM_400000_NS6detail17trampoline_kernelINS0_14default_configENS1_38merge_sort_block_merge_config_selectorIjN6thrust23THRUST_200600_302600_NS5tupleIffNS6_9null_typeES8_S8_S8_S8_S8_S8_S8_EEEEZZNS1_27merge_sort_block_merge_implIS3_NS6_6detail15normal_iteratorINS6_10device_ptrIjEEEENSD_INSE_IS9_EEEEjNS1_19radix_merge_compareILb0ELb0EjNS0_19identity_decomposerEEEEE10hipError_tT0_T1_T2_jT3_P12ihipStream_tbPNSt15iterator_traitsISN_E10value_typeEPNST_ISO_E10value_typeEPSP_NS1_7vsmem_tEENKUlT_SN_SO_SP_E_clIPjSG_PS9_SI_EESM_S12_SN_SO_SP_EUlS12_E1_NS1_11comp_targetILNS1_3genE5ELNS1_11target_archE942ELNS1_3gpuE9ELNS1_3repE0EEENS1_36merge_oddeven_config_static_selectorELNS0_4arch9wavefront6targetE0EEEvSO_
	.p2align	8
	.type	_ZN7rocprim17ROCPRIM_400000_NS6detail17trampoline_kernelINS0_14default_configENS1_38merge_sort_block_merge_config_selectorIjN6thrust23THRUST_200600_302600_NS5tupleIffNS6_9null_typeES8_S8_S8_S8_S8_S8_S8_EEEEZZNS1_27merge_sort_block_merge_implIS3_NS6_6detail15normal_iteratorINS6_10device_ptrIjEEEENSD_INSE_IS9_EEEEjNS1_19radix_merge_compareILb0ELb0EjNS0_19identity_decomposerEEEEE10hipError_tT0_T1_T2_jT3_P12ihipStream_tbPNSt15iterator_traitsISN_E10value_typeEPNST_ISO_E10value_typeEPSP_NS1_7vsmem_tEENKUlT_SN_SO_SP_E_clIPjSG_PS9_SI_EESM_S12_SN_SO_SP_EUlS12_E1_NS1_11comp_targetILNS1_3genE5ELNS1_11target_archE942ELNS1_3gpuE9ELNS1_3repE0EEENS1_36merge_oddeven_config_static_selectorELNS0_4arch9wavefront6targetE0EEEvSO_,@function
_ZN7rocprim17ROCPRIM_400000_NS6detail17trampoline_kernelINS0_14default_configENS1_38merge_sort_block_merge_config_selectorIjN6thrust23THRUST_200600_302600_NS5tupleIffNS6_9null_typeES8_S8_S8_S8_S8_S8_S8_EEEEZZNS1_27merge_sort_block_merge_implIS3_NS6_6detail15normal_iteratorINS6_10device_ptrIjEEEENSD_INSE_IS9_EEEEjNS1_19radix_merge_compareILb0ELb0EjNS0_19identity_decomposerEEEEE10hipError_tT0_T1_T2_jT3_P12ihipStream_tbPNSt15iterator_traitsISN_E10value_typeEPNST_ISO_E10value_typeEPSP_NS1_7vsmem_tEENKUlT_SN_SO_SP_E_clIPjSG_PS9_SI_EESM_S12_SN_SO_SP_EUlS12_E1_NS1_11comp_targetILNS1_3genE5ELNS1_11target_archE942ELNS1_3gpuE9ELNS1_3repE0EEENS1_36merge_oddeven_config_static_selectorELNS0_4arch9wavefront6targetE0EEEvSO_: ; @_ZN7rocprim17ROCPRIM_400000_NS6detail17trampoline_kernelINS0_14default_configENS1_38merge_sort_block_merge_config_selectorIjN6thrust23THRUST_200600_302600_NS5tupleIffNS6_9null_typeES8_S8_S8_S8_S8_S8_S8_EEEEZZNS1_27merge_sort_block_merge_implIS3_NS6_6detail15normal_iteratorINS6_10device_ptrIjEEEENSD_INSE_IS9_EEEEjNS1_19radix_merge_compareILb0ELb0EjNS0_19identity_decomposerEEEEE10hipError_tT0_T1_T2_jT3_P12ihipStream_tbPNSt15iterator_traitsISN_E10value_typeEPNST_ISO_E10value_typeEPSP_NS1_7vsmem_tEENKUlT_SN_SO_SP_E_clIPjSG_PS9_SI_EESM_S12_SN_SO_SP_EUlS12_E1_NS1_11comp_targetILNS1_3genE5ELNS1_11target_archE942ELNS1_3gpuE9ELNS1_3repE0EEENS1_36merge_oddeven_config_static_selectorELNS0_4arch9wavefront6targetE0EEEvSO_
; %bb.0:
	.section	.rodata,"a",@progbits
	.p2align	6, 0x0
	.amdhsa_kernel _ZN7rocprim17ROCPRIM_400000_NS6detail17trampoline_kernelINS0_14default_configENS1_38merge_sort_block_merge_config_selectorIjN6thrust23THRUST_200600_302600_NS5tupleIffNS6_9null_typeES8_S8_S8_S8_S8_S8_S8_EEEEZZNS1_27merge_sort_block_merge_implIS3_NS6_6detail15normal_iteratorINS6_10device_ptrIjEEEENSD_INSE_IS9_EEEEjNS1_19radix_merge_compareILb0ELb0EjNS0_19identity_decomposerEEEEE10hipError_tT0_T1_T2_jT3_P12ihipStream_tbPNSt15iterator_traitsISN_E10value_typeEPNST_ISO_E10value_typeEPSP_NS1_7vsmem_tEENKUlT_SN_SO_SP_E_clIPjSG_PS9_SI_EESM_S12_SN_SO_SP_EUlS12_E1_NS1_11comp_targetILNS1_3genE5ELNS1_11target_archE942ELNS1_3gpuE9ELNS1_3repE0EEENS1_36merge_oddeven_config_static_selectorELNS0_4arch9wavefront6targetE0EEEvSO_
		.amdhsa_group_segment_fixed_size 0
		.amdhsa_private_segment_fixed_size 0
		.amdhsa_kernarg_size 48
		.amdhsa_user_sgpr_count 2
		.amdhsa_user_sgpr_dispatch_ptr 0
		.amdhsa_user_sgpr_queue_ptr 0
		.amdhsa_user_sgpr_kernarg_segment_ptr 1
		.amdhsa_user_sgpr_dispatch_id 0
		.amdhsa_user_sgpr_private_segment_size 0
		.amdhsa_wavefront_size32 1
		.amdhsa_uses_dynamic_stack 0
		.amdhsa_enable_private_segment 0
		.amdhsa_system_sgpr_workgroup_id_x 1
		.amdhsa_system_sgpr_workgroup_id_y 0
		.amdhsa_system_sgpr_workgroup_id_z 0
		.amdhsa_system_sgpr_workgroup_info 0
		.amdhsa_system_vgpr_workitem_id 0
		.amdhsa_next_free_vgpr 1
		.amdhsa_next_free_sgpr 1
		.amdhsa_reserve_vcc 0
		.amdhsa_float_round_mode_32 0
		.amdhsa_float_round_mode_16_64 0
		.amdhsa_float_denorm_mode_32 3
		.amdhsa_float_denorm_mode_16_64 3
		.amdhsa_fp16_overflow 0
		.amdhsa_workgroup_processor_mode 1
		.amdhsa_memory_ordered 1
		.amdhsa_forward_progress 1
		.amdhsa_inst_pref_size 0
		.amdhsa_round_robin_scheduling 0
		.amdhsa_exception_fp_ieee_invalid_op 0
		.amdhsa_exception_fp_denorm_src 0
		.amdhsa_exception_fp_ieee_div_zero 0
		.amdhsa_exception_fp_ieee_overflow 0
		.amdhsa_exception_fp_ieee_underflow 0
		.amdhsa_exception_fp_ieee_inexact 0
		.amdhsa_exception_int_div_zero 0
	.end_amdhsa_kernel
	.section	.text._ZN7rocprim17ROCPRIM_400000_NS6detail17trampoline_kernelINS0_14default_configENS1_38merge_sort_block_merge_config_selectorIjN6thrust23THRUST_200600_302600_NS5tupleIffNS6_9null_typeES8_S8_S8_S8_S8_S8_S8_EEEEZZNS1_27merge_sort_block_merge_implIS3_NS6_6detail15normal_iteratorINS6_10device_ptrIjEEEENSD_INSE_IS9_EEEEjNS1_19radix_merge_compareILb0ELb0EjNS0_19identity_decomposerEEEEE10hipError_tT0_T1_T2_jT3_P12ihipStream_tbPNSt15iterator_traitsISN_E10value_typeEPNST_ISO_E10value_typeEPSP_NS1_7vsmem_tEENKUlT_SN_SO_SP_E_clIPjSG_PS9_SI_EESM_S12_SN_SO_SP_EUlS12_E1_NS1_11comp_targetILNS1_3genE5ELNS1_11target_archE942ELNS1_3gpuE9ELNS1_3repE0EEENS1_36merge_oddeven_config_static_selectorELNS0_4arch9wavefront6targetE0EEEvSO_,"axG",@progbits,_ZN7rocprim17ROCPRIM_400000_NS6detail17trampoline_kernelINS0_14default_configENS1_38merge_sort_block_merge_config_selectorIjN6thrust23THRUST_200600_302600_NS5tupleIffNS6_9null_typeES8_S8_S8_S8_S8_S8_S8_EEEEZZNS1_27merge_sort_block_merge_implIS3_NS6_6detail15normal_iteratorINS6_10device_ptrIjEEEENSD_INSE_IS9_EEEEjNS1_19radix_merge_compareILb0ELb0EjNS0_19identity_decomposerEEEEE10hipError_tT0_T1_T2_jT3_P12ihipStream_tbPNSt15iterator_traitsISN_E10value_typeEPNST_ISO_E10value_typeEPSP_NS1_7vsmem_tEENKUlT_SN_SO_SP_E_clIPjSG_PS9_SI_EESM_S12_SN_SO_SP_EUlS12_E1_NS1_11comp_targetILNS1_3genE5ELNS1_11target_archE942ELNS1_3gpuE9ELNS1_3repE0EEENS1_36merge_oddeven_config_static_selectorELNS0_4arch9wavefront6targetE0EEEvSO_,comdat
.Lfunc_end43:
	.size	_ZN7rocprim17ROCPRIM_400000_NS6detail17trampoline_kernelINS0_14default_configENS1_38merge_sort_block_merge_config_selectorIjN6thrust23THRUST_200600_302600_NS5tupleIffNS6_9null_typeES8_S8_S8_S8_S8_S8_S8_EEEEZZNS1_27merge_sort_block_merge_implIS3_NS6_6detail15normal_iteratorINS6_10device_ptrIjEEEENSD_INSE_IS9_EEEEjNS1_19radix_merge_compareILb0ELb0EjNS0_19identity_decomposerEEEEE10hipError_tT0_T1_T2_jT3_P12ihipStream_tbPNSt15iterator_traitsISN_E10value_typeEPNST_ISO_E10value_typeEPSP_NS1_7vsmem_tEENKUlT_SN_SO_SP_E_clIPjSG_PS9_SI_EESM_S12_SN_SO_SP_EUlS12_E1_NS1_11comp_targetILNS1_3genE5ELNS1_11target_archE942ELNS1_3gpuE9ELNS1_3repE0EEENS1_36merge_oddeven_config_static_selectorELNS0_4arch9wavefront6targetE0EEEvSO_, .Lfunc_end43-_ZN7rocprim17ROCPRIM_400000_NS6detail17trampoline_kernelINS0_14default_configENS1_38merge_sort_block_merge_config_selectorIjN6thrust23THRUST_200600_302600_NS5tupleIffNS6_9null_typeES8_S8_S8_S8_S8_S8_S8_EEEEZZNS1_27merge_sort_block_merge_implIS3_NS6_6detail15normal_iteratorINS6_10device_ptrIjEEEENSD_INSE_IS9_EEEEjNS1_19radix_merge_compareILb0ELb0EjNS0_19identity_decomposerEEEEE10hipError_tT0_T1_T2_jT3_P12ihipStream_tbPNSt15iterator_traitsISN_E10value_typeEPNST_ISO_E10value_typeEPSP_NS1_7vsmem_tEENKUlT_SN_SO_SP_E_clIPjSG_PS9_SI_EESM_S12_SN_SO_SP_EUlS12_E1_NS1_11comp_targetILNS1_3genE5ELNS1_11target_archE942ELNS1_3gpuE9ELNS1_3repE0EEENS1_36merge_oddeven_config_static_selectorELNS0_4arch9wavefront6targetE0EEEvSO_
                                        ; -- End function
	.set _ZN7rocprim17ROCPRIM_400000_NS6detail17trampoline_kernelINS0_14default_configENS1_38merge_sort_block_merge_config_selectorIjN6thrust23THRUST_200600_302600_NS5tupleIffNS6_9null_typeES8_S8_S8_S8_S8_S8_S8_EEEEZZNS1_27merge_sort_block_merge_implIS3_NS6_6detail15normal_iteratorINS6_10device_ptrIjEEEENSD_INSE_IS9_EEEEjNS1_19radix_merge_compareILb0ELb0EjNS0_19identity_decomposerEEEEE10hipError_tT0_T1_T2_jT3_P12ihipStream_tbPNSt15iterator_traitsISN_E10value_typeEPNST_ISO_E10value_typeEPSP_NS1_7vsmem_tEENKUlT_SN_SO_SP_E_clIPjSG_PS9_SI_EESM_S12_SN_SO_SP_EUlS12_E1_NS1_11comp_targetILNS1_3genE5ELNS1_11target_archE942ELNS1_3gpuE9ELNS1_3repE0EEENS1_36merge_oddeven_config_static_selectorELNS0_4arch9wavefront6targetE0EEEvSO_.num_vgpr, 0
	.set _ZN7rocprim17ROCPRIM_400000_NS6detail17trampoline_kernelINS0_14default_configENS1_38merge_sort_block_merge_config_selectorIjN6thrust23THRUST_200600_302600_NS5tupleIffNS6_9null_typeES8_S8_S8_S8_S8_S8_S8_EEEEZZNS1_27merge_sort_block_merge_implIS3_NS6_6detail15normal_iteratorINS6_10device_ptrIjEEEENSD_INSE_IS9_EEEEjNS1_19radix_merge_compareILb0ELb0EjNS0_19identity_decomposerEEEEE10hipError_tT0_T1_T2_jT3_P12ihipStream_tbPNSt15iterator_traitsISN_E10value_typeEPNST_ISO_E10value_typeEPSP_NS1_7vsmem_tEENKUlT_SN_SO_SP_E_clIPjSG_PS9_SI_EESM_S12_SN_SO_SP_EUlS12_E1_NS1_11comp_targetILNS1_3genE5ELNS1_11target_archE942ELNS1_3gpuE9ELNS1_3repE0EEENS1_36merge_oddeven_config_static_selectorELNS0_4arch9wavefront6targetE0EEEvSO_.num_agpr, 0
	.set _ZN7rocprim17ROCPRIM_400000_NS6detail17trampoline_kernelINS0_14default_configENS1_38merge_sort_block_merge_config_selectorIjN6thrust23THRUST_200600_302600_NS5tupleIffNS6_9null_typeES8_S8_S8_S8_S8_S8_S8_EEEEZZNS1_27merge_sort_block_merge_implIS3_NS6_6detail15normal_iteratorINS6_10device_ptrIjEEEENSD_INSE_IS9_EEEEjNS1_19radix_merge_compareILb0ELb0EjNS0_19identity_decomposerEEEEE10hipError_tT0_T1_T2_jT3_P12ihipStream_tbPNSt15iterator_traitsISN_E10value_typeEPNST_ISO_E10value_typeEPSP_NS1_7vsmem_tEENKUlT_SN_SO_SP_E_clIPjSG_PS9_SI_EESM_S12_SN_SO_SP_EUlS12_E1_NS1_11comp_targetILNS1_3genE5ELNS1_11target_archE942ELNS1_3gpuE9ELNS1_3repE0EEENS1_36merge_oddeven_config_static_selectorELNS0_4arch9wavefront6targetE0EEEvSO_.numbered_sgpr, 0
	.set _ZN7rocprim17ROCPRIM_400000_NS6detail17trampoline_kernelINS0_14default_configENS1_38merge_sort_block_merge_config_selectorIjN6thrust23THRUST_200600_302600_NS5tupleIffNS6_9null_typeES8_S8_S8_S8_S8_S8_S8_EEEEZZNS1_27merge_sort_block_merge_implIS3_NS6_6detail15normal_iteratorINS6_10device_ptrIjEEEENSD_INSE_IS9_EEEEjNS1_19radix_merge_compareILb0ELb0EjNS0_19identity_decomposerEEEEE10hipError_tT0_T1_T2_jT3_P12ihipStream_tbPNSt15iterator_traitsISN_E10value_typeEPNST_ISO_E10value_typeEPSP_NS1_7vsmem_tEENKUlT_SN_SO_SP_E_clIPjSG_PS9_SI_EESM_S12_SN_SO_SP_EUlS12_E1_NS1_11comp_targetILNS1_3genE5ELNS1_11target_archE942ELNS1_3gpuE9ELNS1_3repE0EEENS1_36merge_oddeven_config_static_selectorELNS0_4arch9wavefront6targetE0EEEvSO_.num_named_barrier, 0
	.set _ZN7rocprim17ROCPRIM_400000_NS6detail17trampoline_kernelINS0_14default_configENS1_38merge_sort_block_merge_config_selectorIjN6thrust23THRUST_200600_302600_NS5tupleIffNS6_9null_typeES8_S8_S8_S8_S8_S8_S8_EEEEZZNS1_27merge_sort_block_merge_implIS3_NS6_6detail15normal_iteratorINS6_10device_ptrIjEEEENSD_INSE_IS9_EEEEjNS1_19radix_merge_compareILb0ELb0EjNS0_19identity_decomposerEEEEE10hipError_tT0_T1_T2_jT3_P12ihipStream_tbPNSt15iterator_traitsISN_E10value_typeEPNST_ISO_E10value_typeEPSP_NS1_7vsmem_tEENKUlT_SN_SO_SP_E_clIPjSG_PS9_SI_EESM_S12_SN_SO_SP_EUlS12_E1_NS1_11comp_targetILNS1_3genE5ELNS1_11target_archE942ELNS1_3gpuE9ELNS1_3repE0EEENS1_36merge_oddeven_config_static_selectorELNS0_4arch9wavefront6targetE0EEEvSO_.private_seg_size, 0
	.set _ZN7rocprim17ROCPRIM_400000_NS6detail17trampoline_kernelINS0_14default_configENS1_38merge_sort_block_merge_config_selectorIjN6thrust23THRUST_200600_302600_NS5tupleIffNS6_9null_typeES8_S8_S8_S8_S8_S8_S8_EEEEZZNS1_27merge_sort_block_merge_implIS3_NS6_6detail15normal_iteratorINS6_10device_ptrIjEEEENSD_INSE_IS9_EEEEjNS1_19radix_merge_compareILb0ELb0EjNS0_19identity_decomposerEEEEE10hipError_tT0_T1_T2_jT3_P12ihipStream_tbPNSt15iterator_traitsISN_E10value_typeEPNST_ISO_E10value_typeEPSP_NS1_7vsmem_tEENKUlT_SN_SO_SP_E_clIPjSG_PS9_SI_EESM_S12_SN_SO_SP_EUlS12_E1_NS1_11comp_targetILNS1_3genE5ELNS1_11target_archE942ELNS1_3gpuE9ELNS1_3repE0EEENS1_36merge_oddeven_config_static_selectorELNS0_4arch9wavefront6targetE0EEEvSO_.uses_vcc, 0
	.set _ZN7rocprim17ROCPRIM_400000_NS6detail17trampoline_kernelINS0_14default_configENS1_38merge_sort_block_merge_config_selectorIjN6thrust23THRUST_200600_302600_NS5tupleIffNS6_9null_typeES8_S8_S8_S8_S8_S8_S8_EEEEZZNS1_27merge_sort_block_merge_implIS3_NS6_6detail15normal_iteratorINS6_10device_ptrIjEEEENSD_INSE_IS9_EEEEjNS1_19radix_merge_compareILb0ELb0EjNS0_19identity_decomposerEEEEE10hipError_tT0_T1_T2_jT3_P12ihipStream_tbPNSt15iterator_traitsISN_E10value_typeEPNST_ISO_E10value_typeEPSP_NS1_7vsmem_tEENKUlT_SN_SO_SP_E_clIPjSG_PS9_SI_EESM_S12_SN_SO_SP_EUlS12_E1_NS1_11comp_targetILNS1_3genE5ELNS1_11target_archE942ELNS1_3gpuE9ELNS1_3repE0EEENS1_36merge_oddeven_config_static_selectorELNS0_4arch9wavefront6targetE0EEEvSO_.uses_flat_scratch, 0
	.set _ZN7rocprim17ROCPRIM_400000_NS6detail17trampoline_kernelINS0_14default_configENS1_38merge_sort_block_merge_config_selectorIjN6thrust23THRUST_200600_302600_NS5tupleIffNS6_9null_typeES8_S8_S8_S8_S8_S8_S8_EEEEZZNS1_27merge_sort_block_merge_implIS3_NS6_6detail15normal_iteratorINS6_10device_ptrIjEEEENSD_INSE_IS9_EEEEjNS1_19radix_merge_compareILb0ELb0EjNS0_19identity_decomposerEEEEE10hipError_tT0_T1_T2_jT3_P12ihipStream_tbPNSt15iterator_traitsISN_E10value_typeEPNST_ISO_E10value_typeEPSP_NS1_7vsmem_tEENKUlT_SN_SO_SP_E_clIPjSG_PS9_SI_EESM_S12_SN_SO_SP_EUlS12_E1_NS1_11comp_targetILNS1_3genE5ELNS1_11target_archE942ELNS1_3gpuE9ELNS1_3repE0EEENS1_36merge_oddeven_config_static_selectorELNS0_4arch9wavefront6targetE0EEEvSO_.has_dyn_sized_stack, 0
	.set _ZN7rocprim17ROCPRIM_400000_NS6detail17trampoline_kernelINS0_14default_configENS1_38merge_sort_block_merge_config_selectorIjN6thrust23THRUST_200600_302600_NS5tupleIffNS6_9null_typeES8_S8_S8_S8_S8_S8_S8_EEEEZZNS1_27merge_sort_block_merge_implIS3_NS6_6detail15normal_iteratorINS6_10device_ptrIjEEEENSD_INSE_IS9_EEEEjNS1_19radix_merge_compareILb0ELb0EjNS0_19identity_decomposerEEEEE10hipError_tT0_T1_T2_jT3_P12ihipStream_tbPNSt15iterator_traitsISN_E10value_typeEPNST_ISO_E10value_typeEPSP_NS1_7vsmem_tEENKUlT_SN_SO_SP_E_clIPjSG_PS9_SI_EESM_S12_SN_SO_SP_EUlS12_E1_NS1_11comp_targetILNS1_3genE5ELNS1_11target_archE942ELNS1_3gpuE9ELNS1_3repE0EEENS1_36merge_oddeven_config_static_selectorELNS0_4arch9wavefront6targetE0EEEvSO_.has_recursion, 0
	.set _ZN7rocprim17ROCPRIM_400000_NS6detail17trampoline_kernelINS0_14default_configENS1_38merge_sort_block_merge_config_selectorIjN6thrust23THRUST_200600_302600_NS5tupleIffNS6_9null_typeES8_S8_S8_S8_S8_S8_S8_EEEEZZNS1_27merge_sort_block_merge_implIS3_NS6_6detail15normal_iteratorINS6_10device_ptrIjEEEENSD_INSE_IS9_EEEEjNS1_19radix_merge_compareILb0ELb0EjNS0_19identity_decomposerEEEEE10hipError_tT0_T1_T2_jT3_P12ihipStream_tbPNSt15iterator_traitsISN_E10value_typeEPNST_ISO_E10value_typeEPSP_NS1_7vsmem_tEENKUlT_SN_SO_SP_E_clIPjSG_PS9_SI_EESM_S12_SN_SO_SP_EUlS12_E1_NS1_11comp_targetILNS1_3genE5ELNS1_11target_archE942ELNS1_3gpuE9ELNS1_3repE0EEENS1_36merge_oddeven_config_static_selectorELNS0_4arch9wavefront6targetE0EEEvSO_.has_indirect_call, 0
	.section	.AMDGPU.csdata,"",@progbits
; Kernel info:
; codeLenInByte = 0
; TotalNumSgprs: 0
; NumVgprs: 0
; ScratchSize: 0
; MemoryBound: 0
; FloatMode: 240
; IeeeMode: 1
; LDSByteSize: 0 bytes/workgroup (compile time only)
; SGPRBlocks: 0
; VGPRBlocks: 0
; NumSGPRsForWavesPerEU: 1
; NumVGPRsForWavesPerEU: 1
; Occupancy: 16
; WaveLimiterHint : 0
; COMPUTE_PGM_RSRC2:SCRATCH_EN: 0
; COMPUTE_PGM_RSRC2:USER_SGPR: 2
; COMPUTE_PGM_RSRC2:TRAP_HANDLER: 0
; COMPUTE_PGM_RSRC2:TGID_X_EN: 1
; COMPUTE_PGM_RSRC2:TGID_Y_EN: 0
; COMPUTE_PGM_RSRC2:TGID_Z_EN: 0
; COMPUTE_PGM_RSRC2:TIDIG_COMP_CNT: 0
	.section	.text._ZN7rocprim17ROCPRIM_400000_NS6detail17trampoline_kernelINS0_14default_configENS1_38merge_sort_block_merge_config_selectorIjN6thrust23THRUST_200600_302600_NS5tupleIffNS6_9null_typeES8_S8_S8_S8_S8_S8_S8_EEEEZZNS1_27merge_sort_block_merge_implIS3_NS6_6detail15normal_iteratorINS6_10device_ptrIjEEEENSD_INSE_IS9_EEEEjNS1_19radix_merge_compareILb0ELb0EjNS0_19identity_decomposerEEEEE10hipError_tT0_T1_T2_jT3_P12ihipStream_tbPNSt15iterator_traitsISN_E10value_typeEPNST_ISO_E10value_typeEPSP_NS1_7vsmem_tEENKUlT_SN_SO_SP_E_clIPjSG_PS9_SI_EESM_S12_SN_SO_SP_EUlS12_E1_NS1_11comp_targetILNS1_3genE4ELNS1_11target_archE910ELNS1_3gpuE8ELNS1_3repE0EEENS1_36merge_oddeven_config_static_selectorELNS0_4arch9wavefront6targetE0EEEvSO_,"axG",@progbits,_ZN7rocprim17ROCPRIM_400000_NS6detail17trampoline_kernelINS0_14default_configENS1_38merge_sort_block_merge_config_selectorIjN6thrust23THRUST_200600_302600_NS5tupleIffNS6_9null_typeES8_S8_S8_S8_S8_S8_S8_EEEEZZNS1_27merge_sort_block_merge_implIS3_NS6_6detail15normal_iteratorINS6_10device_ptrIjEEEENSD_INSE_IS9_EEEEjNS1_19radix_merge_compareILb0ELb0EjNS0_19identity_decomposerEEEEE10hipError_tT0_T1_T2_jT3_P12ihipStream_tbPNSt15iterator_traitsISN_E10value_typeEPNST_ISO_E10value_typeEPSP_NS1_7vsmem_tEENKUlT_SN_SO_SP_E_clIPjSG_PS9_SI_EESM_S12_SN_SO_SP_EUlS12_E1_NS1_11comp_targetILNS1_3genE4ELNS1_11target_archE910ELNS1_3gpuE8ELNS1_3repE0EEENS1_36merge_oddeven_config_static_selectorELNS0_4arch9wavefront6targetE0EEEvSO_,comdat
	.protected	_ZN7rocprim17ROCPRIM_400000_NS6detail17trampoline_kernelINS0_14default_configENS1_38merge_sort_block_merge_config_selectorIjN6thrust23THRUST_200600_302600_NS5tupleIffNS6_9null_typeES8_S8_S8_S8_S8_S8_S8_EEEEZZNS1_27merge_sort_block_merge_implIS3_NS6_6detail15normal_iteratorINS6_10device_ptrIjEEEENSD_INSE_IS9_EEEEjNS1_19radix_merge_compareILb0ELb0EjNS0_19identity_decomposerEEEEE10hipError_tT0_T1_T2_jT3_P12ihipStream_tbPNSt15iterator_traitsISN_E10value_typeEPNST_ISO_E10value_typeEPSP_NS1_7vsmem_tEENKUlT_SN_SO_SP_E_clIPjSG_PS9_SI_EESM_S12_SN_SO_SP_EUlS12_E1_NS1_11comp_targetILNS1_3genE4ELNS1_11target_archE910ELNS1_3gpuE8ELNS1_3repE0EEENS1_36merge_oddeven_config_static_selectorELNS0_4arch9wavefront6targetE0EEEvSO_ ; -- Begin function _ZN7rocprim17ROCPRIM_400000_NS6detail17trampoline_kernelINS0_14default_configENS1_38merge_sort_block_merge_config_selectorIjN6thrust23THRUST_200600_302600_NS5tupleIffNS6_9null_typeES8_S8_S8_S8_S8_S8_S8_EEEEZZNS1_27merge_sort_block_merge_implIS3_NS6_6detail15normal_iteratorINS6_10device_ptrIjEEEENSD_INSE_IS9_EEEEjNS1_19radix_merge_compareILb0ELb0EjNS0_19identity_decomposerEEEEE10hipError_tT0_T1_T2_jT3_P12ihipStream_tbPNSt15iterator_traitsISN_E10value_typeEPNST_ISO_E10value_typeEPSP_NS1_7vsmem_tEENKUlT_SN_SO_SP_E_clIPjSG_PS9_SI_EESM_S12_SN_SO_SP_EUlS12_E1_NS1_11comp_targetILNS1_3genE4ELNS1_11target_archE910ELNS1_3gpuE8ELNS1_3repE0EEENS1_36merge_oddeven_config_static_selectorELNS0_4arch9wavefront6targetE0EEEvSO_
	.globl	_ZN7rocprim17ROCPRIM_400000_NS6detail17trampoline_kernelINS0_14default_configENS1_38merge_sort_block_merge_config_selectorIjN6thrust23THRUST_200600_302600_NS5tupleIffNS6_9null_typeES8_S8_S8_S8_S8_S8_S8_EEEEZZNS1_27merge_sort_block_merge_implIS3_NS6_6detail15normal_iteratorINS6_10device_ptrIjEEEENSD_INSE_IS9_EEEEjNS1_19radix_merge_compareILb0ELb0EjNS0_19identity_decomposerEEEEE10hipError_tT0_T1_T2_jT3_P12ihipStream_tbPNSt15iterator_traitsISN_E10value_typeEPNST_ISO_E10value_typeEPSP_NS1_7vsmem_tEENKUlT_SN_SO_SP_E_clIPjSG_PS9_SI_EESM_S12_SN_SO_SP_EUlS12_E1_NS1_11comp_targetILNS1_3genE4ELNS1_11target_archE910ELNS1_3gpuE8ELNS1_3repE0EEENS1_36merge_oddeven_config_static_selectorELNS0_4arch9wavefront6targetE0EEEvSO_
	.p2align	8
	.type	_ZN7rocprim17ROCPRIM_400000_NS6detail17trampoline_kernelINS0_14default_configENS1_38merge_sort_block_merge_config_selectorIjN6thrust23THRUST_200600_302600_NS5tupleIffNS6_9null_typeES8_S8_S8_S8_S8_S8_S8_EEEEZZNS1_27merge_sort_block_merge_implIS3_NS6_6detail15normal_iteratorINS6_10device_ptrIjEEEENSD_INSE_IS9_EEEEjNS1_19radix_merge_compareILb0ELb0EjNS0_19identity_decomposerEEEEE10hipError_tT0_T1_T2_jT3_P12ihipStream_tbPNSt15iterator_traitsISN_E10value_typeEPNST_ISO_E10value_typeEPSP_NS1_7vsmem_tEENKUlT_SN_SO_SP_E_clIPjSG_PS9_SI_EESM_S12_SN_SO_SP_EUlS12_E1_NS1_11comp_targetILNS1_3genE4ELNS1_11target_archE910ELNS1_3gpuE8ELNS1_3repE0EEENS1_36merge_oddeven_config_static_selectorELNS0_4arch9wavefront6targetE0EEEvSO_,@function
_ZN7rocprim17ROCPRIM_400000_NS6detail17trampoline_kernelINS0_14default_configENS1_38merge_sort_block_merge_config_selectorIjN6thrust23THRUST_200600_302600_NS5tupleIffNS6_9null_typeES8_S8_S8_S8_S8_S8_S8_EEEEZZNS1_27merge_sort_block_merge_implIS3_NS6_6detail15normal_iteratorINS6_10device_ptrIjEEEENSD_INSE_IS9_EEEEjNS1_19radix_merge_compareILb0ELb0EjNS0_19identity_decomposerEEEEE10hipError_tT0_T1_T2_jT3_P12ihipStream_tbPNSt15iterator_traitsISN_E10value_typeEPNST_ISO_E10value_typeEPSP_NS1_7vsmem_tEENKUlT_SN_SO_SP_E_clIPjSG_PS9_SI_EESM_S12_SN_SO_SP_EUlS12_E1_NS1_11comp_targetILNS1_3genE4ELNS1_11target_archE910ELNS1_3gpuE8ELNS1_3repE0EEENS1_36merge_oddeven_config_static_selectorELNS0_4arch9wavefront6targetE0EEEvSO_: ; @_ZN7rocprim17ROCPRIM_400000_NS6detail17trampoline_kernelINS0_14default_configENS1_38merge_sort_block_merge_config_selectorIjN6thrust23THRUST_200600_302600_NS5tupleIffNS6_9null_typeES8_S8_S8_S8_S8_S8_S8_EEEEZZNS1_27merge_sort_block_merge_implIS3_NS6_6detail15normal_iteratorINS6_10device_ptrIjEEEENSD_INSE_IS9_EEEEjNS1_19radix_merge_compareILb0ELb0EjNS0_19identity_decomposerEEEEE10hipError_tT0_T1_T2_jT3_P12ihipStream_tbPNSt15iterator_traitsISN_E10value_typeEPNST_ISO_E10value_typeEPSP_NS1_7vsmem_tEENKUlT_SN_SO_SP_E_clIPjSG_PS9_SI_EESM_S12_SN_SO_SP_EUlS12_E1_NS1_11comp_targetILNS1_3genE4ELNS1_11target_archE910ELNS1_3gpuE8ELNS1_3repE0EEENS1_36merge_oddeven_config_static_selectorELNS0_4arch9wavefront6targetE0EEEvSO_
; %bb.0:
	.section	.rodata,"a",@progbits
	.p2align	6, 0x0
	.amdhsa_kernel _ZN7rocprim17ROCPRIM_400000_NS6detail17trampoline_kernelINS0_14default_configENS1_38merge_sort_block_merge_config_selectorIjN6thrust23THRUST_200600_302600_NS5tupleIffNS6_9null_typeES8_S8_S8_S8_S8_S8_S8_EEEEZZNS1_27merge_sort_block_merge_implIS3_NS6_6detail15normal_iteratorINS6_10device_ptrIjEEEENSD_INSE_IS9_EEEEjNS1_19radix_merge_compareILb0ELb0EjNS0_19identity_decomposerEEEEE10hipError_tT0_T1_T2_jT3_P12ihipStream_tbPNSt15iterator_traitsISN_E10value_typeEPNST_ISO_E10value_typeEPSP_NS1_7vsmem_tEENKUlT_SN_SO_SP_E_clIPjSG_PS9_SI_EESM_S12_SN_SO_SP_EUlS12_E1_NS1_11comp_targetILNS1_3genE4ELNS1_11target_archE910ELNS1_3gpuE8ELNS1_3repE0EEENS1_36merge_oddeven_config_static_selectorELNS0_4arch9wavefront6targetE0EEEvSO_
		.amdhsa_group_segment_fixed_size 0
		.amdhsa_private_segment_fixed_size 0
		.amdhsa_kernarg_size 48
		.amdhsa_user_sgpr_count 2
		.amdhsa_user_sgpr_dispatch_ptr 0
		.amdhsa_user_sgpr_queue_ptr 0
		.amdhsa_user_sgpr_kernarg_segment_ptr 1
		.amdhsa_user_sgpr_dispatch_id 0
		.amdhsa_user_sgpr_private_segment_size 0
		.amdhsa_wavefront_size32 1
		.amdhsa_uses_dynamic_stack 0
		.amdhsa_enable_private_segment 0
		.amdhsa_system_sgpr_workgroup_id_x 1
		.amdhsa_system_sgpr_workgroup_id_y 0
		.amdhsa_system_sgpr_workgroup_id_z 0
		.amdhsa_system_sgpr_workgroup_info 0
		.amdhsa_system_vgpr_workitem_id 0
		.amdhsa_next_free_vgpr 1
		.amdhsa_next_free_sgpr 1
		.amdhsa_reserve_vcc 0
		.amdhsa_float_round_mode_32 0
		.amdhsa_float_round_mode_16_64 0
		.amdhsa_float_denorm_mode_32 3
		.amdhsa_float_denorm_mode_16_64 3
		.amdhsa_fp16_overflow 0
		.amdhsa_workgroup_processor_mode 1
		.amdhsa_memory_ordered 1
		.amdhsa_forward_progress 1
		.amdhsa_inst_pref_size 0
		.amdhsa_round_robin_scheduling 0
		.amdhsa_exception_fp_ieee_invalid_op 0
		.amdhsa_exception_fp_denorm_src 0
		.amdhsa_exception_fp_ieee_div_zero 0
		.amdhsa_exception_fp_ieee_overflow 0
		.amdhsa_exception_fp_ieee_underflow 0
		.amdhsa_exception_fp_ieee_inexact 0
		.amdhsa_exception_int_div_zero 0
	.end_amdhsa_kernel
	.section	.text._ZN7rocprim17ROCPRIM_400000_NS6detail17trampoline_kernelINS0_14default_configENS1_38merge_sort_block_merge_config_selectorIjN6thrust23THRUST_200600_302600_NS5tupleIffNS6_9null_typeES8_S8_S8_S8_S8_S8_S8_EEEEZZNS1_27merge_sort_block_merge_implIS3_NS6_6detail15normal_iteratorINS6_10device_ptrIjEEEENSD_INSE_IS9_EEEEjNS1_19radix_merge_compareILb0ELb0EjNS0_19identity_decomposerEEEEE10hipError_tT0_T1_T2_jT3_P12ihipStream_tbPNSt15iterator_traitsISN_E10value_typeEPNST_ISO_E10value_typeEPSP_NS1_7vsmem_tEENKUlT_SN_SO_SP_E_clIPjSG_PS9_SI_EESM_S12_SN_SO_SP_EUlS12_E1_NS1_11comp_targetILNS1_3genE4ELNS1_11target_archE910ELNS1_3gpuE8ELNS1_3repE0EEENS1_36merge_oddeven_config_static_selectorELNS0_4arch9wavefront6targetE0EEEvSO_,"axG",@progbits,_ZN7rocprim17ROCPRIM_400000_NS6detail17trampoline_kernelINS0_14default_configENS1_38merge_sort_block_merge_config_selectorIjN6thrust23THRUST_200600_302600_NS5tupleIffNS6_9null_typeES8_S8_S8_S8_S8_S8_S8_EEEEZZNS1_27merge_sort_block_merge_implIS3_NS6_6detail15normal_iteratorINS6_10device_ptrIjEEEENSD_INSE_IS9_EEEEjNS1_19radix_merge_compareILb0ELb0EjNS0_19identity_decomposerEEEEE10hipError_tT0_T1_T2_jT3_P12ihipStream_tbPNSt15iterator_traitsISN_E10value_typeEPNST_ISO_E10value_typeEPSP_NS1_7vsmem_tEENKUlT_SN_SO_SP_E_clIPjSG_PS9_SI_EESM_S12_SN_SO_SP_EUlS12_E1_NS1_11comp_targetILNS1_3genE4ELNS1_11target_archE910ELNS1_3gpuE8ELNS1_3repE0EEENS1_36merge_oddeven_config_static_selectorELNS0_4arch9wavefront6targetE0EEEvSO_,comdat
.Lfunc_end44:
	.size	_ZN7rocprim17ROCPRIM_400000_NS6detail17trampoline_kernelINS0_14default_configENS1_38merge_sort_block_merge_config_selectorIjN6thrust23THRUST_200600_302600_NS5tupleIffNS6_9null_typeES8_S8_S8_S8_S8_S8_S8_EEEEZZNS1_27merge_sort_block_merge_implIS3_NS6_6detail15normal_iteratorINS6_10device_ptrIjEEEENSD_INSE_IS9_EEEEjNS1_19radix_merge_compareILb0ELb0EjNS0_19identity_decomposerEEEEE10hipError_tT0_T1_T2_jT3_P12ihipStream_tbPNSt15iterator_traitsISN_E10value_typeEPNST_ISO_E10value_typeEPSP_NS1_7vsmem_tEENKUlT_SN_SO_SP_E_clIPjSG_PS9_SI_EESM_S12_SN_SO_SP_EUlS12_E1_NS1_11comp_targetILNS1_3genE4ELNS1_11target_archE910ELNS1_3gpuE8ELNS1_3repE0EEENS1_36merge_oddeven_config_static_selectorELNS0_4arch9wavefront6targetE0EEEvSO_, .Lfunc_end44-_ZN7rocprim17ROCPRIM_400000_NS6detail17trampoline_kernelINS0_14default_configENS1_38merge_sort_block_merge_config_selectorIjN6thrust23THRUST_200600_302600_NS5tupleIffNS6_9null_typeES8_S8_S8_S8_S8_S8_S8_EEEEZZNS1_27merge_sort_block_merge_implIS3_NS6_6detail15normal_iteratorINS6_10device_ptrIjEEEENSD_INSE_IS9_EEEEjNS1_19radix_merge_compareILb0ELb0EjNS0_19identity_decomposerEEEEE10hipError_tT0_T1_T2_jT3_P12ihipStream_tbPNSt15iterator_traitsISN_E10value_typeEPNST_ISO_E10value_typeEPSP_NS1_7vsmem_tEENKUlT_SN_SO_SP_E_clIPjSG_PS9_SI_EESM_S12_SN_SO_SP_EUlS12_E1_NS1_11comp_targetILNS1_3genE4ELNS1_11target_archE910ELNS1_3gpuE8ELNS1_3repE0EEENS1_36merge_oddeven_config_static_selectorELNS0_4arch9wavefront6targetE0EEEvSO_
                                        ; -- End function
	.set _ZN7rocprim17ROCPRIM_400000_NS6detail17trampoline_kernelINS0_14default_configENS1_38merge_sort_block_merge_config_selectorIjN6thrust23THRUST_200600_302600_NS5tupleIffNS6_9null_typeES8_S8_S8_S8_S8_S8_S8_EEEEZZNS1_27merge_sort_block_merge_implIS3_NS6_6detail15normal_iteratorINS6_10device_ptrIjEEEENSD_INSE_IS9_EEEEjNS1_19radix_merge_compareILb0ELb0EjNS0_19identity_decomposerEEEEE10hipError_tT0_T1_T2_jT3_P12ihipStream_tbPNSt15iterator_traitsISN_E10value_typeEPNST_ISO_E10value_typeEPSP_NS1_7vsmem_tEENKUlT_SN_SO_SP_E_clIPjSG_PS9_SI_EESM_S12_SN_SO_SP_EUlS12_E1_NS1_11comp_targetILNS1_3genE4ELNS1_11target_archE910ELNS1_3gpuE8ELNS1_3repE0EEENS1_36merge_oddeven_config_static_selectorELNS0_4arch9wavefront6targetE0EEEvSO_.num_vgpr, 0
	.set _ZN7rocprim17ROCPRIM_400000_NS6detail17trampoline_kernelINS0_14default_configENS1_38merge_sort_block_merge_config_selectorIjN6thrust23THRUST_200600_302600_NS5tupleIffNS6_9null_typeES8_S8_S8_S8_S8_S8_S8_EEEEZZNS1_27merge_sort_block_merge_implIS3_NS6_6detail15normal_iteratorINS6_10device_ptrIjEEEENSD_INSE_IS9_EEEEjNS1_19radix_merge_compareILb0ELb0EjNS0_19identity_decomposerEEEEE10hipError_tT0_T1_T2_jT3_P12ihipStream_tbPNSt15iterator_traitsISN_E10value_typeEPNST_ISO_E10value_typeEPSP_NS1_7vsmem_tEENKUlT_SN_SO_SP_E_clIPjSG_PS9_SI_EESM_S12_SN_SO_SP_EUlS12_E1_NS1_11comp_targetILNS1_3genE4ELNS1_11target_archE910ELNS1_3gpuE8ELNS1_3repE0EEENS1_36merge_oddeven_config_static_selectorELNS0_4arch9wavefront6targetE0EEEvSO_.num_agpr, 0
	.set _ZN7rocprim17ROCPRIM_400000_NS6detail17trampoline_kernelINS0_14default_configENS1_38merge_sort_block_merge_config_selectorIjN6thrust23THRUST_200600_302600_NS5tupleIffNS6_9null_typeES8_S8_S8_S8_S8_S8_S8_EEEEZZNS1_27merge_sort_block_merge_implIS3_NS6_6detail15normal_iteratorINS6_10device_ptrIjEEEENSD_INSE_IS9_EEEEjNS1_19radix_merge_compareILb0ELb0EjNS0_19identity_decomposerEEEEE10hipError_tT0_T1_T2_jT3_P12ihipStream_tbPNSt15iterator_traitsISN_E10value_typeEPNST_ISO_E10value_typeEPSP_NS1_7vsmem_tEENKUlT_SN_SO_SP_E_clIPjSG_PS9_SI_EESM_S12_SN_SO_SP_EUlS12_E1_NS1_11comp_targetILNS1_3genE4ELNS1_11target_archE910ELNS1_3gpuE8ELNS1_3repE0EEENS1_36merge_oddeven_config_static_selectorELNS0_4arch9wavefront6targetE0EEEvSO_.numbered_sgpr, 0
	.set _ZN7rocprim17ROCPRIM_400000_NS6detail17trampoline_kernelINS0_14default_configENS1_38merge_sort_block_merge_config_selectorIjN6thrust23THRUST_200600_302600_NS5tupleIffNS6_9null_typeES8_S8_S8_S8_S8_S8_S8_EEEEZZNS1_27merge_sort_block_merge_implIS3_NS6_6detail15normal_iteratorINS6_10device_ptrIjEEEENSD_INSE_IS9_EEEEjNS1_19radix_merge_compareILb0ELb0EjNS0_19identity_decomposerEEEEE10hipError_tT0_T1_T2_jT3_P12ihipStream_tbPNSt15iterator_traitsISN_E10value_typeEPNST_ISO_E10value_typeEPSP_NS1_7vsmem_tEENKUlT_SN_SO_SP_E_clIPjSG_PS9_SI_EESM_S12_SN_SO_SP_EUlS12_E1_NS1_11comp_targetILNS1_3genE4ELNS1_11target_archE910ELNS1_3gpuE8ELNS1_3repE0EEENS1_36merge_oddeven_config_static_selectorELNS0_4arch9wavefront6targetE0EEEvSO_.num_named_barrier, 0
	.set _ZN7rocprim17ROCPRIM_400000_NS6detail17trampoline_kernelINS0_14default_configENS1_38merge_sort_block_merge_config_selectorIjN6thrust23THRUST_200600_302600_NS5tupleIffNS6_9null_typeES8_S8_S8_S8_S8_S8_S8_EEEEZZNS1_27merge_sort_block_merge_implIS3_NS6_6detail15normal_iteratorINS6_10device_ptrIjEEEENSD_INSE_IS9_EEEEjNS1_19radix_merge_compareILb0ELb0EjNS0_19identity_decomposerEEEEE10hipError_tT0_T1_T2_jT3_P12ihipStream_tbPNSt15iterator_traitsISN_E10value_typeEPNST_ISO_E10value_typeEPSP_NS1_7vsmem_tEENKUlT_SN_SO_SP_E_clIPjSG_PS9_SI_EESM_S12_SN_SO_SP_EUlS12_E1_NS1_11comp_targetILNS1_3genE4ELNS1_11target_archE910ELNS1_3gpuE8ELNS1_3repE0EEENS1_36merge_oddeven_config_static_selectorELNS0_4arch9wavefront6targetE0EEEvSO_.private_seg_size, 0
	.set _ZN7rocprim17ROCPRIM_400000_NS6detail17trampoline_kernelINS0_14default_configENS1_38merge_sort_block_merge_config_selectorIjN6thrust23THRUST_200600_302600_NS5tupleIffNS6_9null_typeES8_S8_S8_S8_S8_S8_S8_EEEEZZNS1_27merge_sort_block_merge_implIS3_NS6_6detail15normal_iteratorINS6_10device_ptrIjEEEENSD_INSE_IS9_EEEEjNS1_19radix_merge_compareILb0ELb0EjNS0_19identity_decomposerEEEEE10hipError_tT0_T1_T2_jT3_P12ihipStream_tbPNSt15iterator_traitsISN_E10value_typeEPNST_ISO_E10value_typeEPSP_NS1_7vsmem_tEENKUlT_SN_SO_SP_E_clIPjSG_PS9_SI_EESM_S12_SN_SO_SP_EUlS12_E1_NS1_11comp_targetILNS1_3genE4ELNS1_11target_archE910ELNS1_3gpuE8ELNS1_3repE0EEENS1_36merge_oddeven_config_static_selectorELNS0_4arch9wavefront6targetE0EEEvSO_.uses_vcc, 0
	.set _ZN7rocprim17ROCPRIM_400000_NS6detail17trampoline_kernelINS0_14default_configENS1_38merge_sort_block_merge_config_selectorIjN6thrust23THRUST_200600_302600_NS5tupleIffNS6_9null_typeES8_S8_S8_S8_S8_S8_S8_EEEEZZNS1_27merge_sort_block_merge_implIS3_NS6_6detail15normal_iteratorINS6_10device_ptrIjEEEENSD_INSE_IS9_EEEEjNS1_19radix_merge_compareILb0ELb0EjNS0_19identity_decomposerEEEEE10hipError_tT0_T1_T2_jT3_P12ihipStream_tbPNSt15iterator_traitsISN_E10value_typeEPNST_ISO_E10value_typeEPSP_NS1_7vsmem_tEENKUlT_SN_SO_SP_E_clIPjSG_PS9_SI_EESM_S12_SN_SO_SP_EUlS12_E1_NS1_11comp_targetILNS1_3genE4ELNS1_11target_archE910ELNS1_3gpuE8ELNS1_3repE0EEENS1_36merge_oddeven_config_static_selectorELNS0_4arch9wavefront6targetE0EEEvSO_.uses_flat_scratch, 0
	.set _ZN7rocprim17ROCPRIM_400000_NS6detail17trampoline_kernelINS0_14default_configENS1_38merge_sort_block_merge_config_selectorIjN6thrust23THRUST_200600_302600_NS5tupleIffNS6_9null_typeES8_S8_S8_S8_S8_S8_S8_EEEEZZNS1_27merge_sort_block_merge_implIS3_NS6_6detail15normal_iteratorINS6_10device_ptrIjEEEENSD_INSE_IS9_EEEEjNS1_19radix_merge_compareILb0ELb0EjNS0_19identity_decomposerEEEEE10hipError_tT0_T1_T2_jT3_P12ihipStream_tbPNSt15iterator_traitsISN_E10value_typeEPNST_ISO_E10value_typeEPSP_NS1_7vsmem_tEENKUlT_SN_SO_SP_E_clIPjSG_PS9_SI_EESM_S12_SN_SO_SP_EUlS12_E1_NS1_11comp_targetILNS1_3genE4ELNS1_11target_archE910ELNS1_3gpuE8ELNS1_3repE0EEENS1_36merge_oddeven_config_static_selectorELNS0_4arch9wavefront6targetE0EEEvSO_.has_dyn_sized_stack, 0
	.set _ZN7rocprim17ROCPRIM_400000_NS6detail17trampoline_kernelINS0_14default_configENS1_38merge_sort_block_merge_config_selectorIjN6thrust23THRUST_200600_302600_NS5tupleIffNS6_9null_typeES8_S8_S8_S8_S8_S8_S8_EEEEZZNS1_27merge_sort_block_merge_implIS3_NS6_6detail15normal_iteratorINS6_10device_ptrIjEEEENSD_INSE_IS9_EEEEjNS1_19radix_merge_compareILb0ELb0EjNS0_19identity_decomposerEEEEE10hipError_tT0_T1_T2_jT3_P12ihipStream_tbPNSt15iterator_traitsISN_E10value_typeEPNST_ISO_E10value_typeEPSP_NS1_7vsmem_tEENKUlT_SN_SO_SP_E_clIPjSG_PS9_SI_EESM_S12_SN_SO_SP_EUlS12_E1_NS1_11comp_targetILNS1_3genE4ELNS1_11target_archE910ELNS1_3gpuE8ELNS1_3repE0EEENS1_36merge_oddeven_config_static_selectorELNS0_4arch9wavefront6targetE0EEEvSO_.has_recursion, 0
	.set _ZN7rocprim17ROCPRIM_400000_NS6detail17trampoline_kernelINS0_14default_configENS1_38merge_sort_block_merge_config_selectorIjN6thrust23THRUST_200600_302600_NS5tupleIffNS6_9null_typeES8_S8_S8_S8_S8_S8_S8_EEEEZZNS1_27merge_sort_block_merge_implIS3_NS6_6detail15normal_iteratorINS6_10device_ptrIjEEEENSD_INSE_IS9_EEEEjNS1_19radix_merge_compareILb0ELb0EjNS0_19identity_decomposerEEEEE10hipError_tT0_T1_T2_jT3_P12ihipStream_tbPNSt15iterator_traitsISN_E10value_typeEPNST_ISO_E10value_typeEPSP_NS1_7vsmem_tEENKUlT_SN_SO_SP_E_clIPjSG_PS9_SI_EESM_S12_SN_SO_SP_EUlS12_E1_NS1_11comp_targetILNS1_3genE4ELNS1_11target_archE910ELNS1_3gpuE8ELNS1_3repE0EEENS1_36merge_oddeven_config_static_selectorELNS0_4arch9wavefront6targetE0EEEvSO_.has_indirect_call, 0
	.section	.AMDGPU.csdata,"",@progbits
; Kernel info:
; codeLenInByte = 0
; TotalNumSgprs: 0
; NumVgprs: 0
; ScratchSize: 0
; MemoryBound: 0
; FloatMode: 240
; IeeeMode: 1
; LDSByteSize: 0 bytes/workgroup (compile time only)
; SGPRBlocks: 0
; VGPRBlocks: 0
; NumSGPRsForWavesPerEU: 1
; NumVGPRsForWavesPerEU: 1
; Occupancy: 16
; WaveLimiterHint : 0
; COMPUTE_PGM_RSRC2:SCRATCH_EN: 0
; COMPUTE_PGM_RSRC2:USER_SGPR: 2
; COMPUTE_PGM_RSRC2:TRAP_HANDLER: 0
; COMPUTE_PGM_RSRC2:TGID_X_EN: 1
; COMPUTE_PGM_RSRC2:TGID_Y_EN: 0
; COMPUTE_PGM_RSRC2:TGID_Z_EN: 0
; COMPUTE_PGM_RSRC2:TIDIG_COMP_CNT: 0
	.section	.text._ZN7rocprim17ROCPRIM_400000_NS6detail17trampoline_kernelINS0_14default_configENS1_38merge_sort_block_merge_config_selectorIjN6thrust23THRUST_200600_302600_NS5tupleIffNS6_9null_typeES8_S8_S8_S8_S8_S8_S8_EEEEZZNS1_27merge_sort_block_merge_implIS3_NS6_6detail15normal_iteratorINS6_10device_ptrIjEEEENSD_INSE_IS9_EEEEjNS1_19radix_merge_compareILb0ELb0EjNS0_19identity_decomposerEEEEE10hipError_tT0_T1_T2_jT3_P12ihipStream_tbPNSt15iterator_traitsISN_E10value_typeEPNST_ISO_E10value_typeEPSP_NS1_7vsmem_tEENKUlT_SN_SO_SP_E_clIPjSG_PS9_SI_EESM_S12_SN_SO_SP_EUlS12_E1_NS1_11comp_targetILNS1_3genE3ELNS1_11target_archE908ELNS1_3gpuE7ELNS1_3repE0EEENS1_36merge_oddeven_config_static_selectorELNS0_4arch9wavefront6targetE0EEEvSO_,"axG",@progbits,_ZN7rocprim17ROCPRIM_400000_NS6detail17trampoline_kernelINS0_14default_configENS1_38merge_sort_block_merge_config_selectorIjN6thrust23THRUST_200600_302600_NS5tupleIffNS6_9null_typeES8_S8_S8_S8_S8_S8_S8_EEEEZZNS1_27merge_sort_block_merge_implIS3_NS6_6detail15normal_iteratorINS6_10device_ptrIjEEEENSD_INSE_IS9_EEEEjNS1_19radix_merge_compareILb0ELb0EjNS0_19identity_decomposerEEEEE10hipError_tT0_T1_T2_jT3_P12ihipStream_tbPNSt15iterator_traitsISN_E10value_typeEPNST_ISO_E10value_typeEPSP_NS1_7vsmem_tEENKUlT_SN_SO_SP_E_clIPjSG_PS9_SI_EESM_S12_SN_SO_SP_EUlS12_E1_NS1_11comp_targetILNS1_3genE3ELNS1_11target_archE908ELNS1_3gpuE7ELNS1_3repE0EEENS1_36merge_oddeven_config_static_selectorELNS0_4arch9wavefront6targetE0EEEvSO_,comdat
	.protected	_ZN7rocprim17ROCPRIM_400000_NS6detail17trampoline_kernelINS0_14default_configENS1_38merge_sort_block_merge_config_selectorIjN6thrust23THRUST_200600_302600_NS5tupleIffNS6_9null_typeES8_S8_S8_S8_S8_S8_S8_EEEEZZNS1_27merge_sort_block_merge_implIS3_NS6_6detail15normal_iteratorINS6_10device_ptrIjEEEENSD_INSE_IS9_EEEEjNS1_19radix_merge_compareILb0ELb0EjNS0_19identity_decomposerEEEEE10hipError_tT0_T1_T2_jT3_P12ihipStream_tbPNSt15iterator_traitsISN_E10value_typeEPNST_ISO_E10value_typeEPSP_NS1_7vsmem_tEENKUlT_SN_SO_SP_E_clIPjSG_PS9_SI_EESM_S12_SN_SO_SP_EUlS12_E1_NS1_11comp_targetILNS1_3genE3ELNS1_11target_archE908ELNS1_3gpuE7ELNS1_3repE0EEENS1_36merge_oddeven_config_static_selectorELNS0_4arch9wavefront6targetE0EEEvSO_ ; -- Begin function _ZN7rocprim17ROCPRIM_400000_NS6detail17trampoline_kernelINS0_14default_configENS1_38merge_sort_block_merge_config_selectorIjN6thrust23THRUST_200600_302600_NS5tupleIffNS6_9null_typeES8_S8_S8_S8_S8_S8_S8_EEEEZZNS1_27merge_sort_block_merge_implIS3_NS6_6detail15normal_iteratorINS6_10device_ptrIjEEEENSD_INSE_IS9_EEEEjNS1_19radix_merge_compareILb0ELb0EjNS0_19identity_decomposerEEEEE10hipError_tT0_T1_T2_jT3_P12ihipStream_tbPNSt15iterator_traitsISN_E10value_typeEPNST_ISO_E10value_typeEPSP_NS1_7vsmem_tEENKUlT_SN_SO_SP_E_clIPjSG_PS9_SI_EESM_S12_SN_SO_SP_EUlS12_E1_NS1_11comp_targetILNS1_3genE3ELNS1_11target_archE908ELNS1_3gpuE7ELNS1_3repE0EEENS1_36merge_oddeven_config_static_selectorELNS0_4arch9wavefront6targetE0EEEvSO_
	.globl	_ZN7rocprim17ROCPRIM_400000_NS6detail17trampoline_kernelINS0_14default_configENS1_38merge_sort_block_merge_config_selectorIjN6thrust23THRUST_200600_302600_NS5tupleIffNS6_9null_typeES8_S8_S8_S8_S8_S8_S8_EEEEZZNS1_27merge_sort_block_merge_implIS3_NS6_6detail15normal_iteratorINS6_10device_ptrIjEEEENSD_INSE_IS9_EEEEjNS1_19radix_merge_compareILb0ELb0EjNS0_19identity_decomposerEEEEE10hipError_tT0_T1_T2_jT3_P12ihipStream_tbPNSt15iterator_traitsISN_E10value_typeEPNST_ISO_E10value_typeEPSP_NS1_7vsmem_tEENKUlT_SN_SO_SP_E_clIPjSG_PS9_SI_EESM_S12_SN_SO_SP_EUlS12_E1_NS1_11comp_targetILNS1_3genE3ELNS1_11target_archE908ELNS1_3gpuE7ELNS1_3repE0EEENS1_36merge_oddeven_config_static_selectorELNS0_4arch9wavefront6targetE0EEEvSO_
	.p2align	8
	.type	_ZN7rocprim17ROCPRIM_400000_NS6detail17trampoline_kernelINS0_14default_configENS1_38merge_sort_block_merge_config_selectorIjN6thrust23THRUST_200600_302600_NS5tupleIffNS6_9null_typeES8_S8_S8_S8_S8_S8_S8_EEEEZZNS1_27merge_sort_block_merge_implIS3_NS6_6detail15normal_iteratorINS6_10device_ptrIjEEEENSD_INSE_IS9_EEEEjNS1_19radix_merge_compareILb0ELb0EjNS0_19identity_decomposerEEEEE10hipError_tT0_T1_T2_jT3_P12ihipStream_tbPNSt15iterator_traitsISN_E10value_typeEPNST_ISO_E10value_typeEPSP_NS1_7vsmem_tEENKUlT_SN_SO_SP_E_clIPjSG_PS9_SI_EESM_S12_SN_SO_SP_EUlS12_E1_NS1_11comp_targetILNS1_3genE3ELNS1_11target_archE908ELNS1_3gpuE7ELNS1_3repE0EEENS1_36merge_oddeven_config_static_selectorELNS0_4arch9wavefront6targetE0EEEvSO_,@function
_ZN7rocprim17ROCPRIM_400000_NS6detail17trampoline_kernelINS0_14default_configENS1_38merge_sort_block_merge_config_selectorIjN6thrust23THRUST_200600_302600_NS5tupleIffNS6_9null_typeES8_S8_S8_S8_S8_S8_S8_EEEEZZNS1_27merge_sort_block_merge_implIS3_NS6_6detail15normal_iteratorINS6_10device_ptrIjEEEENSD_INSE_IS9_EEEEjNS1_19radix_merge_compareILb0ELb0EjNS0_19identity_decomposerEEEEE10hipError_tT0_T1_T2_jT3_P12ihipStream_tbPNSt15iterator_traitsISN_E10value_typeEPNST_ISO_E10value_typeEPSP_NS1_7vsmem_tEENKUlT_SN_SO_SP_E_clIPjSG_PS9_SI_EESM_S12_SN_SO_SP_EUlS12_E1_NS1_11comp_targetILNS1_3genE3ELNS1_11target_archE908ELNS1_3gpuE7ELNS1_3repE0EEENS1_36merge_oddeven_config_static_selectorELNS0_4arch9wavefront6targetE0EEEvSO_: ; @_ZN7rocprim17ROCPRIM_400000_NS6detail17trampoline_kernelINS0_14default_configENS1_38merge_sort_block_merge_config_selectorIjN6thrust23THRUST_200600_302600_NS5tupleIffNS6_9null_typeES8_S8_S8_S8_S8_S8_S8_EEEEZZNS1_27merge_sort_block_merge_implIS3_NS6_6detail15normal_iteratorINS6_10device_ptrIjEEEENSD_INSE_IS9_EEEEjNS1_19radix_merge_compareILb0ELb0EjNS0_19identity_decomposerEEEEE10hipError_tT0_T1_T2_jT3_P12ihipStream_tbPNSt15iterator_traitsISN_E10value_typeEPNST_ISO_E10value_typeEPSP_NS1_7vsmem_tEENKUlT_SN_SO_SP_E_clIPjSG_PS9_SI_EESM_S12_SN_SO_SP_EUlS12_E1_NS1_11comp_targetILNS1_3genE3ELNS1_11target_archE908ELNS1_3gpuE7ELNS1_3repE0EEENS1_36merge_oddeven_config_static_selectorELNS0_4arch9wavefront6targetE0EEEvSO_
; %bb.0:
	.section	.rodata,"a",@progbits
	.p2align	6, 0x0
	.amdhsa_kernel _ZN7rocprim17ROCPRIM_400000_NS6detail17trampoline_kernelINS0_14default_configENS1_38merge_sort_block_merge_config_selectorIjN6thrust23THRUST_200600_302600_NS5tupleIffNS6_9null_typeES8_S8_S8_S8_S8_S8_S8_EEEEZZNS1_27merge_sort_block_merge_implIS3_NS6_6detail15normal_iteratorINS6_10device_ptrIjEEEENSD_INSE_IS9_EEEEjNS1_19radix_merge_compareILb0ELb0EjNS0_19identity_decomposerEEEEE10hipError_tT0_T1_T2_jT3_P12ihipStream_tbPNSt15iterator_traitsISN_E10value_typeEPNST_ISO_E10value_typeEPSP_NS1_7vsmem_tEENKUlT_SN_SO_SP_E_clIPjSG_PS9_SI_EESM_S12_SN_SO_SP_EUlS12_E1_NS1_11comp_targetILNS1_3genE3ELNS1_11target_archE908ELNS1_3gpuE7ELNS1_3repE0EEENS1_36merge_oddeven_config_static_selectorELNS0_4arch9wavefront6targetE0EEEvSO_
		.amdhsa_group_segment_fixed_size 0
		.amdhsa_private_segment_fixed_size 0
		.amdhsa_kernarg_size 48
		.amdhsa_user_sgpr_count 2
		.amdhsa_user_sgpr_dispatch_ptr 0
		.amdhsa_user_sgpr_queue_ptr 0
		.amdhsa_user_sgpr_kernarg_segment_ptr 1
		.amdhsa_user_sgpr_dispatch_id 0
		.amdhsa_user_sgpr_private_segment_size 0
		.amdhsa_wavefront_size32 1
		.amdhsa_uses_dynamic_stack 0
		.amdhsa_enable_private_segment 0
		.amdhsa_system_sgpr_workgroup_id_x 1
		.amdhsa_system_sgpr_workgroup_id_y 0
		.amdhsa_system_sgpr_workgroup_id_z 0
		.amdhsa_system_sgpr_workgroup_info 0
		.amdhsa_system_vgpr_workitem_id 0
		.amdhsa_next_free_vgpr 1
		.amdhsa_next_free_sgpr 1
		.amdhsa_reserve_vcc 0
		.amdhsa_float_round_mode_32 0
		.amdhsa_float_round_mode_16_64 0
		.amdhsa_float_denorm_mode_32 3
		.amdhsa_float_denorm_mode_16_64 3
		.amdhsa_fp16_overflow 0
		.amdhsa_workgroup_processor_mode 1
		.amdhsa_memory_ordered 1
		.amdhsa_forward_progress 1
		.amdhsa_inst_pref_size 0
		.amdhsa_round_robin_scheduling 0
		.amdhsa_exception_fp_ieee_invalid_op 0
		.amdhsa_exception_fp_denorm_src 0
		.amdhsa_exception_fp_ieee_div_zero 0
		.amdhsa_exception_fp_ieee_overflow 0
		.amdhsa_exception_fp_ieee_underflow 0
		.amdhsa_exception_fp_ieee_inexact 0
		.amdhsa_exception_int_div_zero 0
	.end_amdhsa_kernel
	.section	.text._ZN7rocprim17ROCPRIM_400000_NS6detail17trampoline_kernelINS0_14default_configENS1_38merge_sort_block_merge_config_selectorIjN6thrust23THRUST_200600_302600_NS5tupleIffNS6_9null_typeES8_S8_S8_S8_S8_S8_S8_EEEEZZNS1_27merge_sort_block_merge_implIS3_NS6_6detail15normal_iteratorINS6_10device_ptrIjEEEENSD_INSE_IS9_EEEEjNS1_19radix_merge_compareILb0ELb0EjNS0_19identity_decomposerEEEEE10hipError_tT0_T1_T2_jT3_P12ihipStream_tbPNSt15iterator_traitsISN_E10value_typeEPNST_ISO_E10value_typeEPSP_NS1_7vsmem_tEENKUlT_SN_SO_SP_E_clIPjSG_PS9_SI_EESM_S12_SN_SO_SP_EUlS12_E1_NS1_11comp_targetILNS1_3genE3ELNS1_11target_archE908ELNS1_3gpuE7ELNS1_3repE0EEENS1_36merge_oddeven_config_static_selectorELNS0_4arch9wavefront6targetE0EEEvSO_,"axG",@progbits,_ZN7rocprim17ROCPRIM_400000_NS6detail17trampoline_kernelINS0_14default_configENS1_38merge_sort_block_merge_config_selectorIjN6thrust23THRUST_200600_302600_NS5tupleIffNS6_9null_typeES8_S8_S8_S8_S8_S8_S8_EEEEZZNS1_27merge_sort_block_merge_implIS3_NS6_6detail15normal_iteratorINS6_10device_ptrIjEEEENSD_INSE_IS9_EEEEjNS1_19radix_merge_compareILb0ELb0EjNS0_19identity_decomposerEEEEE10hipError_tT0_T1_T2_jT3_P12ihipStream_tbPNSt15iterator_traitsISN_E10value_typeEPNST_ISO_E10value_typeEPSP_NS1_7vsmem_tEENKUlT_SN_SO_SP_E_clIPjSG_PS9_SI_EESM_S12_SN_SO_SP_EUlS12_E1_NS1_11comp_targetILNS1_3genE3ELNS1_11target_archE908ELNS1_3gpuE7ELNS1_3repE0EEENS1_36merge_oddeven_config_static_selectorELNS0_4arch9wavefront6targetE0EEEvSO_,comdat
.Lfunc_end45:
	.size	_ZN7rocprim17ROCPRIM_400000_NS6detail17trampoline_kernelINS0_14default_configENS1_38merge_sort_block_merge_config_selectorIjN6thrust23THRUST_200600_302600_NS5tupleIffNS6_9null_typeES8_S8_S8_S8_S8_S8_S8_EEEEZZNS1_27merge_sort_block_merge_implIS3_NS6_6detail15normal_iteratorINS6_10device_ptrIjEEEENSD_INSE_IS9_EEEEjNS1_19radix_merge_compareILb0ELb0EjNS0_19identity_decomposerEEEEE10hipError_tT0_T1_T2_jT3_P12ihipStream_tbPNSt15iterator_traitsISN_E10value_typeEPNST_ISO_E10value_typeEPSP_NS1_7vsmem_tEENKUlT_SN_SO_SP_E_clIPjSG_PS9_SI_EESM_S12_SN_SO_SP_EUlS12_E1_NS1_11comp_targetILNS1_3genE3ELNS1_11target_archE908ELNS1_3gpuE7ELNS1_3repE0EEENS1_36merge_oddeven_config_static_selectorELNS0_4arch9wavefront6targetE0EEEvSO_, .Lfunc_end45-_ZN7rocprim17ROCPRIM_400000_NS6detail17trampoline_kernelINS0_14default_configENS1_38merge_sort_block_merge_config_selectorIjN6thrust23THRUST_200600_302600_NS5tupleIffNS6_9null_typeES8_S8_S8_S8_S8_S8_S8_EEEEZZNS1_27merge_sort_block_merge_implIS3_NS6_6detail15normal_iteratorINS6_10device_ptrIjEEEENSD_INSE_IS9_EEEEjNS1_19radix_merge_compareILb0ELb0EjNS0_19identity_decomposerEEEEE10hipError_tT0_T1_T2_jT3_P12ihipStream_tbPNSt15iterator_traitsISN_E10value_typeEPNST_ISO_E10value_typeEPSP_NS1_7vsmem_tEENKUlT_SN_SO_SP_E_clIPjSG_PS9_SI_EESM_S12_SN_SO_SP_EUlS12_E1_NS1_11comp_targetILNS1_3genE3ELNS1_11target_archE908ELNS1_3gpuE7ELNS1_3repE0EEENS1_36merge_oddeven_config_static_selectorELNS0_4arch9wavefront6targetE0EEEvSO_
                                        ; -- End function
	.set _ZN7rocprim17ROCPRIM_400000_NS6detail17trampoline_kernelINS0_14default_configENS1_38merge_sort_block_merge_config_selectorIjN6thrust23THRUST_200600_302600_NS5tupleIffNS6_9null_typeES8_S8_S8_S8_S8_S8_S8_EEEEZZNS1_27merge_sort_block_merge_implIS3_NS6_6detail15normal_iteratorINS6_10device_ptrIjEEEENSD_INSE_IS9_EEEEjNS1_19radix_merge_compareILb0ELb0EjNS0_19identity_decomposerEEEEE10hipError_tT0_T1_T2_jT3_P12ihipStream_tbPNSt15iterator_traitsISN_E10value_typeEPNST_ISO_E10value_typeEPSP_NS1_7vsmem_tEENKUlT_SN_SO_SP_E_clIPjSG_PS9_SI_EESM_S12_SN_SO_SP_EUlS12_E1_NS1_11comp_targetILNS1_3genE3ELNS1_11target_archE908ELNS1_3gpuE7ELNS1_3repE0EEENS1_36merge_oddeven_config_static_selectorELNS0_4arch9wavefront6targetE0EEEvSO_.num_vgpr, 0
	.set _ZN7rocprim17ROCPRIM_400000_NS6detail17trampoline_kernelINS0_14default_configENS1_38merge_sort_block_merge_config_selectorIjN6thrust23THRUST_200600_302600_NS5tupleIffNS6_9null_typeES8_S8_S8_S8_S8_S8_S8_EEEEZZNS1_27merge_sort_block_merge_implIS3_NS6_6detail15normal_iteratorINS6_10device_ptrIjEEEENSD_INSE_IS9_EEEEjNS1_19radix_merge_compareILb0ELb0EjNS0_19identity_decomposerEEEEE10hipError_tT0_T1_T2_jT3_P12ihipStream_tbPNSt15iterator_traitsISN_E10value_typeEPNST_ISO_E10value_typeEPSP_NS1_7vsmem_tEENKUlT_SN_SO_SP_E_clIPjSG_PS9_SI_EESM_S12_SN_SO_SP_EUlS12_E1_NS1_11comp_targetILNS1_3genE3ELNS1_11target_archE908ELNS1_3gpuE7ELNS1_3repE0EEENS1_36merge_oddeven_config_static_selectorELNS0_4arch9wavefront6targetE0EEEvSO_.num_agpr, 0
	.set _ZN7rocprim17ROCPRIM_400000_NS6detail17trampoline_kernelINS0_14default_configENS1_38merge_sort_block_merge_config_selectorIjN6thrust23THRUST_200600_302600_NS5tupleIffNS6_9null_typeES8_S8_S8_S8_S8_S8_S8_EEEEZZNS1_27merge_sort_block_merge_implIS3_NS6_6detail15normal_iteratorINS6_10device_ptrIjEEEENSD_INSE_IS9_EEEEjNS1_19radix_merge_compareILb0ELb0EjNS0_19identity_decomposerEEEEE10hipError_tT0_T1_T2_jT3_P12ihipStream_tbPNSt15iterator_traitsISN_E10value_typeEPNST_ISO_E10value_typeEPSP_NS1_7vsmem_tEENKUlT_SN_SO_SP_E_clIPjSG_PS9_SI_EESM_S12_SN_SO_SP_EUlS12_E1_NS1_11comp_targetILNS1_3genE3ELNS1_11target_archE908ELNS1_3gpuE7ELNS1_3repE0EEENS1_36merge_oddeven_config_static_selectorELNS0_4arch9wavefront6targetE0EEEvSO_.numbered_sgpr, 0
	.set _ZN7rocprim17ROCPRIM_400000_NS6detail17trampoline_kernelINS0_14default_configENS1_38merge_sort_block_merge_config_selectorIjN6thrust23THRUST_200600_302600_NS5tupleIffNS6_9null_typeES8_S8_S8_S8_S8_S8_S8_EEEEZZNS1_27merge_sort_block_merge_implIS3_NS6_6detail15normal_iteratorINS6_10device_ptrIjEEEENSD_INSE_IS9_EEEEjNS1_19radix_merge_compareILb0ELb0EjNS0_19identity_decomposerEEEEE10hipError_tT0_T1_T2_jT3_P12ihipStream_tbPNSt15iterator_traitsISN_E10value_typeEPNST_ISO_E10value_typeEPSP_NS1_7vsmem_tEENKUlT_SN_SO_SP_E_clIPjSG_PS9_SI_EESM_S12_SN_SO_SP_EUlS12_E1_NS1_11comp_targetILNS1_3genE3ELNS1_11target_archE908ELNS1_3gpuE7ELNS1_3repE0EEENS1_36merge_oddeven_config_static_selectorELNS0_4arch9wavefront6targetE0EEEvSO_.num_named_barrier, 0
	.set _ZN7rocprim17ROCPRIM_400000_NS6detail17trampoline_kernelINS0_14default_configENS1_38merge_sort_block_merge_config_selectorIjN6thrust23THRUST_200600_302600_NS5tupleIffNS6_9null_typeES8_S8_S8_S8_S8_S8_S8_EEEEZZNS1_27merge_sort_block_merge_implIS3_NS6_6detail15normal_iteratorINS6_10device_ptrIjEEEENSD_INSE_IS9_EEEEjNS1_19radix_merge_compareILb0ELb0EjNS0_19identity_decomposerEEEEE10hipError_tT0_T1_T2_jT3_P12ihipStream_tbPNSt15iterator_traitsISN_E10value_typeEPNST_ISO_E10value_typeEPSP_NS1_7vsmem_tEENKUlT_SN_SO_SP_E_clIPjSG_PS9_SI_EESM_S12_SN_SO_SP_EUlS12_E1_NS1_11comp_targetILNS1_3genE3ELNS1_11target_archE908ELNS1_3gpuE7ELNS1_3repE0EEENS1_36merge_oddeven_config_static_selectorELNS0_4arch9wavefront6targetE0EEEvSO_.private_seg_size, 0
	.set _ZN7rocprim17ROCPRIM_400000_NS6detail17trampoline_kernelINS0_14default_configENS1_38merge_sort_block_merge_config_selectorIjN6thrust23THRUST_200600_302600_NS5tupleIffNS6_9null_typeES8_S8_S8_S8_S8_S8_S8_EEEEZZNS1_27merge_sort_block_merge_implIS3_NS6_6detail15normal_iteratorINS6_10device_ptrIjEEEENSD_INSE_IS9_EEEEjNS1_19radix_merge_compareILb0ELb0EjNS0_19identity_decomposerEEEEE10hipError_tT0_T1_T2_jT3_P12ihipStream_tbPNSt15iterator_traitsISN_E10value_typeEPNST_ISO_E10value_typeEPSP_NS1_7vsmem_tEENKUlT_SN_SO_SP_E_clIPjSG_PS9_SI_EESM_S12_SN_SO_SP_EUlS12_E1_NS1_11comp_targetILNS1_3genE3ELNS1_11target_archE908ELNS1_3gpuE7ELNS1_3repE0EEENS1_36merge_oddeven_config_static_selectorELNS0_4arch9wavefront6targetE0EEEvSO_.uses_vcc, 0
	.set _ZN7rocprim17ROCPRIM_400000_NS6detail17trampoline_kernelINS0_14default_configENS1_38merge_sort_block_merge_config_selectorIjN6thrust23THRUST_200600_302600_NS5tupleIffNS6_9null_typeES8_S8_S8_S8_S8_S8_S8_EEEEZZNS1_27merge_sort_block_merge_implIS3_NS6_6detail15normal_iteratorINS6_10device_ptrIjEEEENSD_INSE_IS9_EEEEjNS1_19radix_merge_compareILb0ELb0EjNS0_19identity_decomposerEEEEE10hipError_tT0_T1_T2_jT3_P12ihipStream_tbPNSt15iterator_traitsISN_E10value_typeEPNST_ISO_E10value_typeEPSP_NS1_7vsmem_tEENKUlT_SN_SO_SP_E_clIPjSG_PS9_SI_EESM_S12_SN_SO_SP_EUlS12_E1_NS1_11comp_targetILNS1_3genE3ELNS1_11target_archE908ELNS1_3gpuE7ELNS1_3repE0EEENS1_36merge_oddeven_config_static_selectorELNS0_4arch9wavefront6targetE0EEEvSO_.uses_flat_scratch, 0
	.set _ZN7rocprim17ROCPRIM_400000_NS6detail17trampoline_kernelINS0_14default_configENS1_38merge_sort_block_merge_config_selectorIjN6thrust23THRUST_200600_302600_NS5tupleIffNS6_9null_typeES8_S8_S8_S8_S8_S8_S8_EEEEZZNS1_27merge_sort_block_merge_implIS3_NS6_6detail15normal_iteratorINS6_10device_ptrIjEEEENSD_INSE_IS9_EEEEjNS1_19radix_merge_compareILb0ELb0EjNS0_19identity_decomposerEEEEE10hipError_tT0_T1_T2_jT3_P12ihipStream_tbPNSt15iterator_traitsISN_E10value_typeEPNST_ISO_E10value_typeEPSP_NS1_7vsmem_tEENKUlT_SN_SO_SP_E_clIPjSG_PS9_SI_EESM_S12_SN_SO_SP_EUlS12_E1_NS1_11comp_targetILNS1_3genE3ELNS1_11target_archE908ELNS1_3gpuE7ELNS1_3repE0EEENS1_36merge_oddeven_config_static_selectorELNS0_4arch9wavefront6targetE0EEEvSO_.has_dyn_sized_stack, 0
	.set _ZN7rocprim17ROCPRIM_400000_NS6detail17trampoline_kernelINS0_14default_configENS1_38merge_sort_block_merge_config_selectorIjN6thrust23THRUST_200600_302600_NS5tupleIffNS6_9null_typeES8_S8_S8_S8_S8_S8_S8_EEEEZZNS1_27merge_sort_block_merge_implIS3_NS6_6detail15normal_iteratorINS6_10device_ptrIjEEEENSD_INSE_IS9_EEEEjNS1_19radix_merge_compareILb0ELb0EjNS0_19identity_decomposerEEEEE10hipError_tT0_T1_T2_jT3_P12ihipStream_tbPNSt15iterator_traitsISN_E10value_typeEPNST_ISO_E10value_typeEPSP_NS1_7vsmem_tEENKUlT_SN_SO_SP_E_clIPjSG_PS9_SI_EESM_S12_SN_SO_SP_EUlS12_E1_NS1_11comp_targetILNS1_3genE3ELNS1_11target_archE908ELNS1_3gpuE7ELNS1_3repE0EEENS1_36merge_oddeven_config_static_selectorELNS0_4arch9wavefront6targetE0EEEvSO_.has_recursion, 0
	.set _ZN7rocprim17ROCPRIM_400000_NS6detail17trampoline_kernelINS0_14default_configENS1_38merge_sort_block_merge_config_selectorIjN6thrust23THRUST_200600_302600_NS5tupleIffNS6_9null_typeES8_S8_S8_S8_S8_S8_S8_EEEEZZNS1_27merge_sort_block_merge_implIS3_NS6_6detail15normal_iteratorINS6_10device_ptrIjEEEENSD_INSE_IS9_EEEEjNS1_19radix_merge_compareILb0ELb0EjNS0_19identity_decomposerEEEEE10hipError_tT0_T1_T2_jT3_P12ihipStream_tbPNSt15iterator_traitsISN_E10value_typeEPNST_ISO_E10value_typeEPSP_NS1_7vsmem_tEENKUlT_SN_SO_SP_E_clIPjSG_PS9_SI_EESM_S12_SN_SO_SP_EUlS12_E1_NS1_11comp_targetILNS1_3genE3ELNS1_11target_archE908ELNS1_3gpuE7ELNS1_3repE0EEENS1_36merge_oddeven_config_static_selectorELNS0_4arch9wavefront6targetE0EEEvSO_.has_indirect_call, 0
	.section	.AMDGPU.csdata,"",@progbits
; Kernel info:
; codeLenInByte = 0
; TotalNumSgprs: 0
; NumVgprs: 0
; ScratchSize: 0
; MemoryBound: 0
; FloatMode: 240
; IeeeMode: 1
; LDSByteSize: 0 bytes/workgroup (compile time only)
; SGPRBlocks: 0
; VGPRBlocks: 0
; NumSGPRsForWavesPerEU: 1
; NumVGPRsForWavesPerEU: 1
; Occupancy: 16
; WaveLimiterHint : 0
; COMPUTE_PGM_RSRC2:SCRATCH_EN: 0
; COMPUTE_PGM_RSRC2:USER_SGPR: 2
; COMPUTE_PGM_RSRC2:TRAP_HANDLER: 0
; COMPUTE_PGM_RSRC2:TGID_X_EN: 1
; COMPUTE_PGM_RSRC2:TGID_Y_EN: 0
; COMPUTE_PGM_RSRC2:TGID_Z_EN: 0
; COMPUTE_PGM_RSRC2:TIDIG_COMP_CNT: 0
	.section	.text._ZN7rocprim17ROCPRIM_400000_NS6detail17trampoline_kernelINS0_14default_configENS1_38merge_sort_block_merge_config_selectorIjN6thrust23THRUST_200600_302600_NS5tupleIffNS6_9null_typeES8_S8_S8_S8_S8_S8_S8_EEEEZZNS1_27merge_sort_block_merge_implIS3_NS6_6detail15normal_iteratorINS6_10device_ptrIjEEEENSD_INSE_IS9_EEEEjNS1_19radix_merge_compareILb0ELb0EjNS0_19identity_decomposerEEEEE10hipError_tT0_T1_T2_jT3_P12ihipStream_tbPNSt15iterator_traitsISN_E10value_typeEPNST_ISO_E10value_typeEPSP_NS1_7vsmem_tEENKUlT_SN_SO_SP_E_clIPjSG_PS9_SI_EESM_S12_SN_SO_SP_EUlS12_E1_NS1_11comp_targetILNS1_3genE2ELNS1_11target_archE906ELNS1_3gpuE6ELNS1_3repE0EEENS1_36merge_oddeven_config_static_selectorELNS0_4arch9wavefront6targetE0EEEvSO_,"axG",@progbits,_ZN7rocprim17ROCPRIM_400000_NS6detail17trampoline_kernelINS0_14default_configENS1_38merge_sort_block_merge_config_selectorIjN6thrust23THRUST_200600_302600_NS5tupleIffNS6_9null_typeES8_S8_S8_S8_S8_S8_S8_EEEEZZNS1_27merge_sort_block_merge_implIS3_NS6_6detail15normal_iteratorINS6_10device_ptrIjEEEENSD_INSE_IS9_EEEEjNS1_19radix_merge_compareILb0ELb0EjNS0_19identity_decomposerEEEEE10hipError_tT0_T1_T2_jT3_P12ihipStream_tbPNSt15iterator_traitsISN_E10value_typeEPNST_ISO_E10value_typeEPSP_NS1_7vsmem_tEENKUlT_SN_SO_SP_E_clIPjSG_PS9_SI_EESM_S12_SN_SO_SP_EUlS12_E1_NS1_11comp_targetILNS1_3genE2ELNS1_11target_archE906ELNS1_3gpuE6ELNS1_3repE0EEENS1_36merge_oddeven_config_static_selectorELNS0_4arch9wavefront6targetE0EEEvSO_,comdat
	.protected	_ZN7rocprim17ROCPRIM_400000_NS6detail17trampoline_kernelINS0_14default_configENS1_38merge_sort_block_merge_config_selectorIjN6thrust23THRUST_200600_302600_NS5tupleIffNS6_9null_typeES8_S8_S8_S8_S8_S8_S8_EEEEZZNS1_27merge_sort_block_merge_implIS3_NS6_6detail15normal_iteratorINS6_10device_ptrIjEEEENSD_INSE_IS9_EEEEjNS1_19radix_merge_compareILb0ELb0EjNS0_19identity_decomposerEEEEE10hipError_tT0_T1_T2_jT3_P12ihipStream_tbPNSt15iterator_traitsISN_E10value_typeEPNST_ISO_E10value_typeEPSP_NS1_7vsmem_tEENKUlT_SN_SO_SP_E_clIPjSG_PS9_SI_EESM_S12_SN_SO_SP_EUlS12_E1_NS1_11comp_targetILNS1_3genE2ELNS1_11target_archE906ELNS1_3gpuE6ELNS1_3repE0EEENS1_36merge_oddeven_config_static_selectorELNS0_4arch9wavefront6targetE0EEEvSO_ ; -- Begin function _ZN7rocprim17ROCPRIM_400000_NS6detail17trampoline_kernelINS0_14default_configENS1_38merge_sort_block_merge_config_selectorIjN6thrust23THRUST_200600_302600_NS5tupleIffNS6_9null_typeES8_S8_S8_S8_S8_S8_S8_EEEEZZNS1_27merge_sort_block_merge_implIS3_NS6_6detail15normal_iteratorINS6_10device_ptrIjEEEENSD_INSE_IS9_EEEEjNS1_19radix_merge_compareILb0ELb0EjNS0_19identity_decomposerEEEEE10hipError_tT0_T1_T2_jT3_P12ihipStream_tbPNSt15iterator_traitsISN_E10value_typeEPNST_ISO_E10value_typeEPSP_NS1_7vsmem_tEENKUlT_SN_SO_SP_E_clIPjSG_PS9_SI_EESM_S12_SN_SO_SP_EUlS12_E1_NS1_11comp_targetILNS1_3genE2ELNS1_11target_archE906ELNS1_3gpuE6ELNS1_3repE0EEENS1_36merge_oddeven_config_static_selectorELNS0_4arch9wavefront6targetE0EEEvSO_
	.globl	_ZN7rocprim17ROCPRIM_400000_NS6detail17trampoline_kernelINS0_14default_configENS1_38merge_sort_block_merge_config_selectorIjN6thrust23THRUST_200600_302600_NS5tupleIffNS6_9null_typeES8_S8_S8_S8_S8_S8_S8_EEEEZZNS1_27merge_sort_block_merge_implIS3_NS6_6detail15normal_iteratorINS6_10device_ptrIjEEEENSD_INSE_IS9_EEEEjNS1_19radix_merge_compareILb0ELb0EjNS0_19identity_decomposerEEEEE10hipError_tT0_T1_T2_jT3_P12ihipStream_tbPNSt15iterator_traitsISN_E10value_typeEPNST_ISO_E10value_typeEPSP_NS1_7vsmem_tEENKUlT_SN_SO_SP_E_clIPjSG_PS9_SI_EESM_S12_SN_SO_SP_EUlS12_E1_NS1_11comp_targetILNS1_3genE2ELNS1_11target_archE906ELNS1_3gpuE6ELNS1_3repE0EEENS1_36merge_oddeven_config_static_selectorELNS0_4arch9wavefront6targetE0EEEvSO_
	.p2align	8
	.type	_ZN7rocprim17ROCPRIM_400000_NS6detail17trampoline_kernelINS0_14default_configENS1_38merge_sort_block_merge_config_selectorIjN6thrust23THRUST_200600_302600_NS5tupleIffNS6_9null_typeES8_S8_S8_S8_S8_S8_S8_EEEEZZNS1_27merge_sort_block_merge_implIS3_NS6_6detail15normal_iteratorINS6_10device_ptrIjEEEENSD_INSE_IS9_EEEEjNS1_19radix_merge_compareILb0ELb0EjNS0_19identity_decomposerEEEEE10hipError_tT0_T1_T2_jT3_P12ihipStream_tbPNSt15iterator_traitsISN_E10value_typeEPNST_ISO_E10value_typeEPSP_NS1_7vsmem_tEENKUlT_SN_SO_SP_E_clIPjSG_PS9_SI_EESM_S12_SN_SO_SP_EUlS12_E1_NS1_11comp_targetILNS1_3genE2ELNS1_11target_archE906ELNS1_3gpuE6ELNS1_3repE0EEENS1_36merge_oddeven_config_static_selectorELNS0_4arch9wavefront6targetE0EEEvSO_,@function
_ZN7rocprim17ROCPRIM_400000_NS6detail17trampoline_kernelINS0_14default_configENS1_38merge_sort_block_merge_config_selectorIjN6thrust23THRUST_200600_302600_NS5tupleIffNS6_9null_typeES8_S8_S8_S8_S8_S8_S8_EEEEZZNS1_27merge_sort_block_merge_implIS3_NS6_6detail15normal_iteratorINS6_10device_ptrIjEEEENSD_INSE_IS9_EEEEjNS1_19radix_merge_compareILb0ELb0EjNS0_19identity_decomposerEEEEE10hipError_tT0_T1_T2_jT3_P12ihipStream_tbPNSt15iterator_traitsISN_E10value_typeEPNST_ISO_E10value_typeEPSP_NS1_7vsmem_tEENKUlT_SN_SO_SP_E_clIPjSG_PS9_SI_EESM_S12_SN_SO_SP_EUlS12_E1_NS1_11comp_targetILNS1_3genE2ELNS1_11target_archE906ELNS1_3gpuE6ELNS1_3repE0EEENS1_36merge_oddeven_config_static_selectorELNS0_4arch9wavefront6targetE0EEEvSO_: ; @_ZN7rocprim17ROCPRIM_400000_NS6detail17trampoline_kernelINS0_14default_configENS1_38merge_sort_block_merge_config_selectorIjN6thrust23THRUST_200600_302600_NS5tupleIffNS6_9null_typeES8_S8_S8_S8_S8_S8_S8_EEEEZZNS1_27merge_sort_block_merge_implIS3_NS6_6detail15normal_iteratorINS6_10device_ptrIjEEEENSD_INSE_IS9_EEEEjNS1_19radix_merge_compareILb0ELb0EjNS0_19identity_decomposerEEEEE10hipError_tT0_T1_T2_jT3_P12ihipStream_tbPNSt15iterator_traitsISN_E10value_typeEPNST_ISO_E10value_typeEPSP_NS1_7vsmem_tEENKUlT_SN_SO_SP_E_clIPjSG_PS9_SI_EESM_S12_SN_SO_SP_EUlS12_E1_NS1_11comp_targetILNS1_3genE2ELNS1_11target_archE906ELNS1_3gpuE6ELNS1_3repE0EEENS1_36merge_oddeven_config_static_selectorELNS0_4arch9wavefront6targetE0EEEvSO_
; %bb.0:
	.section	.rodata,"a",@progbits
	.p2align	6, 0x0
	.amdhsa_kernel _ZN7rocprim17ROCPRIM_400000_NS6detail17trampoline_kernelINS0_14default_configENS1_38merge_sort_block_merge_config_selectorIjN6thrust23THRUST_200600_302600_NS5tupleIffNS6_9null_typeES8_S8_S8_S8_S8_S8_S8_EEEEZZNS1_27merge_sort_block_merge_implIS3_NS6_6detail15normal_iteratorINS6_10device_ptrIjEEEENSD_INSE_IS9_EEEEjNS1_19radix_merge_compareILb0ELb0EjNS0_19identity_decomposerEEEEE10hipError_tT0_T1_T2_jT3_P12ihipStream_tbPNSt15iterator_traitsISN_E10value_typeEPNST_ISO_E10value_typeEPSP_NS1_7vsmem_tEENKUlT_SN_SO_SP_E_clIPjSG_PS9_SI_EESM_S12_SN_SO_SP_EUlS12_E1_NS1_11comp_targetILNS1_3genE2ELNS1_11target_archE906ELNS1_3gpuE6ELNS1_3repE0EEENS1_36merge_oddeven_config_static_selectorELNS0_4arch9wavefront6targetE0EEEvSO_
		.amdhsa_group_segment_fixed_size 0
		.amdhsa_private_segment_fixed_size 0
		.amdhsa_kernarg_size 48
		.amdhsa_user_sgpr_count 2
		.amdhsa_user_sgpr_dispatch_ptr 0
		.amdhsa_user_sgpr_queue_ptr 0
		.amdhsa_user_sgpr_kernarg_segment_ptr 1
		.amdhsa_user_sgpr_dispatch_id 0
		.amdhsa_user_sgpr_private_segment_size 0
		.amdhsa_wavefront_size32 1
		.amdhsa_uses_dynamic_stack 0
		.amdhsa_enable_private_segment 0
		.amdhsa_system_sgpr_workgroup_id_x 1
		.amdhsa_system_sgpr_workgroup_id_y 0
		.amdhsa_system_sgpr_workgroup_id_z 0
		.amdhsa_system_sgpr_workgroup_info 0
		.amdhsa_system_vgpr_workitem_id 0
		.amdhsa_next_free_vgpr 1
		.amdhsa_next_free_sgpr 1
		.amdhsa_reserve_vcc 0
		.amdhsa_float_round_mode_32 0
		.amdhsa_float_round_mode_16_64 0
		.amdhsa_float_denorm_mode_32 3
		.amdhsa_float_denorm_mode_16_64 3
		.amdhsa_fp16_overflow 0
		.amdhsa_workgroup_processor_mode 1
		.amdhsa_memory_ordered 1
		.amdhsa_forward_progress 1
		.amdhsa_inst_pref_size 0
		.amdhsa_round_robin_scheduling 0
		.amdhsa_exception_fp_ieee_invalid_op 0
		.amdhsa_exception_fp_denorm_src 0
		.amdhsa_exception_fp_ieee_div_zero 0
		.amdhsa_exception_fp_ieee_overflow 0
		.amdhsa_exception_fp_ieee_underflow 0
		.amdhsa_exception_fp_ieee_inexact 0
		.amdhsa_exception_int_div_zero 0
	.end_amdhsa_kernel
	.section	.text._ZN7rocprim17ROCPRIM_400000_NS6detail17trampoline_kernelINS0_14default_configENS1_38merge_sort_block_merge_config_selectorIjN6thrust23THRUST_200600_302600_NS5tupleIffNS6_9null_typeES8_S8_S8_S8_S8_S8_S8_EEEEZZNS1_27merge_sort_block_merge_implIS3_NS6_6detail15normal_iteratorINS6_10device_ptrIjEEEENSD_INSE_IS9_EEEEjNS1_19radix_merge_compareILb0ELb0EjNS0_19identity_decomposerEEEEE10hipError_tT0_T1_T2_jT3_P12ihipStream_tbPNSt15iterator_traitsISN_E10value_typeEPNST_ISO_E10value_typeEPSP_NS1_7vsmem_tEENKUlT_SN_SO_SP_E_clIPjSG_PS9_SI_EESM_S12_SN_SO_SP_EUlS12_E1_NS1_11comp_targetILNS1_3genE2ELNS1_11target_archE906ELNS1_3gpuE6ELNS1_3repE0EEENS1_36merge_oddeven_config_static_selectorELNS0_4arch9wavefront6targetE0EEEvSO_,"axG",@progbits,_ZN7rocprim17ROCPRIM_400000_NS6detail17trampoline_kernelINS0_14default_configENS1_38merge_sort_block_merge_config_selectorIjN6thrust23THRUST_200600_302600_NS5tupleIffNS6_9null_typeES8_S8_S8_S8_S8_S8_S8_EEEEZZNS1_27merge_sort_block_merge_implIS3_NS6_6detail15normal_iteratorINS6_10device_ptrIjEEEENSD_INSE_IS9_EEEEjNS1_19radix_merge_compareILb0ELb0EjNS0_19identity_decomposerEEEEE10hipError_tT0_T1_T2_jT3_P12ihipStream_tbPNSt15iterator_traitsISN_E10value_typeEPNST_ISO_E10value_typeEPSP_NS1_7vsmem_tEENKUlT_SN_SO_SP_E_clIPjSG_PS9_SI_EESM_S12_SN_SO_SP_EUlS12_E1_NS1_11comp_targetILNS1_3genE2ELNS1_11target_archE906ELNS1_3gpuE6ELNS1_3repE0EEENS1_36merge_oddeven_config_static_selectorELNS0_4arch9wavefront6targetE0EEEvSO_,comdat
.Lfunc_end46:
	.size	_ZN7rocprim17ROCPRIM_400000_NS6detail17trampoline_kernelINS0_14default_configENS1_38merge_sort_block_merge_config_selectorIjN6thrust23THRUST_200600_302600_NS5tupleIffNS6_9null_typeES8_S8_S8_S8_S8_S8_S8_EEEEZZNS1_27merge_sort_block_merge_implIS3_NS6_6detail15normal_iteratorINS6_10device_ptrIjEEEENSD_INSE_IS9_EEEEjNS1_19radix_merge_compareILb0ELb0EjNS0_19identity_decomposerEEEEE10hipError_tT0_T1_T2_jT3_P12ihipStream_tbPNSt15iterator_traitsISN_E10value_typeEPNST_ISO_E10value_typeEPSP_NS1_7vsmem_tEENKUlT_SN_SO_SP_E_clIPjSG_PS9_SI_EESM_S12_SN_SO_SP_EUlS12_E1_NS1_11comp_targetILNS1_3genE2ELNS1_11target_archE906ELNS1_3gpuE6ELNS1_3repE0EEENS1_36merge_oddeven_config_static_selectorELNS0_4arch9wavefront6targetE0EEEvSO_, .Lfunc_end46-_ZN7rocprim17ROCPRIM_400000_NS6detail17trampoline_kernelINS0_14default_configENS1_38merge_sort_block_merge_config_selectorIjN6thrust23THRUST_200600_302600_NS5tupleIffNS6_9null_typeES8_S8_S8_S8_S8_S8_S8_EEEEZZNS1_27merge_sort_block_merge_implIS3_NS6_6detail15normal_iteratorINS6_10device_ptrIjEEEENSD_INSE_IS9_EEEEjNS1_19radix_merge_compareILb0ELb0EjNS0_19identity_decomposerEEEEE10hipError_tT0_T1_T2_jT3_P12ihipStream_tbPNSt15iterator_traitsISN_E10value_typeEPNST_ISO_E10value_typeEPSP_NS1_7vsmem_tEENKUlT_SN_SO_SP_E_clIPjSG_PS9_SI_EESM_S12_SN_SO_SP_EUlS12_E1_NS1_11comp_targetILNS1_3genE2ELNS1_11target_archE906ELNS1_3gpuE6ELNS1_3repE0EEENS1_36merge_oddeven_config_static_selectorELNS0_4arch9wavefront6targetE0EEEvSO_
                                        ; -- End function
	.set _ZN7rocprim17ROCPRIM_400000_NS6detail17trampoline_kernelINS0_14default_configENS1_38merge_sort_block_merge_config_selectorIjN6thrust23THRUST_200600_302600_NS5tupleIffNS6_9null_typeES8_S8_S8_S8_S8_S8_S8_EEEEZZNS1_27merge_sort_block_merge_implIS3_NS6_6detail15normal_iteratorINS6_10device_ptrIjEEEENSD_INSE_IS9_EEEEjNS1_19radix_merge_compareILb0ELb0EjNS0_19identity_decomposerEEEEE10hipError_tT0_T1_T2_jT3_P12ihipStream_tbPNSt15iterator_traitsISN_E10value_typeEPNST_ISO_E10value_typeEPSP_NS1_7vsmem_tEENKUlT_SN_SO_SP_E_clIPjSG_PS9_SI_EESM_S12_SN_SO_SP_EUlS12_E1_NS1_11comp_targetILNS1_3genE2ELNS1_11target_archE906ELNS1_3gpuE6ELNS1_3repE0EEENS1_36merge_oddeven_config_static_selectorELNS0_4arch9wavefront6targetE0EEEvSO_.num_vgpr, 0
	.set _ZN7rocprim17ROCPRIM_400000_NS6detail17trampoline_kernelINS0_14default_configENS1_38merge_sort_block_merge_config_selectorIjN6thrust23THRUST_200600_302600_NS5tupleIffNS6_9null_typeES8_S8_S8_S8_S8_S8_S8_EEEEZZNS1_27merge_sort_block_merge_implIS3_NS6_6detail15normal_iteratorINS6_10device_ptrIjEEEENSD_INSE_IS9_EEEEjNS1_19radix_merge_compareILb0ELb0EjNS0_19identity_decomposerEEEEE10hipError_tT0_T1_T2_jT3_P12ihipStream_tbPNSt15iterator_traitsISN_E10value_typeEPNST_ISO_E10value_typeEPSP_NS1_7vsmem_tEENKUlT_SN_SO_SP_E_clIPjSG_PS9_SI_EESM_S12_SN_SO_SP_EUlS12_E1_NS1_11comp_targetILNS1_3genE2ELNS1_11target_archE906ELNS1_3gpuE6ELNS1_3repE0EEENS1_36merge_oddeven_config_static_selectorELNS0_4arch9wavefront6targetE0EEEvSO_.num_agpr, 0
	.set _ZN7rocprim17ROCPRIM_400000_NS6detail17trampoline_kernelINS0_14default_configENS1_38merge_sort_block_merge_config_selectorIjN6thrust23THRUST_200600_302600_NS5tupleIffNS6_9null_typeES8_S8_S8_S8_S8_S8_S8_EEEEZZNS1_27merge_sort_block_merge_implIS3_NS6_6detail15normal_iteratorINS6_10device_ptrIjEEEENSD_INSE_IS9_EEEEjNS1_19radix_merge_compareILb0ELb0EjNS0_19identity_decomposerEEEEE10hipError_tT0_T1_T2_jT3_P12ihipStream_tbPNSt15iterator_traitsISN_E10value_typeEPNST_ISO_E10value_typeEPSP_NS1_7vsmem_tEENKUlT_SN_SO_SP_E_clIPjSG_PS9_SI_EESM_S12_SN_SO_SP_EUlS12_E1_NS1_11comp_targetILNS1_3genE2ELNS1_11target_archE906ELNS1_3gpuE6ELNS1_3repE0EEENS1_36merge_oddeven_config_static_selectorELNS0_4arch9wavefront6targetE0EEEvSO_.numbered_sgpr, 0
	.set _ZN7rocprim17ROCPRIM_400000_NS6detail17trampoline_kernelINS0_14default_configENS1_38merge_sort_block_merge_config_selectorIjN6thrust23THRUST_200600_302600_NS5tupleIffNS6_9null_typeES8_S8_S8_S8_S8_S8_S8_EEEEZZNS1_27merge_sort_block_merge_implIS3_NS6_6detail15normal_iteratorINS6_10device_ptrIjEEEENSD_INSE_IS9_EEEEjNS1_19radix_merge_compareILb0ELb0EjNS0_19identity_decomposerEEEEE10hipError_tT0_T1_T2_jT3_P12ihipStream_tbPNSt15iterator_traitsISN_E10value_typeEPNST_ISO_E10value_typeEPSP_NS1_7vsmem_tEENKUlT_SN_SO_SP_E_clIPjSG_PS9_SI_EESM_S12_SN_SO_SP_EUlS12_E1_NS1_11comp_targetILNS1_3genE2ELNS1_11target_archE906ELNS1_3gpuE6ELNS1_3repE0EEENS1_36merge_oddeven_config_static_selectorELNS0_4arch9wavefront6targetE0EEEvSO_.num_named_barrier, 0
	.set _ZN7rocprim17ROCPRIM_400000_NS6detail17trampoline_kernelINS0_14default_configENS1_38merge_sort_block_merge_config_selectorIjN6thrust23THRUST_200600_302600_NS5tupleIffNS6_9null_typeES8_S8_S8_S8_S8_S8_S8_EEEEZZNS1_27merge_sort_block_merge_implIS3_NS6_6detail15normal_iteratorINS6_10device_ptrIjEEEENSD_INSE_IS9_EEEEjNS1_19radix_merge_compareILb0ELb0EjNS0_19identity_decomposerEEEEE10hipError_tT0_T1_T2_jT3_P12ihipStream_tbPNSt15iterator_traitsISN_E10value_typeEPNST_ISO_E10value_typeEPSP_NS1_7vsmem_tEENKUlT_SN_SO_SP_E_clIPjSG_PS9_SI_EESM_S12_SN_SO_SP_EUlS12_E1_NS1_11comp_targetILNS1_3genE2ELNS1_11target_archE906ELNS1_3gpuE6ELNS1_3repE0EEENS1_36merge_oddeven_config_static_selectorELNS0_4arch9wavefront6targetE0EEEvSO_.private_seg_size, 0
	.set _ZN7rocprim17ROCPRIM_400000_NS6detail17trampoline_kernelINS0_14default_configENS1_38merge_sort_block_merge_config_selectorIjN6thrust23THRUST_200600_302600_NS5tupleIffNS6_9null_typeES8_S8_S8_S8_S8_S8_S8_EEEEZZNS1_27merge_sort_block_merge_implIS3_NS6_6detail15normal_iteratorINS6_10device_ptrIjEEEENSD_INSE_IS9_EEEEjNS1_19radix_merge_compareILb0ELb0EjNS0_19identity_decomposerEEEEE10hipError_tT0_T1_T2_jT3_P12ihipStream_tbPNSt15iterator_traitsISN_E10value_typeEPNST_ISO_E10value_typeEPSP_NS1_7vsmem_tEENKUlT_SN_SO_SP_E_clIPjSG_PS9_SI_EESM_S12_SN_SO_SP_EUlS12_E1_NS1_11comp_targetILNS1_3genE2ELNS1_11target_archE906ELNS1_3gpuE6ELNS1_3repE0EEENS1_36merge_oddeven_config_static_selectorELNS0_4arch9wavefront6targetE0EEEvSO_.uses_vcc, 0
	.set _ZN7rocprim17ROCPRIM_400000_NS6detail17trampoline_kernelINS0_14default_configENS1_38merge_sort_block_merge_config_selectorIjN6thrust23THRUST_200600_302600_NS5tupleIffNS6_9null_typeES8_S8_S8_S8_S8_S8_S8_EEEEZZNS1_27merge_sort_block_merge_implIS3_NS6_6detail15normal_iteratorINS6_10device_ptrIjEEEENSD_INSE_IS9_EEEEjNS1_19radix_merge_compareILb0ELb0EjNS0_19identity_decomposerEEEEE10hipError_tT0_T1_T2_jT3_P12ihipStream_tbPNSt15iterator_traitsISN_E10value_typeEPNST_ISO_E10value_typeEPSP_NS1_7vsmem_tEENKUlT_SN_SO_SP_E_clIPjSG_PS9_SI_EESM_S12_SN_SO_SP_EUlS12_E1_NS1_11comp_targetILNS1_3genE2ELNS1_11target_archE906ELNS1_3gpuE6ELNS1_3repE0EEENS1_36merge_oddeven_config_static_selectorELNS0_4arch9wavefront6targetE0EEEvSO_.uses_flat_scratch, 0
	.set _ZN7rocprim17ROCPRIM_400000_NS6detail17trampoline_kernelINS0_14default_configENS1_38merge_sort_block_merge_config_selectorIjN6thrust23THRUST_200600_302600_NS5tupleIffNS6_9null_typeES8_S8_S8_S8_S8_S8_S8_EEEEZZNS1_27merge_sort_block_merge_implIS3_NS6_6detail15normal_iteratorINS6_10device_ptrIjEEEENSD_INSE_IS9_EEEEjNS1_19radix_merge_compareILb0ELb0EjNS0_19identity_decomposerEEEEE10hipError_tT0_T1_T2_jT3_P12ihipStream_tbPNSt15iterator_traitsISN_E10value_typeEPNST_ISO_E10value_typeEPSP_NS1_7vsmem_tEENKUlT_SN_SO_SP_E_clIPjSG_PS9_SI_EESM_S12_SN_SO_SP_EUlS12_E1_NS1_11comp_targetILNS1_3genE2ELNS1_11target_archE906ELNS1_3gpuE6ELNS1_3repE0EEENS1_36merge_oddeven_config_static_selectorELNS0_4arch9wavefront6targetE0EEEvSO_.has_dyn_sized_stack, 0
	.set _ZN7rocprim17ROCPRIM_400000_NS6detail17trampoline_kernelINS0_14default_configENS1_38merge_sort_block_merge_config_selectorIjN6thrust23THRUST_200600_302600_NS5tupleIffNS6_9null_typeES8_S8_S8_S8_S8_S8_S8_EEEEZZNS1_27merge_sort_block_merge_implIS3_NS6_6detail15normal_iteratorINS6_10device_ptrIjEEEENSD_INSE_IS9_EEEEjNS1_19radix_merge_compareILb0ELb0EjNS0_19identity_decomposerEEEEE10hipError_tT0_T1_T2_jT3_P12ihipStream_tbPNSt15iterator_traitsISN_E10value_typeEPNST_ISO_E10value_typeEPSP_NS1_7vsmem_tEENKUlT_SN_SO_SP_E_clIPjSG_PS9_SI_EESM_S12_SN_SO_SP_EUlS12_E1_NS1_11comp_targetILNS1_3genE2ELNS1_11target_archE906ELNS1_3gpuE6ELNS1_3repE0EEENS1_36merge_oddeven_config_static_selectorELNS0_4arch9wavefront6targetE0EEEvSO_.has_recursion, 0
	.set _ZN7rocprim17ROCPRIM_400000_NS6detail17trampoline_kernelINS0_14default_configENS1_38merge_sort_block_merge_config_selectorIjN6thrust23THRUST_200600_302600_NS5tupleIffNS6_9null_typeES8_S8_S8_S8_S8_S8_S8_EEEEZZNS1_27merge_sort_block_merge_implIS3_NS6_6detail15normal_iteratorINS6_10device_ptrIjEEEENSD_INSE_IS9_EEEEjNS1_19radix_merge_compareILb0ELb0EjNS0_19identity_decomposerEEEEE10hipError_tT0_T1_T2_jT3_P12ihipStream_tbPNSt15iterator_traitsISN_E10value_typeEPNST_ISO_E10value_typeEPSP_NS1_7vsmem_tEENKUlT_SN_SO_SP_E_clIPjSG_PS9_SI_EESM_S12_SN_SO_SP_EUlS12_E1_NS1_11comp_targetILNS1_3genE2ELNS1_11target_archE906ELNS1_3gpuE6ELNS1_3repE0EEENS1_36merge_oddeven_config_static_selectorELNS0_4arch9wavefront6targetE0EEEvSO_.has_indirect_call, 0
	.section	.AMDGPU.csdata,"",@progbits
; Kernel info:
; codeLenInByte = 0
; TotalNumSgprs: 0
; NumVgprs: 0
; ScratchSize: 0
; MemoryBound: 0
; FloatMode: 240
; IeeeMode: 1
; LDSByteSize: 0 bytes/workgroup (compile time only)
; SGPRBlocks: 0
; VGPRBlocks: 0
; NumSGPRsForWavesPerEU: 1
; NumVGPRsForWavesPerEU: 1
; Occupancy: 16
; WaveLimiterHint : 0
; COMPUTE_PGM_RSRC2:SCRATCH_EN: 0
; COMPUTE_PGM_RSRC2:USER_SGPR: 2
; COMPUTE_PGM_RSRC2:TRAP_HANDLER: 0
; COMPUTE_PGM_RSRC2:TGID_X_EN: 1
; COMPUTE_PGM_RSRC2:TGID_Y_EN: 0
; COMPUTE_PGM_RSRC2:TGID_Z_EN: 0
; COMPUTE_PGM_RSRC2:TIDIG_COMP_CNT: 0
	.section	.text._ZN7rocprim17ROCPRIM_400000_NS6detail17trampoline_kernelINS0_14default_configENS1_38merge_sort_block_merge_config_selectorIjN6thrust23THRUST_200600_302600_NS5tupleIffNS6_9null_typeES8_S8_S8_S8_S8_S8_S8_EEEEZZNS1_27merge_sort_block_merge_implIS3_NS6_6detail15normal_iteratorINS6_10device_ptrIjEEEENSD_INSE_IS9_EEEEjNS1_19radix_merge_compareILb0ELb0EjNS0_19identity_decomposerEEEEE10hipError_tT0_T1_T2_jT3_P12ihipStream_tbPNSt15iterator_traitsISN_E10value_typeEPNST_ISO_E10value_typeEPSP_NS1_7vsmem_tEENKUlT_SN_SO_SP_E_clIPjSG_PS9_SI_EESM_S12_SN_SO_SP_EUlS12_E1_NS1_11comp_targetILNS1_3genE9ELNS1_11target_archE1100ELNS1_3gpuE3ELNS1_3repE0EEENS1_36merge_oddeven_config_static_selectorELNS0_4arch9wavefront6targetE0EEEvSO_,"axG",@progbits,_ZN7rocprim17ROCPRIM_400000_NS6detail17trampoline_kernelINS0_14default_configENS1_38merge_sort_block_merge_config_selectorIjN6thrust23THRUST_200600_302600_NS5tupleIffNS6_9null_typeES8_S8_S8_S8_S8_S8_S8_EEEEZZNS1_27merge_sort_block_merge_implIS3_NS6_6detail15normal_iteratorINS6_10device_ptrIjEEEENSD_INSE_IS9_EEEEjNS1_19radix_merge_compareILb0ELb0EjNS0_19identity_decomposerEEEEE10hipError_tT0_T1_T2_jT3_P12ihipStream_tbPNSt15iterator_traitsISN_E10value_typeEPNST_ISO_E10value_typeEPSP_NS1_7vsmem_tEENKUlT_SN_SO_SP_E_clIPjSG_PS9_SI_EESM_S12_SN_SO_SP_EUlS12_E1_NS1_11comp_targetILNS1_3genE9ELNS1_11target_archE1100ELNS1_3gpuE3ELNS1_3repE0EEENS1_36merge_oddeven_config_static_selectorELNS0_4arch9wavefront6targetE0EEEvSO_,comdat
	.protected	_ZN7rocprim17ROCPRIM_400000_NS6detail17trampoline_kernelINS0_14default_configENS1_38merge_sort_block_merge_config_selectorIjN6thrust23THRUST_200600_302600_NS5tupleIffNS6_9null_typeES8_S8_S8_S8_S8_S8_S8_EEEEZZNS1_27merge_sort_block_merge_implIS3_NS6_6detail15normal_iteratorINS6_10device_ptrIjEEEENSD_INSE_IS9_EEEEjNS1_19radix_merge_compareILb0ELb0EjNS0_19identity_decomposerEEEEE10hipError_tT0_T1_T2_jT3_P12ihipStream_tbPNSt15iterator_traitsISN_E10value_typeEPNST_ISO_E10value_typeEPSP_NS1_7vsmem_tEENKUlT_SN_SO_SP_E_clIPjSG_PS9_SI_EESM_S12_SN_SO_SP_EUlS12_E1_NS1_11comp_targetILNS1_3genE9ELNS1_11target_archE1100ELNS1_3gpuE3ELNS1_3repE0EEENS1_36merge_oddeven_config_static_selectorELNS0_4arch9wavefront6targetE0EEEvSO_ ; -- Begin function _ZN7rocprim17ROCPRIM_400000_NS6detail17trampoline_kernelINS0_14default_configENS1_38merge_sort_block_merge_config_selectorIjN6thrust23THRUST_200600_302600_NS5tupleIffNS6_9null_typeES8_S8_S8_S8_S8_S8_S8_EEEEZZNS1_27merge_sort_block_merge_implIS3_NS6_6detail15normal_iteratorINS6_10device_ptrIjEEEENSD_INSE_IS9_EEEEjNS1_19radix_merge_compareILb0ELb0EjNS0_19identity_decomposerEEEEE10hipError_tT0_T1_T2_jT3_P12ihipStream_tbPNSt15iterator_traitsISN_E10value_typeEPNST_ISO_E10value_typeEPSP_NS1_7vsmem_tEENKUlT_SN_SO_SP_E_clIPjSG_PS9_SI_EESM_S12_SN_SO_SP_EUlS12_E1_NS1_11comp_targetILNS1_3genE9ELNS1_11target_archE1100ELNS1_3gpuE3ELNS1_3repE0EEENS1_36merge_oddeven_config_static_selectorELNS0_4arch9wavefront6targetE0EEEvSO_
	.globl	_ZN7rocprim17ROCPRIM_400000_NS6detail17trampoline_kernelINS0_14default_configENS1_38merge_sort_block_merge_config_selectorIjN6thrust23THRUST_200600_302600_NS5tupleIffNS6_9null_typeES8_S8_S8_S8_S8_S8_S8_EEEEZZNS1_27merge_sort_block_merge_implIS3_NS6_6detail15normal_iteratorINS6_10device_ptrIjEEEENSD_INSE_IS9_EEEEjNS1_19radix_merge_compareILb0ELb0EjNS0_19identity_decomposerEEEEE10hipError_tT0_T1_T2_jT3_P12ihipStream_tbPNSt15iterator_traitsISN_E10value_typeEPNST_ISO_E10value_typeEPSP_NS1_7vsmem_tEENKUlT_SN_SO_SP_E_clIPjSG_PS9_SI_EESM_S12_SN_SO_SP_EUlS12_E1_NS1_11comp_targetILNS1_3genE9ELNS1_11target_archE1100ELNS1_3gpuE3ELNS1_3repE0EEENS1_36merge_oddeven_config_static_selectorELNS0_4arch9wavefront6targetE0EEEvSO_
	.p2align	8
	.type	_ZN7rocprim17ROCPRIM_400000_NS6detail17trampoline_kernelINS0_14default_configENS1_38merge_sort_block_merge_config_selectorIjN6thrust23THRUST_200600_302600_NS5tupleIffNS6_9null_typeES8_S8_S8_S8_S8_S8_S8_EEEEZZNS1_27merge_sort_block_merge_implIS3_NS6_6detail15normal_iteratorINS6_10device_ptrIjEEEENSD_INSE_IS9_EEEEjNS1_19radix_merge_compareILb0ELb0EjNS0_19identity_decomposerEEEEE10hipError_tT0_T1_T2_jT3_P12ihipStream_tbPNSt15iterator_traitsISN_E10value_typeEPNST_ISO_E10value_typeEPSP_NS1_7vsmem_tEENKUlT_SN_SO_SP_E_clIPjSG_PS9_SI_EESM_S12_SN_SO_SP_EUlS12_E1_NS1_11comp_targetILNS1_3genE9ELNS1_11target_archE1100ELNS1_3gpuE3ELNS1_3repE0EEENS1_36merge_oddeven_config_static_selectorELNS0_4arch9wavefront6targetE0EEEvSO_,@function
_ZN7rocprim17ROCPRIM_400000_NS6detail17trampoline_kernelINS0_14default_configENS1_38merge_sort_block_merge_config_selectorIjN6thrust23THRUST_200600_302600_NS5tupleIffNS6_9null_typeES8_S8_S8_S8_S8_S8_S8_EEEEZZNS1_27merge_sort_block_merge_implIS3_NS6_6detail15normal_iteratorINS6_10device_ptrIjEEEENSD_INSE_IS9_EEEEjNS1_19radix_merge_compareILb0ELb0EjNS0_19identity_decomposerEEEEE10hipError_tT0_T1_T2_jT3_P12ihipStream_tbPNSt15iterator_traitsISN_E10value_typeEPNST_ISO_E10value_typeEPSP_NS1_7vsmem_tEENKUlT_SN_SO_SP_E_clIPjSG_PS9_SI_EESM_S12_SN_SO_SP_EUlS12_E1_NS1_11comp_targetILNS1_3genE9ELNS1_11target_archE1100ELNS1_3gpuE3ELNS1_3repE0EEENS1_36merge_oddeven_config_static_selectorELNS0_4arch9wavefront6targetE0EEEvSO_: ; @_ZN7rocprim17ROCPRIM_400000_NS6detail17trampoline_kernelINS0_14default_configENS1_38merge_sort_block_merge_config_selectorIjN6thrust23THRUST_200600_302600_NS5tupleIffNS6_9null_typeES8_S8_S8_S8_S8_S8_S8_EEEEZZNS1_27merge_sort_block_merge_implIS3_NS6_6detail15normal_iteratorINS6_10device_ptrIjEEEENSD_INSE_IS9_EEEEjNS1_19radix_merge_compareILb0ELb0EjNS0_19identity_decomposerEEEEE10hipError_tT0_T1_T2_jT3_P12ihipStream_tbPNSt15iterator_traitsISN_E10value_typeEPNST_ISO_E10value_typeEPSP_NS1_7vsmem_tEENKUlT_SN_SO_SP_E_clIPjSG_PS9_SI_EESM_S12_SN_SO_SP_EUlS12_E1_NS1_11comp_targetILNS1_3genE9ELNS1_11target_archE1100ELNS1_3gpuE3ELNS1_3repE0EEENS1_36merge_oddeven_config_static_selectorELNS0_4arch9wavefront6targetE0EEEvSO_
; %bb.0:
	.section	.rodata,"a",@progbits
	.p2align	6, 0x0
	.amdhsa_kernel _ZN7rocprim17ROCPRIM_400000_NS6detail17trampoline_kernelINS0_14default_configENS1_38merge_sort_block_merge_config_selectorIjN6thrust23THRUST_200600_302600_NS5tupleIffNS6_9null_typeES8_S8_S8_S8_S8_S8_S8_EEEEZZNS1_27merge_sort_block_merge_implIS3_NS6_6detail15normal_iteratorINS6_10device_ptrIjEEEENSD_INSE_IS9_EEEEjNS1_19radix_merge_compareILb0ELb0EjNS0_19identity_decomposerEEEEE10hipError_tT0_T1_T2_jT3_P12ihipStream_tbPNSt15iterator_traitsISN_E10value_typeEPNST_ISO_E10value_typeEPSP_NS1_7vsmem_tEENKUlT_SN_SO_SP_E_clIPjSG_PS9_SI_EESM_S12_SN_SO_SP_EUlS12_E1_NS1_11comp_targetILNS1_3genE9ELNS1_11target_archE1100ELNS1_3gpuE3ELNS1_3repE0EEENS1_36merge_oddeven_config_static_selectorELNS0_4arch9wavefront6targetE0EEEvSO_
		.amdhsa_group_segment_fixed_size 0
		.amdhsa_private_segment_fixed_size 0
		.amdhsa_kernarg_size 48
		.amdhsa_user_sgpr_count 2
		.amdhsa_user_sgpr_dispatch_ptr 0
		.amdhsa_user_sgpr_queue_ptr 0
		.amdhsa_user_sgpr_kernarg_segment_ptr 1
		.amdhsa_user_sgpr_dispatch_id 0
		.amdhsa_user_sgpr_private_segment_size 0
		.amdhsa_wavefront_size32 1
		.amdhsa_uses_dynamic_stack 0
		.amdhsa_enable_private_segment 0
		.amdhsa_system_sgpr_workgroup_id_x 1
		.amdhsa_system_sgpr_workgroup_id_y 0
		.amdhsa_system_sgpr_workgroup_id_z 0
		.amdhsa_system_sgpr_workgroup_info 0
		.amdhsa_system_vgpr_workitem_id 0
		.amdhsa_next_free_vgpr 1
		.amdhsa_next_free_sgpr 1
		.amdhsa_reserve_vcc 0
		.amdhsa_float_round_mode_32 0
		.amdhsa_float_round_mode_16_64 0
		.amdhsa_float_denorm_mode_32 3
		.amdhsa_float_denorm_mode_16_64 3
		.amdhsa_fp16_overflow 0
		.amdhsa_workgroup_processor_mode 1
		.amdhsa_memory_ordered 1
		.amdhsa_forward_progress 1
		.amdhsa_inst_pref_size 0
		.amdhsa_round_robin_scheduling 0
		.amdhsa_exception_fp_ieee_invalid_op 0
		.amdhsa_exception_fp_denorm_src 0
		.amdhsa_exception_fp_ieee_div_zero 0
		.amdhsa_exception_fp_ieee_overflow 0
		.amdhsa_exception_fp_ieee_underflow 0
		.amdhsa_exception_fp_ieee_inexact 0
		.amdhsa_exception_int_div_zero 0
	.end_amdhsa_kernel
	.section	.text._ZN7rocprim17ROCPRIM_400000_NS6detail17trampoline_kernelINS0_14default_configENS1_38merge_sort_block_merge_config_selectorIjN6thrust23THRUST_200600_302600_NS5tupleIffNS6_9null_typeES8_S8_S8_S8_S8_S8_S8_EEEEZZNS1_27merge_sort_block_merge_implIS3_NS6_6detail15normal_iteratorINS6_10device_ptrIjEEEENSD_INSE_IS9_EEEEjNS1_19radix_merge_compareILb0ELb0EjNS0_19identity_decomposerEEEEE10hipError_tT0_T1_T2_jT3_P12ihipStream_tbPNSt15iterator_traitsISN_E10value_typeEPNST_ISO_E10value_typeEPSP_NS1_7vsmem_tEENKUlT_SN_SO_SP_E_clIPjSG_PS9_SI_EESM_S12_SN_SO_SP_EUlS12_E1_NS1_11comp_targetILNS1_3genE9ELNS1_11target_archE1100ELNS1_3gpuE3ELNS1_3repE0EEENS1_36merge_oddeven_config_static_selectorELNS0_4arch9wavefront6targetE0EEEvSO_,"axG",@progbits,_ZN7rocprim17ROCPRIM_400000_NS6detail17trampoline_kernelINS0_14default_configENS1_38merge_sort_block_merge_config_selectorIjN6thrust23THRUST_200600_302600_NS5tupleIffNS6_9null_typeES8_S8_S8_S8_S8_S8_S8_EEEEZZNS1_27merge_sort_block_merge_implIS3_NS6_6detail15normal_iteratorINS6_10device_ptrIjEEEENSD_INSE_IS9_EEEEjNS1_19radix_merge_compareILb0ELb0EjNS0_19identity_decomposerEEEEE10hipError_tT0_T1_T2_jT3_P12ihipStream_tbPNSt15iterator_traitsISN_E10value_typeEPNST_ISO_E10value_typeEPSP_NS1_7vsmem_tEENKUlT_SN_SO_SP_E_clIPjSG_PS9_SI_EESM_S12_SN_SO_SP_EUlS12_E1_NS1_11comp_targetILNS1_3genE9ELNS1_11target_archE1100ELNS1_3gpuE3ELNS1_3repE0EEENS1_36merge_oddeven_config_static_selectorELNS0_4arch9wavefront6targetE0EEEvSO_,comdat
.Lfunc_end47:
	.size	_ZN7rocprim17ROCPRIM_400000_NS6detail17trampoline_kernelINS0_14default_configENS1_38merge_sort_block_merge_config_selectorIjN6thrust23THRUST_200600_302600_NS5tupleIffNS6_9null_typeES8_S8_S8_S8_S8_S8_S8_EEEEZZNS1_27merge_sort_block_merge_implIS3_NS6_6detail15normal_iteratorINS6_10device_ptrIjEEEENSD_INSE_IS9_EEEEjNS1_19radix_merge_compareILb0ELb0EjNS0_19identity_decomposerEEEEE10hipError_tT0_T1_T2_jT3_P12ihipStream_tbPNSt15iterator_traitsISN_E10value_typeEPNST_ISO_E10value_typeEPSP_NS1_7vsmem_tEENKUlT_SN_SO_SP_E_clIPjSG_PS9_SI_EESM_S12_SN_SO_SP_EUlS12_E1_NS1_11comp_targetILNS1_3genE9ELNS1_11target_archE1100ELNS1_3gpuE3ELNS1_3repE0EEENS1_36merge_oddeven_config_static_selectorELNS0_4arch9wavefront6targetE0EEEvSO_, .Lfunc_end47-_ZN7rocprim17ROCPRIM_400000_NS6detail17trampoline_kernelINS0_14default_configENS1_38merge_sort_block_merge_config_selectorIjN6thrust23THRUST_200600_302600_NS5tupleIffNS6_9null_typeES8_S8_S8_S8_S8_S8_S8_EEEEZZNS1_27merge_sort_block_merge_implIS3_NS6_6detail15normal_iteratorINS6_10device_ptrIjEEEENSD_INSE_IS9_EEEEjNS1_19radix_merge_compareILb0ELb0EjNS0_19identity_decomposerEEEEE10hipError_tT0_T1_T2_jT3_P12ihipStream_tbPNSt15iterator_traitsISN_E10value_typeEPNST_ISO_E10value_typeEPSP_NS1_7vsmem_tEENKUlT_SN_SO_SP_E_clIPjSG_PS9_SI_EESM_S12_SN_SO_SP_EUlS12_E1_NS1_11comp_targetILNS1_3genE9ELNS1_11target_archE1100ELNS1_3gpuE3ELNS1_3repE0EEENS1_36merge_oddeven_config_static_selectorELNS0_4arch9wavefront6targetE0EEEvSO_
                                        ; -- End function
	.set _ZN7rocprim17ROCPRIM_400000_NS6detail17trampoline_kernelINS0_14default_configENS1_38merge_sort_block_merge_config_selectorIjN6thrust23THRUST_200600_302600_NS5tupleIffNS6_9null_typeES8_S8_S8_S8_S8_S8_S8_EEEEZZNS1_27merge_sort_block_merge_implIS3_NS6_6detail15normal_iteratorINS6_10device_ptrIjEEEENSD_INSE_IS9_EEEEjNS1_19radix_merge_compareILb0ELb0EjNS0_19identity_decomposerEEEEE10hipError_tT0_T1_T2_jT3_P12ihipStream_tbPNSt15iterator_traitsISN_E10value_typeEPNST_ISO_E10value_typeEPSP_NS1_7vsmem_tEENKUlT_SN_SO_SP_E_clIPjSG_PS9_SI_EESM_S12_SN_SO_SP_EUlS12_E1_NS1_11comp_targetILNS1_3genE9ELNS1_11target_archE1100ELNS1_3gpuE3ELNS1_3repE0EEENS1_36merge_oddeven_config_static_selectorELNS0_4arch9wavefront6targetE0EEEvSO_.num_vgpr, 0
	.set _ZN7rocprim17ROCPRIM_400000_NS6detail17trampoline_kernelINS0_14default_configENS1_38merge_sort_block_merge_config_selectorIjN6thrust23THRUST_200600_302600_NS5tupleIffNS6_9null_typeES8_S8_S8_S8_S8_S8_S8_EEEEZZNS1_27merge_sort_block_merge_implIS3_NS6_6detail15normal_iteratorINS6_10device_ptrIjEEEENSD_INSE_IS9_EEEEjNS1_19radix_merge_compareILb0ELb0EjNS0_19identity_decomposerEEEEE10hipError_tT0_T1_T2_jT3_P12ihipStream_tbPNSt15iterator_traitsISN_E10value_typeEPNST_ISO_E10value_typeEPSP_NS1_7vsmem_tEENKUlT_SN_SO_SP_E_clIPjSG_PS9_SI_EESM_S12_SN_SO_SP_EUlS12_E1_NS1_11comp_targetILNS1_3genE9ELNS1_11target_archE1100ELNS1_3gpuE3ELNS1_3repE0EEENS1_36merge_oddeven_config_static_selectorELNS0_4arch9wavefront6targetE0EEEvSO_.num_agpr, 0
	.set _ZN7rocprim17ROCPRIM_400000_NS6detail17trampoline_kernelINS0_14default_configENS1_38merge_sort_block_merge_config_selectorIjN6thrust23THRUST_200600_302600_NS5tupleIffNS6_9null_typeES8_S8_S8_S8_S8_S8_S8_EEEEZZNS1_27merge_sort_block_merge_implIS3_NS6_6detail15normal_iteratorINS6_10device_ptrIjEEEENSD_INSE_IS9_EEEEjNS1_19radix_merge_compareILb0ELb0EjNS0_19identity_decomposerEEEEE10hipError_tT0_T1_T2_jT3_P12ihipStream_tbPNSt15iterator_traitsISN_E10value_typeEPNST_ISO_E10value_typeEPSP_NS1_7vsmem_tEENKUlT_SN_SO_SP_E_clIPjSG_PS9_SI_EESM_S12_SN_SO_SP_EUlS12_E1_NS1_11comp_targetILNS1_3genE9ELNS1_11target_archE1100ELNS1_3gpuE3ELNS1_3repE0EEENS1_36merge_oddeven_config_static_selectorELNS0_4arch9wavefront6targetE0EEEvSO_.numbered_sgpr, 0
	.set _ZN7rocprim17ROCPRIM_400000_NS6detail17trampoline_kernelINS0_14default_configENS1_38merge_sort_block_merge_config_selectorIjN6thrust23THRUST_200600_302600_NS5tupleIffNS6_9null_typeES8_S8_S8_S8_S8_S8_S8_EEEEZZNS1_27merge_sort_block_merge_implIS3_NS6_6detail15normal_iteratorINS6_10device_ptrIjEEEENSD_INSE_IS9_EEEEjNS1_19radix_merge_compareILb0ELb0EjNS0_19identity_decomposerEEEEE10hipError_tT0_T1_T2_jT3_P12ihipStream_tbPNSt15iterator_traitsISN_E10value_typeEPNST_ISO_E10value_typeEPSP_NS1_7vsmem_tEENKUlT_SN_SO_SP_E_clIPjSG_PS9_SI_EESM_S12_SN_SO_SP_EUlS12_E1_NS1_11comp_targetILNS1_3genE9ELNS1_11target_archE1100ELNS1_3gpuE3ELNS1_3repE0EEENS1_36merge_oddeven_config_static_selectorELNS0_4arch9wavefront6targetE0EEEvSO_.num_named_barrier, 0
	.set _ZN7rocprim17ROCPRIM_400000_NS6detail17trampoline_kernelINS0_14default_configENS1_38merge_sort_block_merge_config_selectorIjN6thrust23THRUST_200600_302600_NS5tupleIffNS6_9null_typeES8_S8_S8_S8_S8_S8_S8_EEEEZZNS1_27merge_sort_block_merge_implIS3_NS6_6detail15normal_iteratorINS6_10device_ptrIjEEEENSD_INSE_IS9_EEEEjNS1_19radix_merge_compareILb0ELb0EjNS0_19identity_decomposerEEEEE10hipError_tT0_T1_T2_jT3_P12ihipStream_tbPNSt15iterator_traitsISN_E10value_typeEPNST_ISO_E10value_typeEPSP_NS1_7vsmem_tEENKUlT_SN_SO_SP_E_clIPjSG_PS9_SI_EESM_S12_SN_SO_SP_EUlS12_E1_NS1_11comp_targetILNS1_3genE9ELNS1_11target_archE1100ELNS1_3gpuE3ELNS1_3repE0EEENS1_36merge_oddeven_config_static_selectorELNS0_4arch9wavefront6targetE0EEEvSO_.private_seg_size, 0
	.set _ZN7rocprim17ROCPRIM_400000_NS6detail17trampoline_kernelINS0_14default_configENS1_38merge_sort_block_merge_config_selectorIjN6thrust23THRUST_200600_302600_NS5tupleIffNS6_9null_typeES8_S8_S8_S8_S8_S8_S8_EEEEZZNS1_27merge_sort_block_merge_implIS3_NS6_6detail15normal_iteratorINS6_10device_ptrIjEEEENSD_INSE_IS9_EEEEjNS1_19radix_merge_compareILb0ELb0EjNS0_19identity_decomposerEEEEE10hipError_tT0_T1_T2_jT3_P12ihipStream_tbPNSt15iterator_traitsISN_E10value_typeEPNST_ISO_E10value_typeEPSP_NS1_7vsmem_tEENKUlT_SN_SO_SP_E_clIPjSG_PS9_SI_EESM_S12_SN_SO_SP_EUlS12_E1_NS1_11comp_targetILNS1_3genE9ELNS1_11target_archE1100ELNS1_3gpuE3ELNS1_3repE0EEENS1_36merge_oddeven_config_static_selectorELNS0_4arch9wavefront6targetE0EEEvSO_.uses_vcc, 0
	.set _ZN7rocprim17ROCPRIM_400000_NS6detail17trampoline_kernelINS0_14default_configENS1_38merge_sort_block_merge_config_selectorIjN6thrust23THRUST_200600_302600_NS5tupleIffNS6_9null_typeES8_S8_S8_S8_S8_S8_S8_EEEEZZNS1_27merge_sort_block_merge_implIS3_NS6_6detail15normal_iteratorINS6_10device_ptrIjEEEENSD_INSE_IS9_EEEEjNS1_19radix_merge_compareILb0ELb0EjNS0_19identity_decomposerEEEEE10hipError_tT0_T1_T2_jT3_P12ihipStream_tbPNSt15iterator_traitsISN_E10value_typeEPNST_ISO_E10value_typeEPSP_NS1_7vsmem_tEENKUlT_SN_SO_SP_E_clIPjSG_PS9_SI_EESM_S12_SN_SO_SP_EUlS12_E1_NS1_11comp_targetILNS1_3genE9ELNS1_11target_archE1100ELNS1_3gpuE3ELNS1_3repE0EEENS1_36merge_oddeven_config_static_selectorELNS0_4arch9wavefront6targetE0EEEvSO_.uses_flat_scratch, 0
	.set _ZN7rocprim17ROCPRIM_400000_NS6detail17trampoline_kernelINS0_14default_configENS1_38merge_sort_block_merge_config_selectorIjN6thrust23THRUST_200600_302600_NS5tupleIffNS6_9null_typeES8_S8_S8_S8_S8_S8_S8_EEEEZZNS1_27merge_sort_block_merge_implIS3_NS6_6detail15normal_iteratorINS6_10device_ptrIjEEEENSD_INSE_IS9_EEEEjNS1_19radix_merge_compareILb0ELb0EjNS0_19identity_decomposerEEEEE10hipError_tT0_T1_T2_jT3_P12ihipStream_tbPNSt15iterator_traitsISN_E10value_typeEPNST_ISO_E10value_typeEPSP_NS1_7vsmem_tEENKUlT_SN_SO_SP_E_clIPjSG_PS9_SI_EESM_S12_SN_SO_SP_EUlS12_E1_NS1_11comp_targetILNS1_3genE9ELNS1_11target_archE1100ELNS1_3gpuE3ELNS1_3repE0EEENS1_36merge_oddeven_config_static_selectorELNS0_4arch9wavefront6targetE0EEEvSO_.has_dyn_sized_stack, 0
	.set _ZN7rocprim17ROCPRIM_400000_NS6detail17trampoline_kernelINS0_14default_configENS1_38merge_sort_block_merge_config_selectorIjN6thrust23THRUST_200600_302600_NS5tupleIffNS6_9null_typeES8_S8_S8_S8_S8_S8_S8_EEEEZZNS1_27merge_sort_block_merge_implIS3_NS6_6detail15normal_iteratorINS6_10device_ptrIjEEEENSD_INSE_IS9_EEEEjNS1_19radix_merge_compareILb0ELb0EjNS0_19identity_decomposerEEEEE10hipError_tT0_T1_T2_jT3_P12ihipStream_tbPNSt15iterator_traitsISN_E10value_typeEPNST_ISO_E10value_typeEPSP_NS1_7vsmem_tEENKUlT_SN_SO_SP_E_clIPjSG_PS9_SI_EESM_S12_SN_SO_SP_EUlS12_E1_NS1_11comp_targetILNS1_3genE9ELNS1_11target_archE1100ELNS1_3gpuE3ELNS1_3repE0EEENS1_36merge_oddeven_config_static_selectorELNS0_4arch9wavefront6targetE0EEEvSO_.has_recursion, 0
	.set _ZN7rocprim17ROCPRIM_400000_NS6detail17trampoline_kernelINS0_14default_configENS1_38merge_sort_block_merge_config_selectorIjN6thrust23THRUST_200600_302600_NS5tupleIffNS6_9null_typeES8_S8_S8_S8_S8_S8_S8_EEEEZZNS1_27merge_sort_block_merge_implIS3_NS6_6detail15normal_iteratorINS6_10device_ptrIjEEEENSD_INSE_IS9_EEEEjNS1_19radix_merge_compareILb0ELb0EjNS0_19identity_decomposerEEEEE10hipError_tT0_T1_T2_jT3_P12ihipStream_tbPNSt15iterator_traitsISN_E10value_typeEPNST_ISO_E10value_typeEPSP_NS1_7vsmem_tEENKUlT_SN_SO_SP_E_clIPjSG_PS9_SI_EESM_S12_SN_SO_SP_EUlS12_E1_NS1_11comp_targetILNS1_3genE9ELNS1_11target_archE1100ELNS1_3gpuE3ELNS1_3repE0EEENS1_36merge_oddeven_config_static_selectorELNS0_4arch9wavefront6targetE0EEEvSO_.has_indirect_call, 0
	.section	.AMDGPU.csdata,"",@progbits
; Kernel info:
; codeLenInByte = 0
; TotalNumSgprs: 0
; NumVgprs: 0
; ScratchSize: 0
; MemoryBound: 0
; FloatMode: 240
; IeeeMode: 1
; LDSByteSize: 0 bytes/workgroup (compile time only)
; SGPRBlocks: 0
; VGPRBlocks: 0
; NumSGPRsForWavesPerEU: 1
; NumVGPRsForWavesPerEU: 1
; Occupancy: 16
; WaveLimiterHint : 0
; COMPUTE_PGM_RSRC2:SCRATCH_EN: 0
; COMPUTE_PGM_RSRC2:USER_SGPR: 2
; COMPUTE_PGM_RSRC2:TRAP_HANDLER: 0
; COMPUTE_PGM_RSRC2:TGID_X_EN: 1
; COMPUTE_PGM_RSRC2:TGID_Y_EN: 0
; COMPUTE_PGM_RSRC2:TGID_Z_EN: 0
; COMPUTE_PGM_RSRC2:TIDIG_COMP_CNT: 0
	.section	.text._ZN7rocprim17ROCPRIM_400000_NS6detail17trampoline_kernelINS0_14default_configENS1_38merge_sort_block_merge_config_selectorIjN6thrust23THRUST_200600_302600_NS5tupleIffNS6_9null_typeES8_S8_S8_S8_S8_S8_S8_EEEEZZNS1_27merge_sort_block_merge_implIS3_NS6_6detail15normal_iteratorINS6_10device_ptrIjEEEENSD_INSE_IS9_EEEEjNS1_19radix_merge_compareILb0ELb0EjNS0_19identity_decomposerEEEEE10hipError_tT0_T1_T2_jT3_P12ihipStream_tbPNSt15iterator_traitsISN_E10value_typeEPNST_ISO_E10value_typeEPSP_NS1_7vsmem_tEENKUlT_SN_SO_SP_E_clIPjSG_PS9_SI_EESM_S12_SN_SO_SP_EUlS12_E1_NS1_11comp_targetILNS1_3genE8ELNS1_11target_archE1030ELNS1_3gpuE2ELNS1_3repE0EEENS1_36merge_oddeven_config_static_selectorELNS0_4arch9wavefront6targetE0EEEvSO_,"axG",@progbits,_ZN7rocprim17ROCPRIM_400000_NS6detail17trampoline_kernelINS0_14default_configENS1_38merge_sort_block_merge_config_selectorIjN6thrust23THRUST_200600_302600_NS5tupleIffNS6_9null_typeES8_S8_S8_S8_S8_S8_S8_EEEEZZNS1_27merge_sort_block_merge_implIS3_NS6_6detail15normal_iteratorINS6_10device_ptrIjEEEENSD_INSE_IS9_EEEEjNS1_19radix_merge_compareILb0ELb0EjNS0_19identity_decomposerEEEEE10hipError_tT0_T1_T2_jT3_P12ihipStream_tbPNSt15iterator_traitsISN_E10value_typeEPNST_ISO_E10value_typeEPSP_NS1_7vsmem_tEENKUlT_SN_SO_SP_E_clIPjSG_PS9_SI_EESM_S12_SN_SO_SP_EUlS12_E1_NS1_11comp_targetILNS1_3genE8ELNS1_11target_archE1030ELNS1_3gpuE2ELNS1_3repE0EEENS1_36merge_oddeven_config_static_selectorELNS0_4arch9wavefront6targetE0EEEvSO_,comdat
	.protected	_ZN7rocprim17ROCPRIM_400000_NS6detail17trampoline_kernelINS0_14default_configENS1_38merge_sort_block_merge_config_selectorIjN6thrust23THRUST_200600_302600_NS5tupleIffNS6_9null_typeES8_S8_S8_S8_S8_S8_S8_EEEEZZNS1_27merge_sort_block_merge_implIS3_NS6_6detail15normal_iteratorINS6_10device_ptrIjEEEENSD_INSE_IS9_EEEEjNS1_19radix_merge_compareILb0ELb0EjNS0_19identity_decomposerEEEEE10hipError_tT0_T1_T2_jT3_P12ihipStream_tbPNSt15iterator_traitsISN_E10value_typeEPNST_ISO_E10value_typeEPSP_NS1_7vsmem_tEENKUlT_SN_SO_SP_E_clIPjSG_PS9_SI_EESM_S12_SN_SO_SP_EUlS12_E1_NS1_11comp_targetILNS1_3genE8ELNS1_11target_archE1030ELNS1_3gpuE2ELNS1_3repE0EEENS1_36merge_oddeven_config_static_selectorELNS0_4arch9wavefront6targetE0EEEvSO_ ; -- Begin function _ZN7rocprim17ROCPRIM_400000_NS6detail17trampoline_kernelINS0_14default_configENS1_38merge_sort_block_merge_config_selectorIjN6thrust23THRUST_200600_302600_NS5tupleIffNS6_9null_typeES8_S8_S8_S8_S8_S8_S8_EEEEZZNS1_27merge_sort_block_merge_implIS3_NS6_6detail15normal_iteratorINS6_10device_ptrIjEEEENSD_INSE_IS9_EEEEjNS1_19radix_merge_compareILb0ELb0EjNS0_19identity_decomposerEEEEE10hipError_tT0_T1_T2_jT3_P12ihipStream_tbPNSt15iterator_traitsISN_E10value_typeEPNST_ISO_E10value_typeEPSP_NS1_7vsmem_tEENKUlT_SN_SO_SP_E_clIPjSG_PS9_SI_EESM_S12_SN_SO_SP_EUlS12_E1_NS1_11comp_targetILNS1_3genE8ELNS1_11target_archE1030ELNS1_3gpuE2ELNS1_3repE0EEENS1_36merge_oddeven_config_static_selectorELNS0_4arch9wavefront6targetE0EEEvSO_
	.globl	_ZN7rocprim17ROCPRIM_400000_NS6detail17trampoline_kernelINS0_14default_configENS1_38merge_sort_block_merge_config_selectorIjN6thrust23THRUST_200600_302600_NS5tupleIffNS6_9null_typeES8_S8_S8_S8_S8_S8_S8_EEEEZZNS1_27merge_sort_block_merge_implIS3_NS6_6detail15normal_iteratorINS6_10device_ptrIjEEEENSD_INSE_IS9_EEEEjNS1_19radix_merge_compareILb0ELb0EjNS0_19identity_decomposerEEEEE10hipError_tT0_T1_T2_jT3_P12ihipStream_tbPNSt15iterator_traitsISN_E10value_typeEPNST_ISO_E10value_typeEPSP_NS1_7vsmem_tEENKUlT_SN_SO_SP_E_clIPjSG_PS9_SI_EESM_S12_SN_SO_SP_EUlS12_E1_NS1_11comp_targetILNS1_3genE8ELNS1_11target_archE1030ELNS1_3gpuE2ELNS1_3repE0EEENS1_36merge_oddeven_config_static_selectorELNS0_4arch9wavefront6targetE0EEEvSO_
	.p2align	8
	.type	_ZN7rocprim17ROCPRIM_400000_NS6detail17trampoline_kernelINS0_14default_configENS1_38merge_sort_block_merge_config_selectorIjN6thrust23THRUST_200600_302600_NS5tupleIffNS6_9null_typeES8_S8_S8_S8_S8_S8_S8_EEEEZZNS1_27merge_sort_block_merge_implIS3_NS6_6detail15normal_iteratorINS6_10device_ptrIjEEEENSD_INSE_IS9_EEEEjNS1_19radix_merge_compareILb0ELb0EjNS0_19identity_decomposerEEEEE10hipError_tT0_T1_T2_jT3_P12ihipStream_tbPNSt15iterator_traitsISN_E10value_typeEPNST_ISO_E10value_typeEPSP_NS1_7vsmem_tEENKUlT_SN_SO_SP_E_clIPjSG_PS9_SI_EESM_S12_SN_SO_SP_EUlS12_E1_NS1_11comp_targetILNS1_3genE8ELNS1_11target_archE1030ELNS1_3gpuE2ELNS1_3repE0EEENS1_36merge_oddeven_config_static_selectorELNS0_4arch9wavefront6targetE0EEEvSO_,@function
_ZN7rocprim17ROCPRIM_400000_NS6detail17trampoline_kernelINS0_14default_configENS1_38merge_sort_block_merge_config_selectorIjN6thrust23THRUST_200600_302600_NS5tupleIffNS6_9null_typeES8_S8_S8_S8_S8_S8_S8_EEEEZZNS1_27merge_sort_block_merge_implIS3_NS6_6detail15normal_iteratorINS6_10device_ptrIjEEEENSD_INSE_IS9_EEEEjNS1_19radix_merge_compareILb0ELb0EjNS0_19identity_decomposerEEEEE10hipError_tT0_T1_T2_jT3_P12ihipStream_tbPNSt15iterator_traitsISN_E10value_typeEPNST_ISO_E10value_typeEPSP_NS1_7vsmem_tEENKUlT_SN_SO_SP_E_clIPjSG_PS9_SI_EESM_S12_SN_SO_SP_EUlS12_E1_NS1_11comp_targetILNS1_3genE8ELNS1_11target_archE1030ELNS1_3gpuE2ELNS1_3repE0EEENS1_36merge_oddeven_config_static_selectorELNS0_4arch9wavefront6targetE0EEEvSO_: ; @_ZN7rocprim17ROCPRIM_400000_NS6detail17trampoline_kernelINS0_14default_configENS1_38merge_sort_block_merge_config_selectorIjN6thrust23THRUST_200600_302600_NS5tupleIffNS6_9null_typeES8_S8_S8_S8_S8_S8_S8_EEEEZZNS1_27merge_sort_block_merge_implIS3_NS6_6detail15normal_iteratorINS6_10device_ptrIjEEEENSD_INSE_IS9_EEEEjNS1_19radix_merge_compareILb0ELb0EjNS0_19identity_decomposerEEEEE10hipError_tT0_T1_T2_jT3_P12ihipStream_tbPNSt15iterator_traitsISN_E10value_typeEPNST_ISO_E10value_typeEPSP_NS1_7vsmem_tEENKUlT_SN_SO_SP_E_clIPjSG_PS9_SI_EESM_S12_SN_SO_SP_EUlS12_E1_NS1_11comp_targetILNS1_3genE8ELNS1_11target_archE1030ELNS1_3gpuE2ELNS1_3repE0EEENS1_36merge_oddeven_config_static_selectorELNS0_4arch9wavefront6targetE0EEEvSO_
; %bb.0:
	.section	.rodata,"a",@progbits
	.p2align	6, 0x0
	.amdhsa_kernel _ZN7rocprim17ROCPRIM_400000_NS6detail17trampoline_kernelINS0_14default_configENS1_38merge_sort_block_merge_config_selectorIjN6thrust23THRUST_200600_302600_NS5tupleIffNS6_9null_typeES8_S8_S8_S8_S8_S8_S8_EEEEZZNS1_27merge_sort_block_merge_implIS3_NS6_6detail15normal_iteratorINS6_10device_ptrIjEEEENSD_INSE_IS9_EEEEjNS1_19radix_merge_compareILb0ELb0EjNS0_19identity_decomposerEEEEE10hipError_tT0_T1_T2_jT3_P12ihipStream_tbPNSt15iterator_traitsISN_E10value_typeEPNST_ISO_E10value_typeEPSP_NS1_7vsmem_tEENKUlT_SN_SO_SP_E_clIPjSG_PS9_SI_EESM_S12_SN_SO_SP_EUlS12_E1_NS1_11comp_targetILNS1_3genE8ELNS1_11target_archE1030ELNS1_3gpuE2ELNS1_3repE0EEENS1_36merge_oddeven_config_static_selectorELNS0_4arch9wavefront6targetE0EEEvSO_
		.amdhsa_group_segment_fixed_size 0
		.amdhsa_private_segment_fixed_size 0
		.amdhsa_kernarg_size 48
		.amdhsa_user_sgpr_count 2
		.amdhsa_user_sgpr_dispatch_ptr 0
		.amdhsa_user_sgpr_queue_ptr 0
		.amdhsa_user_sgpr_kernarg_segment_ptr 1
		.amdhsa_user_sgpr_dispatch_id 0
		.amdhsa_user_sgpr_private_segment_size 0
		.amdhsa_wavefront_size32 1
		.amdhsa_uses_dynamic_stack 0
		.amdhsa_enable_private_segment 0
		.amdhsa_system_sgpr_workgroup_id_x 1
		.amdhsa_system_sgpr_workgroup_id_y 0
		.amdhsa_system_sgpr_workgroup_id_z 0
		.amdhsa_system_sgpr_workgroup_info 0
		.amdhsa_system_vgpr_workitem_id 0
		.amdhsa_next_free_vgpr 1
		.amdhsa_next_free_sgpr 1
		.amdhsa_reserve_vcc 0
		.amdhsa_float_round_mode_32 0
		.amdhsa_float_round_mode_16_64 0
		.amdhsa_float_denorm_mode_32 3
		.amdhsa_float_denorm_mode_16_64 3
		.amdhsa_fp16_overflow 0
		.amdhsa_workgroup_processor_mode 1
		.amdhsa_memory_ordered 1
		.amdhsa_forward_progress 1
		.amdhsa_inst_pref_size 0
		.amdhsa_round_robin_scheduling 0
		.amdhsa_exception_fp_ieee_invalid_op 0
		.amdhsa_exception_fp_denorm_src 0
		.amdhsa_exception_fp_ieee_div_zero 0
		.amdhsa_exception_fp_ieee_overflow 0
		.amdhsa_exception_fp_ieee_underflow 0
		.amdhsa_exception_fp_ieee_inexact 0
		.amdhsa_exception_int_div_zero 0
	.end_amdhsa_kernel
	.section	.text._ZN7rocprim17ROCPRIM_400000_NS6detail17trampoline_kernelINS0_14default_configENS1_38merge_sort_block_merge_config_selectorIjN6thrust23THRUST_200600_302600_NS5tupleIffNS6_9null_typeES8_S8_S8_S8_S8_S8_S8_EEEEZZNS1_27merge_sort_block_merge_implIS3_NS6_6detail15normal_iteratorINS6_10device_ptrIjEEEENSD_INSE_IS9_EEEEjNS1_19radix_merge_compareILb0ELb0EjNS0_19identity_decomposerEEEEE10hipError_tT0_T1_T2_jT3_P12ihipStream_tbPNSt15iterator_traitsISN_E10value_typeEPNST_ISO_E10value_typeEPSP_NS1_7vsmem_tEENKUlT_SN_SO_SP_E_clIPjSG_PS9_SI_EESM_S12_SN_SO_SP_EUlS12_E1_NS1_11comp_targetILNS1_3genE8ELNS1_11target_archE1030ELNS1_3gpuE2ELNS1_3repE0EEENS1_36merge_oddeven_config_static_selectorELNS0_4arch9wavefront6targetE0EEEvSO_,"axG",@progbits,_ZN7rocprim17ROCPRIM_400000_NS6detail17trampoline_kernelINS0_14default_configENS1_38merge_sort_block_merge_config_selectorIjN6thrust23THRUST_200600_302600_NS5tupleIffNS6_9null_typeES8_S8_S8_S8_S8_S8_S8_EEEEZZNS1_27merge_sort_block_merge_implIS3_NS6_6detail15normal_iteratorINS6_10device_ptrIjEEEENSD_INSE_IS9_EEEEjNS1_19radix_merge_compareILb0ELb0EjNS0_19identity_decomposerEEEEE10hipError_tT0_T1_T2_jT3_P12ihipStream_tbPNSt15iterator_traitsISN_E10value_typeEPNST_ISO_E10value_typeEPSP_NS1_7vsmem_tEENKUlT_SN_SO_SP_E_clIPjSG_PS9_SI_EESM_S12_SN_SO_SP_EUlS12_E1_NS1_11comp_targetILNS1_3genE8ELNS1_11target_archE1030ELNS1_3gpuE2ELNS1_3repE0EEENS1_36merge_oddeven_config_static_selectorELNS0_4arch9wavefront6targetE0EEEvSO_,comdat
.Lfunc_end48:
	.size	_ZN7rocprim17ROCPRIM_400000_NS6detail17trampoline_kernelINS0_14default_configENS1_38merge_sort_block_merge_config_selectorIjN6thrust23THRUST_200600_302600_NS5tupleIffNS6_9null_typeES8_S8_S8_S8_S8_S8_S8_EEEEZZNS1_27merge_sort_block_merge_implIS3_NS6_6detail15normal_iteratorINS6_10device_ptrIjEEEENSD_INSE_IS9_EEEEjNS1_19radix_merge_compareILb0ELb0EjNS0_19identity_decomposerEEEEE10hipError_tT0_T1_T2_jT3_P12ihipStream_tbPNSt15iterator_traitsISN_E10value_typeEPNST_ISO_E10value_typeEPSP_NS1_7vsmem_tEENKUlT_SN_SO_SP_E_clIPjSG_PS9_SI_EESM_S12_SN_SO_SP_EUlS12_E1_NS1_11comp_targetILNS1_3genE8ELNS1_11target_archE1030ELNS1_3gpuE2ELNS1_3repE0EEENS1_36merge_oddeven_config_static_selectorELNS0_4arch9wavefront6targetE0EEEvSO_, .Lfunc_end48-_ZN7rocprim17ROCPRIM_400000_NS6detail17trampoline_kernelINS0_14default_configENS1_38merge_sort_block_merge_config_selectorIjN6thrust23THRUST_200600_302600_NS5tupleIffNS6_9null_typeES8_S8_S8_S8_S8_S8_S8_EEEEZZNS1_27merge_sort_block_merge_implIS3_NS6_6detail15normal_iteratorINS6_10device_ptrIjEEEENSD_INSE_IS9_EEEEjNS1_19radix_merge_compareILb0ELb0EjNS0_19identity_decomposerEEEEE10hipError_tT0_T1_T2_jT3_P12ihipStream_tbPNSt15iterator_traitsISN_E10value_typeEPNST_ISO_E10value_typeEPSP_NS1_7vsmem_tEENKUlT_SN_SO_SP_E_clIPjSG_PS9_SI_EESM_S12_SN_SO_SP_EUlS12_E1_NS1_11comp_targetILNS1_3genE8ELNS1_11target_archE1030ELNS1_3gpuE2ELNS1_3repE0EEENS1_36merge_oddeven_config_static_selectorELNS0_4arch9wavefront6targetE0EEEvSO_
                                        ; -- End function
	.set _ZN7rocprim17ROCPRIM_400000_NS6detail17trampoline_kernelINS0_14default_configENS1_38merge_sort_block_merge_config_selectorIjN6thrust23THRUST_200600_302600_NS5tupleIffNS6_9null_typeES8_S8_S8_S8_S8_S8_S8_EEEEZZNS1_27merge_sort_block_merge_implIS3_NS6_6detail15normal_iteratorINS6_10device_ptrIjEEEENSD_INSE_IS9_EEEEjNS1_19radix_merge_compareILb0ELb0EjNS0_19identity_decomposerEEEEE10hipError_tT0_T1_T2_jT3_P12ihipStream_tbPNSt15iterator_traitsISN_E10value_typeEPNST_ISO_E10value_typeEPSP_NS1_7vsmem_tEENKUlT_SN_SO_SP_E_clIPjSG_PS9_SI_EESM_S12_SN_SO_SP_EUlS12_E1_NS1_11comp_targetILNS1_3genE8ELNS1_11target_archE1030ELNS1_3gpuE2ELNS1_3repE0EEENS1_36merge_oddeven_config_static_selectorELNS0_4arch9wavefront6targetE0EEEvSO_.num_vgpr, 0
	.set _ZN7rocprim17ROCPRIM_400000_NS6detail17trampoline_kernelINS0_14default_configENS1_38merge_sort_block_merge_config_selectorIjN6thrust23THRUST_200600_302600_NS5tupleIffNS6_9null_typeES8_S8_S8_S8_S8_S8_S8_EEEEZZNS1_27merge_sort_block_merge_implIS3_NS6_6detail15normal_iteratorINS6_10device_ptrIjEEEENSD_INSE_IS9_EEEEjNS1_19radix_merge_compareILb0ELb0EjNS0_19identity_decomposerEEEEE10hipError_tT0_T1_T2_jT3_P12ihipStream_tbPNSt15iterator_traitsISN_E10value_typeEPNST_ISO_E10value_typeEPSP_NS1_7vsmem_tEENKUlT_SN_SO_SP_E_clIPjSG_PS9_SI_EESM_S12_SN_SO_SP_EUlS12_E1_NS1_11comp_targetILNS1_3genE8ELNS1_11target_archE1030ELNS1_3gpuE2ELNS1_3repE0EEENS1_36merge_oddeven_config_static_selectorELNS0_4arch9wavefront6targetE0EEEvSO_.num_agpr, 0
	.set _ZN7rocprim17ROCPRIM_400000_NS6detail17trampoline_kernelINS0_14default_configENS1_38merge_sort_block_merge_config_selectorIjN6thrust23THRUST_200600_302600_NS5tupleIffNS6_9null_typeES8_S8_S8_S8_S8_S8_S8_EEEEZZNS1_27merge_sort_block_merge_implIS3_NS6_6detail15normal_iteratorINS6_10device_ptrIjEEEENSD_INSE_IS9_EEEEjNS1_19radix_merge_compareILb0ELb0EjNS0_19identity_decomposerEEEEE10hipError_tT0_T1_T2_jT3_P12ihipStream_tbPNSt15iterator_traitsISN_E10value_typeEPNST_ISO_E10value_typeEPSP_NS1_7vsmem_tEENKUlT_SN_SO_SP_E_clIPjSG_PS9_SI_EESM_S12_SN_SO_SP_EUlS12_E1_NS1_11comp_targetILNS1_3genE8ELNS1_11target_archE1030ELNS1_3gpuE2ELNS1_3repE0EEENS1_36merge_oddeven_config_static_selectorELNS0_4arch9wavefront6targetE0EEEvSO_.numbered_sgpr, 0
	.set _ZN7rocprim17ROCPRIM_400000_NS6detail17trampoline_kernelINS0_14default_configENS1_38merge_sort_block_merge_config_selectorIjN6thrust23THRUST_200600_302600_NS5tupleIffNS6_9null_typeES8_S8_S8_S8_S8_S8_S8_EEEEZZNS1_27merge_sort_block_merge_implIS3_NS6_6detail15normal_iteratorINS6_10device_ptrIjEEEENSD_INSE_IS9_EEEEjNS1_19radix_merge_compareILb0ELb0EjNS0_19identity_decomposerEEEEE10hipError_tT0_T1_T2_jT3_P12ihipStream_tbPNSt15iterator_traitsISN_E10value_typeEPNST_ISO_E10value_typeEPSP_NS1_7vsmem_tEENKUlT_SN_SO_SP_E_clIPjSG_PS9_SI_EESM_S12_SN_SO_SP_EUlS12_E1_NS1_11comp_targetILNS1_3genE8ELNS1_11target_archE1030ELNS1_3gpuE2ELNS1_3repE0EEENS1_36merge_oddeven_config_static_selectorELNS0_4arch9wavefront6targetE0EEEvSO_.num_named_barrier, 0
	.set _ZN7rocprim17ROCPRIM_400000_NS6detail17trampoline_kernelINS0_14default_configENS1_38merge_sort_block_merge_config_selectorIjN6thrust23THRUST_200600_302600_NS5tupleIffNS6_9null_typeES8_S8_S8_S8_S8_S8_S8_EEEEZZNS1_27merge_sort_block_merge_implIS3_NS6_6detail15normal_iteratorINS6_10device_ptrIjEEEENSD_INSE_IS9_EEEEjNS1_19radix_merge_compareILb0ELb0EjNS0_19identity_decomposerEEEEE10hipError_tT0_T1_T2_jT3_P12ihipStream_tbPNSt15iterator_traitsISN_E10value_typeEPNST_ISO_E10value_typeEPSP_NS1_7vsmem_tEENKUlT_SN_SO_SP_E_clIPjSG_PS9_SI_EESM_S12_SN_SO_SP_EUlS12_E1_NS1_11comp_targetILNS1_3genE8ELNS1_11target_archE1030ELNS1_3gpuE2ELNS1_3repE0EEENS1_36merge_oddeven_config_static_selectorELNS0_4arch9wavefront6targetE0EEEvSO_.private_seg_size, 0
	.set _ZN7rocprim17ROCPRIM_400000_NS6detail17trampoline_kernelINS0_14default_configENS1_38merge_sort_block_merge_config_selectorIjN6thrust23THRUST_200600_302600_NS5tupleIffNS6_9null_typeES8_S8_S8_S8_S8_S8_S8_EEEEZZNS1_27merge_sort_block_merge_implIS3_NS6_6detail15normal_iteratorINS6_10device_ptrIjEEEENSD_INSE_IS9_EEEEjNS1_19radix_merge_compareILb0ELb0EjNS0_19identity_decomposerEEEEE10hipError_tT0_T1_T2_jT3_P12ihipStream_tbPNSt15iterator_traitsISN_E10value_typeEPNST_ISO_E10value_typeEPSP_NS1_7vsmem_tEENKUlT_SN_SO_SP_E_clIPjSG_PS9_SI_EESM_S12_SN_SO_SP_EUlS12_E1_NS1_11comp_targetILNS1_3genE8ELNS1_11target_archE1030ELNS1_3gpuE2ELNS1_3repE0EEENS1_36merge_oddeven_config_static_selectorELNS0_4arch9wavefront6targetE0EEEvSO_.uses_vcc, 0
	.set _ZN7rocprim17ROCPRIM_400000_NS6detail17trampoline_kernelINS0_14default_configENS1_38merge_sort_block_merge_config_selectorIjN6thrust23THRUST_200600_302600_NS5tupleIffNS6_9null_typeES8_S8_S8_S8_S8_S8_S8_EEEEZZNS1_27merge_sort_block_merge_implIS3_NS6_6detail15normal_iteratorINS6_10device_ptrIjEEEENSD_INSE_IS9_EEEEjNS1_19radix_merge_compareILb0ELb0EjNS0_19identity_decomposerEEEEE10hipError_tT0_T1_T2_jT3_P12ihipStream_tbPNSt15iterator_traitsISN_E10value_typeEPNST_ISO_E10value_typeEPSP_NS1_7vsmem_tEENKUlT_SN_SO_SP_E_clIPjSG_PS9_SI_EESM_S12_SN_SO_SP_EUlS12_E1_NS1_11comp_targetILNS1_3genE8ELNS1_11target_archE1030ELNS1_3gpuE2ELNS1_3repE0EEENS1_36merge_oddeven_config_static_selectorELNS0_4arch9wavefront6targetE0EEEvSO_.uses_flat_scratch, 0
	.set _ZN7rocprim17ROCPRIM_400000_NS6detail17trampoline_kernelINS0_14default_configENS1_38merge_sort_block_merge_config_selectorIjN6thrust23THRUST_200600_302600_NS5tupleIffNS6_9null_typeES8_S8_S8_S8_S8_S8_S8_EEEEZZNS1_27merge_sort_block_merge_implIS3_NS6_6detail15normal_iteratorINS6_10device_ptrIjEEEENSD_INSE_IS9_EEEEjNS1_19radix_merge_compareILb0ELb0EjNS0_19identity_decomposerEEEEE10hipError_tT0_T1_T2_jT3_P12ihipStream_tbPNSt15iterator_traitsISN_E10value_typeEPNST_ISO_E10value_typeEPSP_NS1_7vsmem_tEENKUlT_SN_SO_SP_E_clIPjSG_PS9_SI_EESM_S12_SN_SO_SP_EUlS12_E1_NS1_11comp_targetILNS1_3genE8ELNS1_11target_archE1030ELNS1_3gpuE2ELNS1_3repE0EEENS1_36merge_oddeven_config_static_selectorELNS0_4arch9wavefront6targetE0EEEvSO_.has_dyn_sized_stack, 0
	.set _ZN7rocprim17ROCPRIM_400000_NS6detail17trampoline_kernelINS0_14default_configENS1_38merge_sort_block_merge_config_selectorIjN6thrust23THRUST_200600_302600_NS5tupleIffNS6_9null_typeES8_S8_S8_S8_S8_S8_S8_EEEEZZNS1_27merge_sort_block_merge_implIS3_NS6_6detail15normal_iteratorINS6_10device_ptrIjEEEENSD_INSE_IS9_EEEEjNS1_19radix_merge_compareILb0ELb0EjNS0_19identity_decomposerEEEEE10hipError_tT0_T1_T2_jT3_P12ihipStream_tbPNSt15iterator_traitsISN_E10value_typeEPNST_ISO_E10value_typeEPSP_NS1_7vsmem_tEENKUlT_SN_SO_SP_E_clIPjSG_PS9_SI_EESM_S12_SN_SO_SP_EUlS12_E1_NS1_11comp_targetILNS1_3genE8ELNS1_11target_archE1030ELNS1_3gpuE2ELNS1_3repE0EEENS1_36merge_oddeven_config_static_selectorELNS0_4arch9wavefront6targetE0EEEvSO_.has_recursion, 0
	.set _ZN7rocprim17ROCPRIM_400000_NS6detail17trampoline_kernelINS0_14default_configENS1_38merge_sort_block_merge_config_selectorIjN6thrust23THRUST_200600_302600_NS5tupleIffNS6_9null_typeES8_S8_S8_S8_S8_S8_S8_EEEEZZNS1_27merge_sort_block_merge_implIS3_NS6_6detail15normal_iteratorINS6_10device_ptrIjEEEENSD_INSE_IS9_EEEEjNS1_19radix_merge_compareILb0ELb0EjNS0_19identity_decomposerEEEEE10hipError_tT0_T1_T2_jT3_P12ihipStream_tbPNSt15iterator_traitsISN_E10value_typeEPNST_ISO_E10value_typeEPSP_NS1_7vsmem_tEENKUlT_SN_SO_SP_E_clIPjSG_PS9_SI_EESM_S12_SN_SO_SP_EUlS12_E1_NS1_11comp_targetILNS1_3genE8ELNS1_11target_archE1030ELNS1_3gpuE2ELNS1_3repE0EEENS1_36merge_oddeven_config_static_selectorELNS0_4arch9wavefront6targetE0EEEvSO_.has_indirect_call, 0
	.section	.AMDGPU.csdata,"",@progbits
; Kernel info:
; codeLenInByte = 0
; TotalNumSgprs: 0
; NumVgprs: 0
; ScratchSize: 0
; MemoryBound: 0
; FloatMode: 240
; IeeeMode: 1
; LDSByteSize: 0 bytes/workgroup (compile time only)
; SGPRBlocks: 0
; VGPRBlocks: 0
; NumSGPRsForWavesPerEU: 1
; NumVGPRsForWavesPerEU: 1
; Occupancy: 16
; WaveLimiterHint : 0
; COMPUTE_PGM_RSRC2:SCRATCH_EN: 0
; COMPUTE_PGM_RSRC2:USER_SGPR: 2
; COMPUTE_PGM_RSRC2:TRAP_HANDLER: 0
; COMPUTE_PGM_RSRC2:TGID_X_EN: 1
; COMPUTE_PGM_RSRC2:TGID_Y_EN: 0
; COMPUTE_PGM_RSRC2:TGID_Z_EN: 0
; COMPUTE_PGM_RSRC2:TIDIG_COMP_CNT: 0
	.section	.text._ZN7rocprim17ROCPRIM_400000_NS6detail17trampoline_kernelINS0_14default_configENS1_38merge_sort_block_merge_config_selectorIjN6thrust23THRUST_200600_302600_NS5tupleIffNS6_9null_typeES8_S8_S8_S8_S8_S8_S8_EEEEZZNS1_27merge_sort_block_merge_implIS3_NS6_6detail15normal_iteratorINS6_10device_ptrIjEEEENSD_INSE_IS9_EEEEjNS1_19radix_merge_compareILb0ELb0EjNS0_19identity_decomposerEEEEE10hipError_tT0_T1_T2_jT3_P12ihipStream_tbPNSt15iterator_traitsISN_E10value_typeEPNST_ISO_E10value_typeEPSP_NS1_7vsmem_tEENKUlT_SN_SO_SP_E_clISG_PjSI_PS9_EESM_S12_SN_SO_SP_EUlS12_E_NS1_11comp_targetILNS1_3genE0ELNS1_11target_archE4294967295ELNS1_3gpuE0ELNS1_3repE0EEENS1_48merge_mergepath_partition_config_static_selectorELNS0_4arch9wavefront6targetE0EEEvSO_,"axG",@progbits,_ZN7rocprim17ROCPRIM_400000_NS6detail17trampoline_kernelINS0_14default_configENS1_38merge_sort_block_merge_config_selectorIjN6thrust23THRUST_200600_302600_NS5tupleIffNS6_9null_typeES8_S8_S8_S8_S8_S8_S8_EEEEZZNS1_27merge_sort_block_merge_implIS3_NS6_6detail15normal_iteratorINS6_10device_ptrIjEEEENSD_INSE_IS9_EEEEjNS1_19radix_merge_compareILb0ELb0EjNS0_19identity_decomposerEEEEE10hipError_tT0_T1_T2_jT3_P12ihipStream_tbPNSt15iterator_traitsISN_E10value_typeEPNST_ISO_E10value_typeEPSP_NS1_7vsmem_tEENKUlT_SN_SO_SP_E_clISG_PjSI_PS9_EESM_S12_SN_SO_SP_EUlS12_E_NS1_11comp_targetILNS1_3genE0ELNS1_11target_archE4294967295ELNS1_3gpuE0ELNS1_3repE0EEENS1_48merge_mergepath_partition_config_static_selectorELNS0_4arch9wavefront6targetE0EEEvSO_,comdat
	.protected	_ZN7rocprim17ROCPRIM_400000_NS6detail17trampoline_kernelINS0_14default_configENS1_38merge_sort_block_merge_config_selectorIjN6thrust23THRUST_200600_302600_NS5tupleIffNS6_9null_typeES8_S8_S8_S8_S8_S8_S8_EEEEZZNS1_27merge_sort_block_merge_implIS3_NS6_6detail15normal_iteratorINS6_10device_ptrIjEEEENSD_INSE_IS9_EEEEjNS1_19radix_merge_compareILb0ELb0EjNS0_19identity_decomposerEEEEE10hipError_tT0_T1_T2_jT3_P12ihipStream_tbPNSt15iterator_traitsISN_E10value_typeEPNST_ISO_E10value_typeEPSP_NS1_7vsmem_tEENKUlT_SN_SO_SP_E_clISG_PjSI_PS9_EESM_S12_SN_SO_SP_EUlS12_E_NS1_11comp_targetILNS1_3genE0ELNS1_11target_archE4294967295ELNS1_3gpuE0ELNS1_3repE0EEENS1_48merge_mergepath_partition_config_static_selectorELNS0_4arch9wavefront6targetE0EEEvSO_ ; -- Begin function _ZN7rocprim17ROCPRIM_400000_NS6detail17trampoline_kernelINS0_14default_configENS1_38merge_sort_block_merge_config_selectorIjN6thrust23THRUST_200600_302600_NS5tupleIffNS6_9null_typeES8_S8_S8_S8_S8_S8_S8_EEEEZZNS1_27merge_sort_block_merge_implIS3_NS6_6detail15normal_iteratorINS6_10device_ptrIjEEEENSD_INSE_IS9_EEEEjNS1_19radix_merge_compareILb0ELb0EjNS0_19identity_decomposerEEEEE10hipError_tT0_T1_T2_jT3_P12ihipStream_tbPNSt15iterator_traitsISN_E10value_typeEPNST_ISO_E10value_typeEPSP_NS1_7vsmem_tEENKUlT_SN_SO_SP_E_clISG_PjSI_PS9_EESM_S12_SN_SO_SP_EUlS12_E_NS1_11comp_targetILNS1_3genE0ELNS1_11target_archE4294967295ELNS1_3gpuE0ELNS1_3repE0EEENS1_48merge_mergepath_partition_config_static_selectorELNS0_4arch9wavefront6targetE0EEEvSO_
	.globl	_ZN7rocprim17ROCPRIM_400000_NS6detail17trampoline_kernelINS0_14default_configENS1_38merge_sort_block_merge_config_selectorIjN6thrust23THRUST_200600_302600_NS5tupleIffNS6_9null_typeES8_S8_S8_S8_S8_S8_S8_EEEEZZNS1_27merge_sort_block_merge_implIS3_NS6_6detail15normal_iteratorINS6_10device_ptrIjEEEENSD_INSE_IS9_EEEEjNS1_19radix_merge_compareILb0ELb0EjNS0_19identity_decomposerEEEEE10hipError_tT0_T1_T2_jT3_P12ihipStream_tbPNSt15iterator_traitsISN_E10value_typeEPNST_ISO_E10value_typeEPSP_NS1_7vsmem_tEENKUlT_SN_SO_SP_E_clISG_PjSI_PS9_EESM_S12_SN_SO_SP_EUlS12_E_NS1_11comp_targetILNS1_3genE0ELNS1_11target_archE4294967295ELNS1_3gpuE0ELNS1_3repE0EEENS1_48merge_mergepath_partition_config_static_selectorELNS0_4arch9wavefront6targetE0EEEvSO_
	.p2align	8
	.type	_ZN7rocprim17ROCPRIM_400000_NS6detail17trampoline_kernelINS0_14default_configENS1_38merge_sort_block_merge_config_selectorIjN6thrust23THRUST_200600_302600_NS5tupleIffNS6_9null_typeES8_S8_S8_S8_S8_S8_S8_EEEEZZNS1_27merge_sort_block_merge_implIS3_NS6_6detail15normal_iteratorINS6_10device_ptrIjEEEENSD_INSE_IS9_EEEEjNS1_19radix_merge_compareILb0ELb0EjNS0_19identity_decomposerEEEEE10hipError_tT0_T1_T2_jT3_P12ihipStream_tbPNSt15iterator_traitsISN_E10value_typeEPNST_ISO_E10value_typeEPSP_NS1_7vsmem_tEENKUlT_SN_SO_SP_E_clISG_PjSI_PS9_EESM_S12_SN_SO_SP_EUlS12_E_NS1_11comp_targetILNS1_3genE0ELNS1_11target_archE4294967295ELNS1_3gpuE0ELNS1_3repE0EEENS1_48merge_mergepath_partition_config_static_selectorELNS0_4arch9wavefront6targetE0EEEvSO_,@function
_ZN7rocprim17ROCPRIM_400000_NS6detail17trampoline_kernelINS0_14default_configENS1_38merge_sort_block_merge_config_selectorIjN6thrust23THRUST_200600_302600_NS5tupleIffNS6_9null_typeES8_S8_S8_S8_S8_S8_S8_EEEEZZNS1_27merge_sort_block_merge_implIS3_NS6_6detail15normal_iteratorINS6_10device_ptrIjEEEENSD_INSE_IS9_EEEEjNS1_19radix_merge_compareILb0ELb0EjNS0_19identity_decomposerEEEEE10hipError_tT0_T1_T2_jT3_P12ihipStream_tbPNSt15iterator_traitsISN_E10value_typeEPNST_ISO_E10value_typeEPSP_NS1_7vsmem_tEENKUlT_SN_SO_SP_E_clISG_PjSI_PS9_EESM_S12_SN_SO_SP_EUlS12_E_NS1_11comp_targetILNS1_3genE0ELNS1_11target_archE4294967295ELNS1_3gpuE0ELNS1_3repE0EEENS1_48merge_mergepath_partition_config_static_selectorELNS0_4arch9wavefront6targetE0EEEvSO_: ; @_ZN7rocprim17ROCPRIM_400000_NS6detail17trampoline_kernelINS0_14default_configENS1_38merge_sort_block_merge_config_selectorIjN6thrust23THRUST_200600_302600_NS5tupleIffNS6_9null_typeES8_S8_S8_S8_S8_S8_S8_EEEEZZNS1_27merge_sort_block_merge_implIS3_NS6_6detail15normal_iteratorINS6_10device_ptrIjEEEENSD_INSE_IS9_EEEEjNS1_19radix_merge_compareILb0ELb0EjNS0_19identity_decomposerEEEEE10hipError_tT0_T1_T2_jT3_P12ihipStream_tbPNSt15iterator_traitsISN_E10value_typeEPNST_ISO_E10value_typeEPSP_NS1_7vsmem_tEENKUlT_SN_SO_SP_E_clISG_PjSI_PS9_EESM_S12_SN_SO_SP_EUlS12_E_NS1_11comp_targetILNS1_3genE0ELNS1_11target_archE4294967295ELNS1_3gpuE0ELNS1_3repE0EEENS1_48merge_mergepath_partition_config_static_selectorELNS0_4arch9wavefront6targetE0EEEvSO_
; %bb.0:
	.section	.rodata,"a",@progbits
	.p2align	6, 0x0
	.amdhsa_kernel _ZN7rocprim17ROCPRIM_400000_NS6detail17trampoline_kernelINS0_14default_configENS1_38merge_sort_block_merge_config_selectorIjN6thrust23THRUST_200600_302600_NS5tupleIffNS6_9null_typeES8_S8_S8_S8_S8_S8_S8_EEEEZZNS1_27merge_sort_block_merge_implIS3_NS6_6detail15normal_iteratorINS6_10device_ptrIjEEEENSD_INSE_IS9_EEEEjNS1_19radix_merge_compareILb0ELb0EjNS0_19identity_decomposerEEEEE10hipError_tT0_T1_T2_jT3_P12ihipStream_tbPNSt15iterator_traitsISN_E10value_typeEPNST_ISO_E10value_typeEPSP_NS1_7vsmem_tEENKUlT_SN_SO_SP_E_clISG_PjSI_PS9_EESM_S12_SN_SO_SP_EUlS12_E_NS1_11comp_targetILNS1_3genE0ELNS1_11target_archE4294967295ELNS1_3gpuE0ELNS1_3repE0EEENS1_48merge_mergepath_partition_config_static_selectorELNS0_4arch9wavefront6targetE0EEEvSO_
		.amdhsa_group_segment_fixed_size 0
		.amdhsa_private_segment_fixed_size 0
		.amdhsa_kernarg_size 40
		.amdhsa_user_sgpr_count 2
		.amdhsa_user_sgpr_dispatch_ptr 0
		.amdhsa_user_sgpr_queue_ptr 0
		.amdhsa_user_sgpr_kernarg_segment_ptr 1
		.amdhsa_user_sgpr_dispatch_id 0
		.amdhsa_user_sgpr_private_segment_size 0
		.amdhsa_wavefront_size32 1
		.amdhsa_uses_dynamic_stack 0
		.amdhsa_enable_private_segment 0
		.amdhsa_system_sgpr_workgroup_id_x 1
		.amdhsa_system_sgpr_workgroup_id_y 0
		.amdhsa_system_sgpr_workgroup_id_z 0
		.amdhsa_system_sgpr_workgroup_info 0
		.amdhsa_system_vgpr_workitem_id 0
		.amdhsa_next_free_vgpr 1
		.amdhsa_next_free_sgpr 1
		.amdhsa_reserve_vcc 0
		.amdhsa_float_round_mode_32 0
		.amdhsa_float_round_mode_16_64 0
		.amdhsa_float_denorm_mode_32 3
		.amdhsa_float_denorm_mode_16_64 3
		.amdhsa_fp16_overflow 0
		.amdhsa_workgroup_processor_mode 1
		.amdhsa_memory_ordered 1
		.amdhsa_forward_progress 1
		.amdhsa_inst_pref_size 0
		.amdhsa_round_robin_scheduling 0
		.amdhsa_exception_fp_ieee_invalid_op 0
		.amdhsa_exception_fp_denorm_src 0
		.amdhsa_exception_fp_ieee_div_zero 0
		.amdhsa_exception_fp_ieee_overflow 0
		.amdhsa_exception_fp_ieee_underflow 0
		.amdhsa_exception_fp_ieee_inexact 0
		.amdhsa_exception_int_div_zero 0
	.end_amdhsa_kernel
	.section	.text._ZN7rocprim17ROCPRIM_400000_NS6detail17trampoline_kernelINS0_14default_configENS1_38merge_sort_block_merge_config_selectorIjN6thrust23THRUST_200600_302600_NS5tupleIffNS6_9null_typeES8_S8_S8_S8_S8_S8_S8_EEEEZZNS1_27merge_sort_block_merge_implIS3_NS6_6detail15normal_iteratorINS6_10device_ptrIjEEEENSD_INSE_IS9_EEEEjNS1_19radix_merge_compareILb0ELb0EjNS0_19identity_decomposerEEEEE10hipError_tT0_T1_T2_jT3_P12ihipStream_tbPNSt15iterator_traitsISN_E10value_typeEPNST_ISO_E10value_typeEPSP_NS1_7vsmem_tEENKUlT_SN_SO_SP_E_clISG_PjSI_PS9_EESM_S12_SN_SO_SP_EUlS12_E_NS1_11comp_targetILNS1_3genE0ELNS1_11target_archE4294967295ELNS1_3gpuE0ELNS1_3repE0EEENS1_48merge_mergepath_partition_config_static_selectorELNS0_4arch9wavefront6targetE0EEEvSO_,"axG",@progbits,_ZN7rocprim17ROCPRIM_400000_NS6detail17trampoline_kernelINS0_14default_configENS1_38merge_sort_block_merge_config_selectorIjN6thrust23THRUST_200600_302600_NS5tupleIffNS6_9null_typeES8_S8_S8_S8_S8_S8_S8_EEEEZZNS1_27merge_sort_block_merge_implIS3_NS6_6detail15normal_iteratorINS6_10device_ptrIjEEEENSD_INSE_IS9_EEEEjNS1_19radix_merge_compareILb0ELb0EjNS0_19identity_decomposerEEEEE10hipError_tT0_T1_T2_jT3_P12ihipStream_tbPNSt15iterator_traitsISN_E10value_typeEPNST_ISO_E10value_typeEPSP_NS1_7vsmem_tEENKUlT_SN_SO_SP_E_clISG_PjSI_PS9_EESM_S12_SN_SO_SP_EUlS12_E_NS1_11comp_targetILNS1_3genE0ELNS1_11target_archE4294967295ELNS1_3gpuE0ELNS1_3repE0EEENS1_48merge_mergepath_partition_config_static_selectorELNS0_4arch9wavefront6targetE0EEEvSO_,comdat
.Lfunc_end49:
	.size	_ZN7rocprim17ROCPRIM_400000_NS6detail17trampoline_kernelINS0_14default_configENS1_38merge_sort_block_merge_config_selectorIjN6thrust23THRUST_200600_302600_NS5tupleIffNS6_9null_typeES8_S8_S8_S8_S8_S8_S8_EEEEZZNS1_27merge_sort_block_merge_implIS3_NS6_6detail15normal_iteratorINS6_10device_ptrIjEEEENSD_INSE_IS9_EEEEjNS1_19radix_merge_compareILb0ELb0EjNS0_19identity_decomposerEEEEE10hipError_tT0_T1_T2_jT3_P12ihipStream_tbPNSt15iterator_traitsISN_E10value_typeEPNST_ISO_E10value_typeEPSP_NS1_7vsmem_tEENKUlT_SN_SO_SP_E_clISG_PjSI_PS9_EESM_S12_SN_SO_SP_EUlS12_E_NS1_11comp_targetILNS1_3genE0ELNS1_11target_archE4294967295ELNS1_3gpuE0ELNS1_3repE0EEENS1_48merge_mergepath_partition_config_static_selectorELNS0_4arch9wavefront6targetE0EEEvSO_, .Lfunc_end49-_ZN7rocprim17ROCPRIM_400000_NS6detail17trampoline_kernelINS0_14default_configENS1_38merge_sort_block_merge_config_selectorIjN6thrust23THRUST_200600_302600_NS5tupleIffNS6_9null_typeES8_S8_S8_S8_S8_S8_S8_EEEEZZNS1_27merge_sort_block_merge_implIS3_NS6_6detail15normal_iteratorINS6_10device_ptrIjEEEENSD_INSE_IS9_EEEEjNS1_19radix_merge_compareILb0ELb0EjNS0_19identity_decomposerEEEEE10hipError_tT0_T1_T2_jT3_P12ihipStream_tbPNSt15iterator_traitsISN_E10value_typeEPNST_ISO_E10value_typeEPSP_NS1_7vsmem_tEENKUlT_SN_SO_SP_E_clISG_PjSI_PS9_EESM_S12_SN_SO_SP_EUlS12_E_NS1_11comp_targetILNS1_3genE0ELNS1_11target_archE4294967295ELNS1_3gpuE0ELNS1_3repE0EEENS1_48merge_mergepath_partition_config_static_selectorELNS0_4arch9wavefront6targetE0EEEvSO_
                                        ; -- End function
	.set _ZN7rocprim17ROCPRIM_400000_NS6detail17trampoline_kernelINS0_14default_configENS1_38merge_sort_block_merge_config_selectorIjN6thrust23THRUST_200600_302600_NS5tupleIffNS6_9null_typeES8_S8_S8_S8_S8_S8_S8_EEEEZZNS1_27merge_sort_block_merge_implIS3_NS6_6detail15normal_iteratorINS6_10device_ptrIjEEEENSD_INSE_IS9_EEEEjNS1_19radix_merge_compareILb0ELb0EjNS0_19identity_decomposerEEEEE10hipError_tT0_T1_T2_jT3_P12ihipStream_tbPNSt15iterator_traitsISN_E10value_typeEPNST_ISO_E10value_typeEPSP_NS1_7vsmem_tEENKUlT_SN_SO_SP_E_clISG_PjSI_PS9_EESM_S12_SN_SO_SP_EUlS12_E_NS1_11comp_targetILNS1_3genE0ELNS1_11target_archE4294967295ELNS1_3gpuE0ELNS1_3repE0EEENS1_48merge_mergepath_partition_config_static_selectorELNS0_4arch9wavefront6targetE0EEEvSO_.num_vgpr, 0
	.set _ZN7rocprim17ROCPRIM_400000_NS6detail17trampoline_kernelINS0_14default_configENS1_38merge_sort_block_merge_config_selectorIjN6thrust23THRUST_200600_302600_NS5tupleIffNS6_9null_typeES8_S8_S8_S8_S8_S8_S8_EEEEZZNS1_27merge_sort_block_merge_implIS3_NS6_6detail15normal_iteratorINS6_10device_ptrIjEEEENSD_INSE_IS9_EEEEjNS1_19radix_merge_compareILb0ELb0EjNS0_19identity_decomposerEEEEE10hipError_tT0_T1_T2_jT3_P12ihipStream_tbPNSt15iterator_traitsISN_E10value_typeEPNST_ISO_E10value_typeEPSP_NS1_7vsmem_tEENKUlT_SN_SO_SP_E_clISG_PjSI_PS9_EESM_S12_SN_SO_SP_EUlS12_E_NS1_11comp_targetILNS1_3genE0ELNS1_11target_archE4294967295ELNS1_3gpuE0ELNS1_3repE0EEENS1_48merge_mergepath_partition_config_static_selectorELNS0_4arch9wavefront6targetE0EEEvSO_.num_agpr, 0
	.set _ZN7rocprim17ROCPRIM_400000_NS6detail17trampoline_kernelINS0_14default_configENS1_38merge_sort_block_merge_config_selectorIjN6thrust23THRUST_200600_302600_NS5tupleIffNS6_9null_typeES8_S8_S8_S8_S8_S8_S8_EEEEZZNS1_27merge_sort_block_merge_implIS3_NS6_6detail15normal_iteratorINS6_10device_ptrIjEEEENSD_INSE_IS9_EEEEjNS1_19radix_merge_compareILb0ELb0EjNS0_19identity_decomposerEEEEE10hipError_tT0_T1_T2_jT3_P12ihipStream_tbPNSt15iterator_traitsISN_E10value_typeEPNST_ISO_E10value_typeEPSP_NS1_7vsmem_tEENKUlT_SN_SO_SP_E_clISG_PjSI_PS9_EESM_S12_SN_SO_SP_EUlS12_E_NS1_11comp_targetILNS1_3genE0ELNS1_11target_archE4294967295ELNS1_3gpuE0ELNS1_3repE0EEENS1_48merge_mergepath_partition_config_static_selectorELNS0_4arch9wavefront6targetE0EEEvSO_.numbered_sgpr, 0
	.set _ZN7rocprim17ROCPRIM_400000_NS6detail17trampoline_kernelINS0_14default_configENS1_38merge_sort_block_merge_config_selectorIjN6thrust23THRUST_200600_302600_NS5tupleIffNS6_9null_typeES8_S8_S8_S8_S8_S8_S8_EEEEZZNS1_27merge_sort_block_merge_implIS3_NS6_6detail15normal_iteratorINS6_10device_ptrIjEEEENSD_INSE_IS9_EEEEjNS1_19radix_merge_compareILb0ELb0EjNS0_19identity_decomposerEEEEE10hipError_tT0_T1_T2_jT3_P12ihipStream_tbPNSt15iterator_traitsISN_E10value_typeEPNST_ISO_E10value_typeEPSP_NS1_7vsmem_tEENKUlT_SN_SO_SP_E_clISG_PjSI_PS9_EESM_S12_SN_SO_SP_EUlS12_E_NS1_11comp_targetILNS1_3genE0ELNS1_11target_archE4294967295ELNS1_3gpuE0ELNS1_3repE0EEENS1_48merge_mergepath_partition_config_static_selectorELNS0_4arch9wavefront6targetE0EEEvSO_.num_named_barrier, 0
	.set _ZN7rocprim17ROCPRIM_400000_NS6detail17trampoline_kernelINS0_14default_configENS1_38merge_sort_block_merge_config_selectorIjN6thrust23THRUST_200600_302600_NS5tupleIffNS6_9null_typeES8_S8_S8_S8_S8_S8_S8_EEEEZZNS1_27merge_sort_block_merge_implIS3_NS6_6detail15normal_iteratorINS6_10device_ptrIjEEEENSD_INSE_IS9_EEEEjNS1_19radix_merge_compareILb0ELb0EjNS0_19identity_decomposerEEEEE10hipError_tT0_T1_T2_jT3_P12ihipStream_tbPNSt15iterator_traitsISN_E10value_typeEPNST_ISO_E10value_typeEPSP_NS1_7vsmem_tEENKUlT_SN_SO_SP_E_clISG_PjSI_PS9_EESM_S12_SN_SO_SP_EUlS12_E_NS1_11comp_targetILNS1_3genE0ELNS1_11target_archE4294967295ELNS1_3gpuE0ELNS1_3repE0EEENS1_48merge_mergepath_partition_config_static_selectorELNS0_4arch9wavefront6targetE0EEEvSO_.private_seg_size, 0
	.set _ZN7rocprim17ROCPRIM_400000_NS6detail17trampoline_kernelINS0_14default_configENS1_38merge_sort_block_merge_config_selectorIjN6thrust23THRUST_200600_302600_NS5tupleIffNS6_9null_typeES8_S8_S8_S8_S8_S8_S8_EEEEZZNS1_27merge_sort_block_merge_implIS3_NS6_6detail15normal_iteratorINS6_10device_ptrIjEEEENSD_INSE_IS9_EEEEjNS1_19radix_merge_compareILb0ELb0EjNS0_19identity_decomposerEEEEE10hipError_tT0_T1_T2_jT3_P12ihipStream_tbPNSt15iterator_traitsISN_E10value_typeEPNST_ISO_E10value_typeEPSP_NS1_7vsmem_tEENKUlT_SN_SO_SP_E_clISG_PjSI_PS9_EESM_S12_SN_SO_SP_EUlS12_E_NS1_11comp_targetILNS1_3genE0ELNS1_11target_archE4294967295ELNS1_3gpuE0ELNS1_3repE0EEENS1_48merge_mergepath_partition_config_static_selectorELNS0_4arch9wavefront6targetE0EEEvSO_.uses_vcc, 0
	.set _ZN7rocprim17ROCPRIM_400000_NS6detail17trampoline_kernelINS0_14default_configENS1_38merge_sort_block_merge_config_selectorIjN6thrust23THRUST_200600_302600_NS5tupleIffNS6_9null_typeES8_S8_S8_S8_S8_S8_S8_EEEEZZNS1_27merge_sort_block_merge_implIS3_NS6_6detail15normal_iteratorINS6_10device_ptrIjEEEENSD_INSE_IS9_EEEEjNS1_19radix_merge_compareILb0ELb0EjNS0_19identity_decomposerEEEEE10hipError_tT0_T1_T2_jT3_P12ihipStream_tbPNSt15iterator_traitsISN_E10value_typeEPNST_ISO_E10value_typeEPSP_NS1_7vsmem_tEENKUlT_SN_SO_SP_E_clISG_PjSI_PS9_EESM_S12_SN_SO_SP_EUlS12_E_NS1_11comp_targetILNS1_3genE0ELNS1_11target_archE4294967295ELNS1_3gpuE0ELNS1_3repE0EEENS1_48merge_mergepath_partition_config_static_selectorELNS0_4arch9wavefront6targetE0EEEvSO_.uses_flat_scratch, 0
	.set _ZN7rocprim17ROCPRIM_400000_NS6detail17trampoline_kernelINS0_14default_configENS1_38merge_sort_block_merge_config_selectorIjN6thrust23THRUST_200600_302600_NS5tupleIffNS6_9null_typeES8_S8_S8_S8_S8_S8_S8_EEEEZZNS1_27merge_sort_block_merge_implIS3_NS6_6detail15normal_iteratorINS6_10device_ptrIjEEEENSD_INSE_IS9_EEEEjNS1_19radix_merge_compareILb0ELb0EjNS0_19identity_decomposerEEEEE10hipError_tT0_T1_T2_jT3_P12ihipStream_tbPNSt15iterator_traitsISN_E10value_typeEPNST_ISO_E10value_typeEPSP_NS1_7vsmem_tEENKUlT_SN_SO_SP_E_clISG_PjSI_PS9_EESM_S12_SN_SO_SP_EUlS12_E_NS1_11comp_targetILNS1_3genE0ELNS1_11target_archE4294967295ELNS1_3gpuE0ELNS1_3repE0EEENS1_48merge_mergepath_partition_config_static_selectorELNS0_4arch9wavefront6targetE0EEEvSO_.has_dyn_sized_stack, 0
	.set _ZN7rocprim17ROCPRIM_400000_NS6detail17trampoline_kernelINS0_14default_configENS1_38merge_sort_block_merge_config_selectorIjN6thrust23THRUST_200600_302600_NS5tupleIffNS6_9null_typeES8_S8_S8_S8_S8_S8_S8_EEEEZZNS1_27merge_sort_block_merge_implIS3_NS6_6detail15normal_iteratorINS6_10device_ptrIjEEEENSD_INSE_IS9_EEEEjNS1_19radix_merge_compareILb0ELb0EjNS0_19identity_decomposerEEEEE10hipError_tT0_T1_T2_jT3_P12ihipStream_tbPNSt15iterator_traitsISN_E10value_typeEPNST_ISO_E10value_typeEPSP_NS1_7vsmem_tEENKUlT_SN_SO_SP_E_clISG_PjSI_PS9_EESM_S12_SN_SO_SP_EUlS12_E_NS1_11comp_targetILNS1_3genE0ELNS1_11target_archE4294967295ELNS1_3gpuE0ELNS1_3repE0EEENS1_48merge_mergepath_partition_config_static_selectorELNS0_4arch9wavefront6targetE0EEEvSO_.has_recursion, 0
	.set _ZN7rocprim17ROCPRIM_400000_NS6detail17trampoline_kernelINS0_14default_configENS1_38merge_sort_block_merge_config_selectorIjN6thrust23THRUST_200600_302600_NS5tupleIffNS6_9null_typeES8_S8_S8_S8_S8_S8_S8_EEEEZZNS1_27merge_sort_block_merge_implIS3_NS6_6detail15normal_iteratorINS6_10device_ptrIjEEEENSD_INSE_IS9_EEEEjNS1_19radix_merge_compareILb0ELb0EjNS0_19identity_decomposerEEEEE10hipError_tT0_T1_T2_jT3_P12ihipStream_tbPNSt15iterator_traitsISN_E10value_typeEPNST_ISO_E10value_typeEPSP_NS1_7vsmem_tEENKUlT_SN_SO_SP_E_clISG_PjSI_PS9_EESM_S12_SN_SO_SP_EUlS12_E_NS1_11comp_targetILNS1_3genE0ELNS1_11target_archE4294967295ELNS1_3gpuE0ELNS1_3repE0EEENS1_48merge_mergepath_partition_config_static_selectorELNS0_4arch9wavefront6targetE0EEEvSO_.has_indirect_call, 0
	.section	.AMDGPU.csdata,"",@progbits
; Kernel info:
; codeLenInByte = 0
; TotalNumSgprs: 0
; NumVgprs: 0
; ScratchSize: 0
; MemoryBound: 0
; FloatMode: 240
; IeeeMode: 1
; LDSByteSize: 0 bytes/workgroup (compile time only)
; SGPRBlocks: 0
; VGPRBlocks: 0
; NumSGPRsForWavesPerEU: 1
; NumVGPRsForWavesPerEU: 1
; Occupancy: 16
; WaveLimiterHint : 0
; COMPUTE_PGM_RSRC2:SCRATCH_EN: 0
; COMPUTE_PGM_RSRC2:USER_SGPR: 2
; COMPUTE_PGM_RSRC2:TRAP_HANDLER: 0
; COMPUTE_PGM_RSRC2:TGID_X_EN: 1
; COMPUTE_PGM_RSRC2:TGID_Y_EN: 0
; COMPUTE_PGM_RSRC2:TGID_Z_EN: 0
; COMPUTE_PGM_RSRC2:TIDIG_COMP_CNT: 0
	.section	.text._ZN7rocprim17ROCPRIM_400000_NS6detail17trampoline_kernelINS0_14default_configENS1_38merge_sort_block_merge_config_selectorIjN6thrust23THRUST_200600_302600_NS5tupleIffNS6_9null_typeES8_S8_S8_S8_S8_S8_S8_EEEEZZNS1_27merge_sort_block_merge_implIS3_NS6_6detail15normal_iteratorINS6_10device_ptrIjEEEENSD_INSE_IS9_EEEEjNS1_19radix_merge_compareILb0ELb0EjNS0_19identity_decomposerEEEEE10hipError_tT0_T1_T2_jT3_P12ihipStream_tbPNSt15iterator_traitsISN_E10value_typeEPNST_ISO_E10value_typeEPSP_NS1_7vsmem_tEENKUlT_SN_SO_SP_E_clISG_PjSI_PS9_EESM_S12_SN_SO_SP_EUlS12_E_NS1_11comp_targetILNS1_3genE10ELNS1_11target_archE1201ELNS1_3gpuE5ELNS1_3repE0EEENS1_48merge_mergepath_partition_config_static_selectorELNS0_4arch9wavefront6targetE0EEEvSO_,"axG",@progbits,_ZN7rocprim17ROCPRIM_400000_NS6detail17trampoline_kernelINS0_14default_configENS1_38merge_sort_block_merge_config_selectorIjN6thrust23THRUST_200600_302600_NS5tupleIffNS6_9null_typeES8_S8_S8_S8_S8_S8_S8_EEEEZZNS1_27merge_sort_block_merge_implIS3_NS6_6detail15normal_iteratorINS6_10device_ptrIjEEEENSD_INSE_IS9_EEEEjNS1_19radix_merge_compareILb0ELb0EjNS0_19identity_decomposerEEEEE10hipError_tT0_T1_T2_jT3_P12ihipStream_tbPNSt15iterator_traitsISN_E10value_typeEPNST_ISO_E10value_typeEPSP_NS1_7vsmem_tEENKUlT_SN_SO_SP_E_clISG_PjSI_PS9_EESM_S12_SN_SO_SP_EUlS12_E_NS1_11comp_targetILNS1_3genE10ELNS1_11target_archE1201ELNS1_3gpuE5ELNS1_3repE0EEENS1_48merge_mergepath_partition_config_static_selectorELNS0_4arch9wavefront6targetE0EEEvSO_,comdat
	.protected	_ZN7rocprim17ROCPRIM_400000_NS6detail17trampoline_kernelINS0_14default_configENS1_38merge_sort_block_merge_config_selectorIjN6thrust23THRUST_200600_302600_NS5tupleIffNS6_9null_typeES8_S8_S8_S8_S8_S8_S8_EEEEZZNS1_27merge_sort_block_merge_implIS3_NS6_6detail15normal_iteratorINS6_10device_ptrIjEEEENSD_INSE_IS9_EEEEjNS1_19radix_merge_compareILb0ELb0EjNS0_19identity_decomposerEEEEE10hipError_tT0_T1_T2_jT3_P12ihipStream_tbPNSt15iterator_traitsISN_E10value_typeEPNST_ISO_E10value_typeEPSP_NS1_7vsmem_tEENKUlT_SN_SO_SP_E_clISG_PjSI_PS9_EESM_S12_SN_SO_SP_EUlS12_E_NS1_11comp_targetILNS1_3genE10ELNS1_11target_archE1201ELNS1_3gpuE5ELNS1_3repE0EEENS1_48merge_mergepath_partition_config_static_selectorELNS0_4arch9wavefront6targetE0EEEvSO_ ; -- Begin function _ZN7rocprim17ROCPRIM_400000_NS6detail17trampoline_kernelINS0_14default_configENS1_38merge_sort_block_merge_config_selectorIjN6thrust23THRUST_200600_302600_NS5tupleIffNS6_9null_typeES8_S8_S8_S8_S8_S8_S8_EEEEZZNS1_27merge_sort_block_merge_implIS3_NS6_6detail15normal_iteratorINS6_10device_ptrIjEEEENSD_INSE_IS9_EEEEjNS1_19radix_merge_compareILb0ELb0EjNS0_19identity_decomposerEEEEE10hipError_tT0_T1_T2_jT3_P12ihipStream_tbPNSt15iterator_traitsISN_E10value_typeEPNST_ISO_E10value_typeEPSP_NS1_7vsmem_tEENKUlT_SN_SO_SP_E_clISG_PjSI_PS9_EESM_S12_SN_SO_SP_EUlS12_E_NS1_11comp_targetILNS1_3genE10ELNS1_11target_archE1201ELNS1_3gpuE5ELNS1_3repE0EEENS1_48merge_mergepath_partition_config_static_selectorELNS0_4arch9wavefront6targetE0EEEvSO_
	.globl	_ZN7rocprim17ROCPRIM_400000_NS6detail17trampoline_kernelINS0_14default_configENS1_38merge_sort_block_merge_config_selectorIjN6thrust23THRUST_200600_302600_NS5tupleIffNS6_9null_typeES8_S8_S8_S8_S8_S8_S8_EEEEZZNS1_27merge_sort_block_merge_implIS3_NS6_6detail15normal_iteratorINS6_10device_ptrIjEEEENSD_INSE_IS9_EEEEjNS1_19radix_merge_compareILb0ELb0EjNS0_19identity_decomposerEEEEE10hipError_tT0_T1_T2_jT3_P12ihipStream_tbPNSt15iterator_traitsISN_E10value_typeEPNST_ISO_E10value_typeEPSP_NS1_7vsmem_tEENKUlT_SN_SO_SP_E_clISG_PjSI_PS9_EESM_S12_SN_SO_SP_EUlS12_E_NS1_11comp_targetILNS1_3genE10ELNS1_11target_archE1201ELNS1_3gpuE5ELNS1_3repE0EEENS1_48merge_mergepath_partition_config_static_selectorELNS0_4arch9wavefront6targetE0EEEvSO_
	.p2align	8
	.type	_ZN7rocprim17ROCPRIM_400000_NS6detail17trampoline_kernelINS0_14default_configENS1_38merge_sort_block_merge_config_selectorIjN6thrust23THRUST_200600_302600_NS5tupleIffNS6_9null_typeES8_S8_S8_S8_S8_S8_S8_EEEEZZNS1_27merge_sort_block_merge_implIS3_NS6_6detail15normal_iteratorINS6_10device_ptrIjEEEENSD_INSE_IS9_EEEEjNS1_19radix_merge_compareILb0ELb0EjNS0_19identity_decomposerEEEEE10hipError_tT0_T1_T2_jT3_P12ihipStream_tbPNSt15iterator_traitsISN_E10value_typeEPNST_ISO_E10value_typeEPSP_NS1_7vsmem_tEENKUlT_SN_SO_SP_E_clISG_PjSI_PS9_EESM_S12_SN_SO_SP_EUlS12_E_NS1_11comp_targetILNS1_3genE10ELNS1_11target_archE1201ELNS1_3gpuE5ELNS1_3repE0EEENS1_48merge_mergepath_partition_config_static_selectorELNS0_4arch9wavefront6targetE0EEEvSO_,@function
_ZN7rocprim17ROCPRIM_400000_NS6detail17trampoline_kernelINS0_14default_configENS1_38merge_sort_block_merge_config_selectorIjN6thrust23THRUST_200600_302600_NS5tupleIffNS6_9null_typeES8_S8_S8_S8_S8_S8_S8_EEEEZZNS1_27merge_sort_block_merge_implIS3_NS6_6detail15normal_iteratorINS6_10device_ptrIjEEEENSD_INSE_IS9_EEEEjNS1_19radix_merge_compareILb0ELb0EjNS0_19identity_decomposerEEEEE10hipError_tT0_T1_T2_jT3_P12ihipStream_tbPNSt15iterator_traitsISN_E10value_typeEPNST_ISO_E10value_typeEPSP_NS1_7vsmem_tEENKUlT_SN_SO_SP_E_clISG_PjSI_PS9_EESM_S12_SN_SO_SP_EUlS12_E_NS1_11comp_targetILNS1_3genE10ELNS1_11target_archE1201ELNS1_3gpuE5ELNS1_3repE0EEENS1_48merge_mergepath_partition_config_static_selectorELNS0_4arch9wavefront6targetE0EEEvSO_: ; @_ZN7rocprim17ROCPRIM_400000_NS6detail17trampoline_kernelINS0_14default_configENS1_38merge_sort_block_merge_config_selectorIjN6thrust23THRUST_200600_302600_NS5tupleIffNS6_9null_typeES8_S8_S8_S8_S8_S8_S8_EEEEZZNS1_27merge_sort_block_merge_implIS3_NS6_6detail15normal_iteratorINS6_10device_ptrIjEEEENSD_INSE_IS9_EEEEjNS1_19radix_merge_compareILb0ELb0EjNS0_19identity_decomposerEEEEE10hipError_tT0_T1_T2_jT3_P12ihipStream_tbPNSt15iterator_traitsISN_E10value_typeEPNST_ISO_E10value_typeEPSP_NS1_7vsmem_tEENKUlT_SN_SO_SP_E_clISG_PjSI_PS9_EESM_S12_SN_SO_SP_EUlS12_E_NS1_11comp_targetILNS1_3genE10ELNS1_11target_archE1201ELNS1_3gpuE5ELNS1_3repE0EEENS1_48merge_mergepath_partition_config_static_selectorELNS0_4arch9wavefront6targetE0EEEvSO_
; %bb.0:
	s_load_b32 s2, s[0:1], 0x0
	v_lshl_or_b32 v0, ttmp9, 7, v0
	s_wait_kmcnt 0x0
	s_delay_alu instid0(VALU_DEP_1)
	v_cmp_gt_u32_e32 vcc_lo, s2, v0
	s_and_saveexec_b32 s2, vcc_lo
	s_cbranch_execz .LBB50_6
; %bb.1:
	s_load_b64 s[2:3], s[0:1], 0x4
	s_wait_kmcnt 0x0
	s_lshr_b32 s4, s2, 9
	s_delay_alu instid0(SALU_CYCLE_1) | instskip(NEXT) | instid1(SALU_CYCLE_1)
	s_and_b32 s4, s4, 0x7ffffe
	s_sub_co_i32 s5, 0, s4
	s_add_co_i32 s4, s4, -1
	v_and_b32_e32 v1, s5, v0
	v_and_b32_e32 v5, s4, v0
	s_mov_b32 s5, 0
	s_mov_b32 s4, exec_lo
	s_delay_alu instid0(VALU_DEP_2) | instskip(NEXT) | instid1(VALU_DEP_1)
	v_lshlrev_b32_e32 v1, 10, v1
	v_add_nc_u32_e32 v2, s2, v1
	s_delay_alu instid0(VALU_DEP_1) | instskip(SKIP_1) | instid1(VALU_DEP_2)
	v_min_u32_e32 v4, s3, v2
	v_min_u32_e32 v2, s3, v1
	v_add_nc_u32_e32 v3, s2, v4
	s_delay_alu instid0(VALU_DEP_1) | instskip(SKIP_2) | instid1(VALU_DEP_2)
	v_min_u32_e32 v1, s3, v3
	s_load_b64 s[2:3], s[0:1], 0x20
	v_lshlrev_b32_e32 v3, 10, v5
	v_sub_nc_u32_e32 v5, v1, v2
	v_sub_nc_u32_e32 v6, v1, v4
	s_delay_alu instid0(VALU_DEP_2) | instskip(SKIP_1) | instid1(VALU_DEP_2)
	v_min_u32_e32 v1, v5, v3
	v_sub_nc_u32_e32 v3, v4, v2
	v_sub_nc_u32_e64 v6, v1, v6 clamp
	s_delay_alu instid0(VALU_DEP_2) | instskip(NEXT) | instid1(VALU_DEP_1)
	v_min_u32_e32 v7, v1, v3
	v_cmpx_lt_u32_e64 v6, v7
	s_cbranch_execz .LBB50_5
; %bb.2:
	s_load_b64 s[0:1], s[0:1], 0x10
	v_mov_b32_e32 v5, 0
	s_delay_alu instid0(VALU_DEP_1) | instskip(SKIP_1) | instid1(VALU_DEP_2)
	v_mov_b32_e32 v3, v5
	v_lshlrev_b64_e32 v[10:11], 2, v[4:5]
	v_lshlrev_b64_e32 v[8:9], 2, v[2:3]
	s_wait_kmcnt 0x0
	s_delay_alu instid0(VALU_DEP_1) | instskip(NEXT) | instid1(VALU_DEP_1)
	v_add_co_u32 v3, vcc_lo, s0, v8
	v_add_co_ci_u32_e64 v8, null, s1, v9, vcc_lo
	s_delay_alu instid0(VALU_DEP_4)
	v_add_co_u32 v9, vcc_lo, s0, v10
	s_wait_alu 0xfffd
	v_add_co_ci_u32_e64 v10, null, s1, v11, vcc_lo
.LBB50_3:                               ; =>This Inner Loop Header: Depth=1
	v_add_nc_u32_e32 v4, v7, v6
	s_delay_alu instid0(VALU_DEP_1) | instskip(SKIP_1) | instid1(VALU_DEP_2)
	v_lshrrev_b32_e32 v4, 1, v4
	v_mov_b32_e32 v12, v5
	v_xad_u32 v11, v4, -1, v1
	v_lshlrev_b64_e32 v[13:14], 2, v[4:5]
	s_delay_alu instid0(VALU_DEP_2) | instskip(NEXT) | instid1(VALU_DEP_2)
	v_lshlrev_b64_e32 v[11:12], 2, v[11:12]
	v_add_co_u32 v13, vcc_lo, v3, v13
	s_wait_alu 0xfffd
	s_delay_alu instid0(VALU_DEP_3) | instskip(NEXT) | instid1(VALU_DEP_3)
	v_add_co_ci_u32_e64 v14, null, v8, v14, vcc_lo
	v_add_co_u32 v11, vcc_lo, v9, v11
	s_wait_alu 0xfffd
	v_add_co_ci_u32_e64 v12, null, v10, v12, vcc_lo
	s_clause 0x1
	flat_load_b32 v13, v[13:14]
	flat_load_b32 v11, v[11:12]
	v_add_nc_u32_e32 v12, 1, v4
	s_wait_loadcnt_dscnt 0x0
	v_cmp_gt_u32_e32 vcc_lo, v13, v11
	s_wait_alu 0xfffd
	s_delay_alu instid0(VALU_DEP_2) | instskip(NEXT) | instid1(VALU_DEP_1)
	v_dual_cndmask_b32 v7, v7, v4 :: v_dual_cndmask_b32 v6, v12, v6
	v_cmp_ge_u32_e32 vcc_lo, v6, v7
	s_or_b32 s5, vcc_lo, s5
	s_wait_alu 0xfffe
	s_and_not1_b32 exec_lo, exec_lo, s5
	s_cbranch_execnz .LBB50_3
; %bb.4:
	s_or_b32 exec_lo, exec_lo, s5
.LBB50_5:
	s_delay_alu instid0(SALU_CYCLE_1) | instskip(SKIP_1) | instid1(VALU_DEP_1)
	s_or_b32 exec_lo, exec_lo, s4
	v_dual_mov_b32 v1, 0 :: v_dual_add_nc_u32 v2, v6, v2
	v_lshlrev_b64_e32 v[0:1], 2, v[0:1]
	s_wait_kmcnt 0x0
	s_delay_alu instid0(VALU_DEP_1) | instskip(SKIP_1) | instid1(VALU_DEP_2)
	v_add_co_u32 v0, vcc_lo, s2, v0
	s_wait_alu 0xfffd
	v_add_co_ci_u32_e64 v1, null, s3, v1, vcc_lo
	global_store_b32 v[0:1], v2, off
.LBB50_6:
	s_endpgm
	.section	.rodata,"a",@progbits
	.p2align	6, 0x0
	.amdhsa_kernel _ZN7rocprim17ROCPRIM_400000_NS6detail17trampoline_kernelINS0_14default_configENS1_38merge_sort_block_merge_config_selectorIjN6thrust23THRUST_200600_302600_NS5tupleIffNS6_9null_typeES8_S8_S8_S8_S8_S8_S8_EEEEZZNS1_27merge_sort_block_merge_implIS3_NS6_6detail15normal_iteratorINS6_10device_ptrIjEEEENSD_INSE_IS9_EEEEjNS1_19radix_merge_compareILb0ELb0EjNS0_19identity_decomposerEEEEE10hipError_tT0_T1_T2_jT3_P12ihipStream_tbPNSt15iterator_traitsISN_E10value_typeEPNST_ISO_E10value_typeEPSP_NS1_7vsmem_tEENKUlT_SN_SO_SP_E_clISG_PjSI_PS9_EESM_S12_SN_SO_SP_EUlS12_E_NS1_11comp_targetILNS1_3genE10ELNS1_11target_archE1201ELNS1_3gpuE5ELNS1_3repE0EEENS1_48merge_mergepath_partition_config_static_selectorELNS0_4arch9wavefront6targetE0EEEvSO_
		.amdhsa_group_segment_fixed_size 0
		.amdhsa_private_segment_fixed_size 0
		.amdhsa_kernarg_size 40
		.amdhsa_user_sgpr_count 2
		.amdhsa_user_sgpr_dispatch_ptr 0
		.amdhsa_user_sgpr_queue_ptr 0
		.amdhsa_user_sgpr_kernarg_segment_ptr 1
		.amdhsa_user_sgpr_dispatch_id 0
		.amdhsa_user_sgpr_private_segment_size 0
		.amdhsa_wavefront_size32 1
		.amdhsa_uses_dynamic_stack 0
		.amdhsa_enable_private_segment 0
		.amdhsa_system_sgpr_workgroup_id_x 1
		.amdhsa_system_sgpr_workgroup_id_y 0
		.amdhsa_system_sgpr_workgroup_id_z 0
		.amdhsa_system_sgpr_workgroup_info 0
		.amdhsa_system_vgpr_workitem_id 0
		.amdhsa_next_free_vgpr 15
		.amdhsa_next_free_sgpr 6
		.amdhsa_reserve_vcc 1
		.amdhsa_float_round_mode_32 0
		.amdhsa_float_round_mode_16_64 0
		.amdhsa_float_denorm_mode_32 3
		.amdhsa_float_denorm_mode_16_64 3
		.amdhsa_fp16_overflow 0
		.amdhsa_workgroup_processor_mode 1
		.amdhsa_memory_ordered 1
		.amdhsa_forward_progress 1
		.amdhsa_inst_pref_size 4
		.amdhsa_round_robin_scheduling 0
		.amdhsa_exception_fp_ieee_invalid_op 0
		.amdhsa_exception_fp_denorm_src 0
		.amdhsa_exception_fp_ieee_div_zero 0
		.amdhsa_exception_fp_ieee_overflow 0
		.amdhsa_exception_fp_ieee_underflow 0
		.amdhsa_exception_fp_ieee_inexact 0
		.amdhsa_exception_int_div_zero 0
	.end_amdhsa_kernel
	.section	.text._ZN7rocprim17ROCPRIM_400000_NS6detail17trampoline_kernelINS0_14default_configENS1_38merge_sort_block_merge_config_selectorIjN6thrust23THRUST_200600_302600_NS5tupleIffNS6_9null_typeES8_S8_S8_S8_S8_S8_S8_EEEEZZNS1_27merge_sort_block_merge_implIS3_NS6_6detail15normal_iteratorINS6_10device_ptrIjEEEENSD_INSE_IS9_EEEEjNS1_19radix_merge_compareILb0ELb0EjNS0_19identity_decomposerEEEEE10hipError_tT0_T1_T2_jT3_P12ihipStream_tbPNSt15iterator_traitsISN_E10value_typeEPNST_ISO_E10value_typeEPSP_NS1_7vsmem_tEENKUlT_SN_SO_SP_E_clISG_PjSI_PS9_EESM_S12_SN_SO_SP_EUlS12_E_NS1_11comp_targetILNS1_3genE10ELNS1_11target_archE1201ELNS1_3gpuE5ELNS1_3repE0EEENS1_48merge_mergepath_partition_config_static_selectorELNS0_4arch9wavefront6targetE0EEEvSO_,"axG",@progbits,_ZN7rocprim17ROCPRIM_400000_NS6detail17trampoline_kernelINS0_14default_configENS1_38merge_sort_block_merge_config_selectorIjN6thrust23THRUST_200600_302600_NS5tupleIffNS6_9null_typeES8_S8_S8_S8_S8_S8_S8_EEEEZZNS1_27merge_sort_block_merge_implIS3_NS6_6detail15normal_iteratorINS6_10device_ptrIjEEEENSD_INSE_IS9_EEEEjNS1_19radix_merge_compareILb0ELb0EjNS0_19identity_decomposerEEEEE10hipError_tT0_T1_T2_jT3_P12ihipStream_tbPNSt15iterator_traitsISN_E10value_typeEPNST_ISO_E10value_typeEPSP_NS1_7vsmem_tEENKUlT_SN_SO_SP_E_clISG_PjSI_PS9_EESM_S12_SN_SO_SP_EUlS12_E_NS1_11comp_targetILNS1_3genE10ELNS1_11target_archE1201ELNS1_3gpuE5ELNS1_3repE0EEENS1_48merge_mergepath_partition_config_static_selectorELNS0_4arch9wavefront6targetE0EEEvSO_,comdat
.Lfunc_end50:
	.size	_ZN7rocprim17ROCPRIM_400000_NS6detail17trampoline_kernelINS0_14default_configENS1_38merge_sort_block_merge_config_selectorIjN6thrust23THRUST_200600_302600_NS5tupleIffNS6_9null_typeES8_S8_S8_S8_S8_S8_S8_EEEEZZNS1_27merge_sort_block_merge_implIS3_NS6_6detail15normal_iteratorINS6_10device_ptrIjEEEENSD_INSE_IS9_EEEEjNS1_19radix_merge_compareILb0ELb0EjNS0_19identity_decomposerEEEEE10hipError_tT0_T1_T2_jT3_P12ihipStream_tbPNSt15iterator_traitsISN_E10value_typeEPNST_ISO_E10value_typeEPSP_NS1_7vsmem_tEENKUlT_SN_SO_SP_E_clISG_PjSI_PS9_EESM_S12_SN_SO_SP_EUlS12_E_NS1_11comp_targetILNS1_3genE10ELNS1_11target_archE1201ELNS1_3gpuE5ELNS1_3repE0EEENS1_48merge_mergepath_partition_config_static_selectorELNS0_4arch9wavefront6targetE0EEEvSO_, .Lfunc_end50-_ZN7rocprim17ROCPRIM_400000_NS6detail17trampoline_kernelINS0_14default_configENS1_38merge_sort_block_merge_config_selectorIjN6thrust23THRUST_200600_302600_NS5tupleIffNS6_9null_typeES8_S8_S8_S8_S8_S8_S8_EEEEZZNS1_27merge_sort_block_merge_implIS3_NS6_6detail15normal_iteratorINS6_10device_ptrIjEEEENSD_INSE_IS9_EEEEjNS1_19radix_merge_compareILb0ELb0EjNS0_19identity_decomposerEEEEE10hipError_tT0_T1_T2_jT3_P12ihipStream_tbPNSt15iterator_traitsISN_E10value_typeEPNST_ISO_E10value_typeEPSP_NS1_7vsmem_tEENKUlT_SN_SO_SP_E_clISG_PjSI_PS9_EESM_S12_SN_SO_SP_EUlS12_E_NS1_11comp_targetILNS1_3genE10ELNS1_11target_archE1201ELNS1_3gpuE5ELNS1_3repE0EEENS1_48merge_mergepath_partition_config_static_selectorELNS0_4arch9wavefront6targetE0EEEvSO_
                                        ; -- End function
	.set _ZN7rocprim17ROCPRIM_400000_NS6detail17trampoline_kernelINS0_14default_configENS1_38merge_sort_block_merge_config_selectorIjN6thrust23THRUST_200600_302600_NS5tupleIffNS6_9null_typeES8_S8_S8_S8_S8_S8_S8_EEEEZZNS1_27merge_sort_block_merge_implIS3_NS6_6detail15normal_iteratorINS6_10device_ptrIjEEEENSD_INSE_IS9_EEEEjNS1_19radix_merge_compareILb0ELb0EjNS0_19identity_decomposerEEEEE10hipError_tT0_T1_T2_jT3_P12ihipStream_tbPNSt15iterator_traitsISN_E10value_typeEPNST_ISO_E10value_typeEPSP_NS1_7vsmem_tEENKUlT_SN_SO_SP_E_clISG_PjSI_PS9_EESM_S12_SN_SO_SP_EUlS12_E_NS1_11comp_targetILNS1_3genE10ELNS1_11target_archE1201ELNS1_3gpuE5ELNS1_3repE0EEENS1_48merge_mergepath_partition_config_static_selectorELNS0_4arch9wavefront6targetE0EEEvSO_.num_vgpr, 15
	.set _ZN7rocprim17ROCPRIM_400000_NS6detail17trampoline_kernelINS0_14default_configENS1_38merge_sort_block_merge_config_selectorIjN6thrust23THRUST_200600_302600_NS5tupleIffNS6_9null_typeES8_S8_S8_S8_S8_S8_S8_EEEEZZNS1_27merge_sort_block_merge_implIS3_NS6_6detail15normal_iteratorINS6_10device_ptrIjEEEENSD_INSE_IS9_EEEEjNS1_19radix_merge_compareILb0ELb0EjNS0_19identity_decomposerEEEEE10hipError_tT0_T1_T2_jT3_P12ihipStream_tbPNSt15iterator_traitsISN_E10value_typeEPNST_ISO_E10value_typeEPSP_NS1_7vsmem_tEENKUlT_SN_SO_SP_E_clISG_PjSI_PS9_EESM_S12_SN_SO_SP_EUlS12_E_NS1_11comp_targetILNS1_3genE10ELNS1_11target_archE1201ELNS1_3gpuE5ELNS1_3repE0EEENS1_48merge_mergepath_partition_config_static_selectorELNS0_4arch9wavefront6targetE0EEEvSO_.num_agpr, 0
	.set _ZN7rocprim17ROCPRIM_400000_NS6detail17trampoline_kernelINS0_14default_configENS1_38merge_sort_block_merge_config_selectorIjN6thrust23THRUST_200600_302600_NS5tupleIffNS6_9null_typeES8_S8_S8_S8_S8_S8_S8_EEEEZZNS1_27merge_sort_block_merge_implIS3_NS6_6detail15normal_iteratorINS6_10device_ptrIjEEEENSD_INSE_IS9_EEEEjNS1_19radix_merge_compareILb0ELb0EjNS0_19identity_decomposerEEEEE10hipError_tT0_T1_T2_jT3_P12ihipStream_tbPNSt15iterator_traitsISN_E10value_typeEPNST_ISO_E10value_typeEPSP_NS1_7vsmem_tEENKUlT_SN_SO_SP_E_clISG_PjSI_PS9_EESM_S12_SN_SO_SP_EUlS12_E_NS1_11comp_targetILNS1_3genE10ELNS1_11target_archE1201ELNS1_3gpuE5ELNS1_3repE0EEENS1_48merge_mergepath_partition_config_static_selectorELNS0_4arch9wavefront6targetE0EEEvSO_.numbered_sgpr, 6
	.set _ZN7rocprim17ROCPRIM_400000_NS6detail17trampoline_kernelINS0_14default_configENS1_38merge_sort_block_merge_config_selectorIjN6thrust23THRUST_200600_302600_NS5tupleIffNS6_9null_typeES8_S8_S8_S8_S8_S8_S8_EEEEZZNS1_27merge_sort_block_merge_implIS3_NS6_6detail15normal_iteratorINS6_10device_ptrIjEEEENSD_INSE_IS9_EEEEjNS1_19radix_merge_compareILb0ELb0EjNS0_19identity_decomposerEEEEE10hipError_tT0_T1_T2_jT3_P12ihipStream_tbPNSt15iterator_traitsISN_E10value_typeEPNST_ISO_E10value_typeEPSP_NS1_7vsmem_tEENKUlT_SN_SO_SP_E_clISG_PjSI_PS9_EESM_S12_SN_SO_SP_EUlS12_E_NS1_11comp_targetILNS1_3genE10ELNS1_11target_archE1201ELNS1_3gpuE5ELNS1_3repE0EEENS1_48merge_mergepath_partition_config_static_selectorELNS0_4arch9wavefront6targetE0EEEvSO_.num_named_barrier, 0
	.set _ZN7rocprim17ROCPRIM_400000_NS6detail17trampoline_kernelINS0_14default_configENS1_38merge_sort_block_merge_config_selectorIjN6thrust23THRUST_200600_302600_NS5tupleIffNS6_9null_typeES8_S8_S8_S8_S8_S8_S8_EEEEZZNS1_27merge_sort_block_merge_implIS3_NS6_6detail15normal_iteratorINS6_10device_ptrIjEEEENSD_INSE_IS9_EEEEjNS1_19radix_merge_compareILb0ELb0EjNS0_19identity_decomposerEEEEE10hipError_tT0_T1_T2_jT3_P12ihipStream_tbPNSt15iterator_traitsISN_E10value_typeEPNST_ISO_E10value_typeEPSP_NS1_7vsmem_tEENKUlT_SN_SO_SP_E_clISG_PjSI_PS9_EESM_S12_SN_SO_SP_EUlS12_E_NS1_11comp_targetILNS1_3genE10ELNS1_11target_archE1201ELNS1_3gpuE5ELNS1_3repE0EEENS1_48merge_mergepath_partition_config_static_selectorELNS0_4arch9wavefront6targetE0EEEvSO_.private_seg_size, 0
	.set _ZN7rocprim17ROCPRIM_400000_NS6detail17trampoline_kernelINS0_14default_configENS1_38merge_sort_block_merge_config_selectorIjN6thrust23THRUST_200600_302600_NS5tupleIffNS6_9null_typeES8_S8_S8_S8_S8_S8_S8_EEEEZZNS1_27merge_sort_block_merge_implIS3_NS6_6detail15normal_iteratorINS6_10device_ptrIjEEEENSD_INSE_IS9_EEEEjNS1_19radix_merge_compareILb0ELb0EjNS0_19identity_decomposerEEEEE10hipError_tT0_T1_T2_jT3_P12ihipStream_tbPNSt15iterator_traitsISN_E10value_typeEPNST_ISO_E10value_typeEPSP_NS1_7vsmem_tEENKUlT_SN_SO_SP_E_clISG_PjSI_PS9_EESM_S12_SN_SO_SP_EUlS12_E_NS1_11comp_targetILNS1_3genE10ELNS1_11target_archE1201ELNS1_3gpuE5ELNS1_3repE0EEENS1_48merge_mergepath_partition_config_static_selectorELNS0_4arch9wavefront6targetE0EEEvSO_.uses_vcc, 1
	.set _ZN7rocprim17ROCPRIM_400000_NS6detail17trampoline_kernelINS0_14default_configENS1_38merge_sort_block_merge_config_selectorIjN6thrust23THRUST_200600_302600_NS5tupleIffNS6_9null_typeES8_S8_S8_S8_S8_S8_S8_EEEEZZNS1_27merge_sort_block_merge_implIS3_NS6_6detail15normal_iteratorINS6_10device_ptrIjEEEENSD_INSE_IS9_EEEEjNS1_19radix_merge_compareILb0ELb0EjNS0_19identity_decomposerEEEEE10hipError_tT0_T1_T2_jT3_P12ihipStream_tbPNSt15iterator_traitsISN_E10value_typeEPNST_ISO_E10value_typeEPSP_NS1_7vsmem_tEENKUlT_SN_SO_SP_E_clISG_PjSI_PS9_EESM_S12_SN_SO_SP_EUlS12_E_NS1_11comp_targetILNS1_3genE10ELNS1_11target_archE1201ELNS1_3gpuE5ELNS1_3repE0EEENS1_48merge_mergepath_partition_config_static_selectorELNS0_4arch9wavefront6targetE0EEEvSO_.uses_flat_scratch, 1
	.set _ZN7rocprim17ROCPRIM_400000_NS6detail17trampoline_kernelINS0_14default_configENS1_38merge_sort_block_merge_config_selectorIjN6thrust23THRUST_200600_302600_NS5tupleIffNS6_9null_typeES8_S8_S8_S8_S8_S8_S8_EEEEZZNS1_27merge_sort_block_merge_implIS3_NS6_6detail15normal_iteratorINS6_10device_ptrIjEEEENSD_INSE_IS9_EEEEjNS1_19radix_merge_compareILb0ELb0EjNS0_19identity_decomposerEEEEE10hipError_tT0_T1_T2_jT3_P12ihipStream_tbPNSt15iterator_traitsISN_E10value_typeEPNST_ISO_E10value_typeEPSP_NS1_7vsmem_tEENKUlT_SN_SO_SP_E_clISG_PjSI_PS9_EESM_S12_SN_SO_SP_EUlS12_E_NS1_11comp_targetILNS1_3genE10ELNS1_11target_archE1201ELNS1_3gpuE5ELNS1_3repE0EEENS1_48merge_mergepath_partition_config_static_selectorELNS0_4arch9wavefront6targetE0EEEvSO_.has_dyn_sized_stack, 0
	.set _ZN7rocprim17ROCPRIM_400000_NS6detail17trampoline_kernelINS0_14default_configENS1_38merge_sort_block_merge_config_selectorIjN6thrust23THRUST_200600_302600_NS5tupleIffNS6_9null_typeES8_S8_S8_S8_S8_S8_S8_EEEEZZNS1_27merge_sort_block_merge_implIS3_NS6_6detail15normal_iteratorINS6_10device_ptrIjEEEENSD_INSE_IS9_EEEEjNS1_19radix_merge_compareILb0ELb0EjNS0_19identity_decomposerEEEEE10hipError_tT0_T1_T2_jT3_P12ihipStream_tbPNSt15iterator_traitsISN_E10value_typeEPNST_ISO_E10value_typeEPSP_NS1_7vsmem_tEENKUlT_SN_SO_SP_E_clISG_PjSI_PS9_EESM_S12_SN_SO_SP_EUlS12_E_NS1_11comp_targetILNS1_3genE10ELNS1_11target_archE1201ELNS1_3gpuE5ELNS1_3repE0EEENS1_48merge_mergepath_partition_config_static_selectorELNS0_4arch9wavefront6targetE0EEEvSO_.has_recursion, 0
	.set _ZN7rocprim17ROCPRIM_400000_NS6detail17trampoline_kernelINS0_14default_configENS1_38merge_sort_block_merge_config_selectorIjN6thrust23THRUST_200600_302600_NS5tupleIffNS6_9null_typeES8_S8_S8_S8_S8_S8_S8_EEEEZZNS1_27merge_sort_block_merge_implIS3_NS6_6detail15normal_iteratorINS6_10device_ptrIjEEEENSD_INSE_IS9_EEEEjNS1_19radix_merge_compareILb0ELb0EjNS0_19identity_decomposerEEEEE10hipError_tT0_T1_T2_jT3_P12ihipStream_tbPNSt15iterator_traitsISN_E10value_typeEPNST_ISO_E10value_typeEPSP_NS1_7vsmem_tEENKUlT_SN_SO_SP_E_clISG_PjSI_PS9_EESM_S12_SN_SO_SP_EUlS12_E_NS1_11comp_targetILNS1_3genE10ELNS1_11target_archE1201ELNS1_3gpuE5ELNS1_3repE0EEENS1_48merge_mergepath_partition_config_static_selectorELNS0_4arch9wavefront6targetE0EEEvSO_.has_indirect_call, 0
	.section	.AMDGPU.csdata,"",@progbits
; Kernel info:
; codeLenInByte = 484
; TotalNumSgprs: 8
; NumVgprs: 15
; ScratchSize: 0
; MemoryBound: 0
; FloatMode: 240
; IeeeMode: 1
; LDSByteSize: 0 bytes/workgroup (compile time only)
; SGPRBlocks: 0
; VGPRBlocks: 1
; NumSGPRsForWavesPerEU: 8
; NumVGPRsForWavesPerEU: 15
; Occupancy: 16
; WaveLimiterHint : 0
; COMPUTE_PGM_RSRC2:SCRATCH_EN: 0
; COMPUTE_PGM_RSRC2:USER_SGPR: 2
; COMPUTE_PGM_RSRC2:TRAP_HANDLER: 0
; COMPUTE_PGM_RSRC2:TGID_X_EN: 1
; COMPUTE_PGM_RSRC2:TGID_Y_EN: 0
; COMPUTE_PGM_RSRC2:TGID_Z_EN: 0
; COMPUTE_PGM_RSRC2:TIDIG_COMP_CNT: 0
	.section	.text._ZN7rocprim17ROCPRIM_400000_NS6detail17trampoline_kernelINS0_14default_configENS1_38merge_sort_block_merge_config_selectorIjN6thrust23THRUST_200600_302600_NS5tupleIffNS6_9null_typeES8_S8_S8_S8_S8_S8_S8_EEEEZZNS1_27merge_sort_block_merge_implIS3_NS6_6detail15normal_iteratorINS6_10device_ptrIjEEEENSD_INSE_IS9_EEEEjNS1_19radix_merge_compareILb0ELb0EjNS0_19identity_decomposerEEEEE10hipError_tT0_T1_T2_jT3_P12ihipStream_tbPNSt15iterator_traitsISN_E10value_typeEPNST_ISO_E10value_typeEPSP_NS1_7vsmem_tEENKUlT_SN_SO_SP_E_clISG_PjSI_PS9_EESM_S12_SN_SO_SP_EUlS12_E_NS1_11comp_targetILNS1_3genE5ELNS1_11target_archE942ELNS1_3gpuE9ELNS1_3repE0EEENS1_48merge_mergepath_partition_config_static_selectorELNS0_4arch9wavefront6targetE0EEEvSO_,"axG",@progbits,_ZN7rocprim17ROCPRIM_400000_NS6detail17trampoline_kernelINS0_14default_configENS1_38merge_sort_block_merge_config_selectorIjN6thrust23THRUST_200600_302600_NS5tupleIffNS6_9null_typeES8_S8_S8_S8_S8_S8_S8_EEEEZZNS1_27merge_sort_block_merge_implIS3_NS6_6detail15normal_iteratorINS6_10device_ptrIjEEEENSD_INSE_IS9_EEEEjNS1_19radix_merge_compareILb0ELb0EjNS0_19identity_decomposerEEEEE10hipError_tT0_T1_T2_jT3_P12ihipStream_tbPNSt15iterator_traitsISN_E10value_typeEPNST_ISO_E10value_typeEPSP_NS1_7vsmem_tEENKUlT_SN_SO_SP_E_clISG_PjSI_PS9_EESM_S12_SN_SO_SP_EUlS12_E_NS1_11comp_targetILNS1_3genE5ELNS1_11target_archE942ELNS1_3gpuE9ELNS1_3repE0EEENS1_48merge_mergepath_partition_config_static_selectorELNS0_4arch9wavefront6targetE0EEEvSO_,comdat
	.protected	_ZN7rocprim17ROCPRIM_400000_NS6detail17trampoline_kernelINS0_14default_configENS1_38merge_sort_block_merge_config_selectorIjN6thrust23THRUST_200600_302600_NS5tupleIffNS6_9null_typeES8_S8_S8_S8_S8_S8_S8_EEEEZZNS1_27merge_sort_block_merge_implIS3_NS6_6detail15normal_iteratorINS6_10device_ptrIjEEEENSD_INSE_IS9_EEEEjNS1_19radix_merge_compareILb0ELb0EjNS0_19identity_decomposerEEEEE10hipError_tT0_T1_T2_jT3_P12ihipStream_tbPNSt15iterator_traitsISN_E10value_typeEPNST_ISO_E10value_typeEPSP_NS1_7vsmem_tEENKUlT_SN_SO_SP_E_clISG_PjSI_PS9_EESM_S12_SN_SO_SP_EUlS12_E_NS1_11comp_targetILNS1_3genE5ELNS1_11target_archE942ELNS1_3gpuE9ELNS1_3repE0EEENS1_48merge_mergepath_partition_config_static_selectorELNS0_4arch9wavefront6targetE0EEEvSO_ ; -- Begin function _ZN7rocprim17ROCPRIM_400000_NS6detail17trampoline_kernelINS0_14default_configENS1_38merge_sort_block_merge_config_selectorIjN6thrust23THRUST_200600_302600_NS5tupleIffNS6_9null_typeES8_S8_S8_S8_S8_S8_S8_EEEEZZNS1_27merge_sort_block_merge_implIS3_NS6_6detail15normal_iteratorINS6_10device_ptrIjEEEENSD_INSE_IS9_EEEEjNS1_19radix_merge_compareILb0ELb0EjNS0_19identity_decomposerEEEEE10hipError_tT0_T1_T2_jT3_P12ihipStream_tbPNSt15iterator_traitsISN_E10value_typeEPNST_ISO_E10value_typeEPSP_NS1_7vsmem_tEENKUlT_SN_SO_SP_E_clISG_PjSI_PS9_EESM_S12_SN_SO_SP_EUlS12_E_NS1_11comp_targetILNS1_3genE5ELNS1_11target_archE942ELNS1_3gpuE9ELNS1_3repE0EEENS1_48merge_mergepath_partition_config_static_selectorELNS0_4arch9wavefront6targetE0EEEvSO_
	.globl	_ZN7rocprim17ROCPRIM_400000_NS6detail17trampoline_kernelINS0_14default_configENS1_38merge_sort_block_merge_config_selectorIjN6thrust23THRUST_200600_302600_NS5tupleIffNS6_9null_typeES8_S8_S8_S8_S8_S8_S8_EEEEZZNS1_27merge_sort_block_merge_implIS3_NS6_6detail15normal_iteratorINS6_10device_ptrIjEEEENSD_INSE_IS9_EEEEjNS1_19radix_merge_compareILb0ELb0EjNS0_19identity_decomposerEEEEE10hipError_tT0_T1_T2_jT3_P12ihipStream_tbPNSt15iterator_traitsISN_E10value_typeEPNST_ISO_E10value_typeEPSP_NS1_7vsmem_tEENKUlT_SN_SO_SP_E_clISG_PjSI_PS9_EESM_S12_SN_SO_SP_EUlS12_E_NS1_11comp_targetILNS1_3genE5ELNS1_11target_archE942ELNS1_3gpuE9ELNS1_3repE0EEENS1_48merge_mergepath_partition_config_static_selectorELNS0_4arch9wavefront6targetE0EEEvSO_
	.p2align	8
	.type	_ZN7rocprim17ROCPRIM_400000_NS6detail17trampoline_kernelINS0_14default_configENS1_38merge_sort_block_merge_config_selectorIjN6thrust23THRUST_200600_302600_NS5tupleIffNS6_9null_typeES8_S8_S8_S8_S8_S8_S8_EEEEZZNS1_27merge_sort_block_merge_implIS3_NS6_6detail15normal_iteratorINS6_10device_ptrIjEEEENSD_INSE_IS9_EEEEjNS1_19radix_merge_compareILb0ELb0EjNS0_19identity_decomposerEEEEE10hipError_tT0_T1_T2_jT3_P12ihipStream_tbPNSt15iterator_traitsISN_E10value_typeEPNST_ISO_E10value_typeEPSP_NS1_7vsmem_tEENKUlT_SN_SO_SP_E_clISG_PjSI_PS9_EESM_S12_SN_SO_SP_EUlS12_E_NS1_11comp_targetILNS1_3genE5ELNS1_11target_archE942ELNS1_3gpuE9ELNS1_3repE0EEENS1_48merge_mergepath_partition_config_static_selectorELNS0_4arch9wavefront6targetE0EEEvSO_,@function
_ZN7rocprim17ROCPRIM_400000_NS6detail17trampoline_kernelINS0_14default_configENS1_38merge_sort_block_merge_config_selectorIjN6thrust23THRUST_200600_302600_NS5tupleIffNS6_9null_typeES8_S8_S8_S8_S8_S8_S8_EEEEZZNS1_27merge_sort_block_merge_implIS3_NS6_6detail15normal_iteratorINS6_10device_ptrIjEEEENSD_INSE_IS9_EEEEjNS1_19radix_merge_compareILb0ELb0EjNS0_19identity_decomposerEEEEE10hipError_tT0_T1_T2_jT3_P12ihipStream_tbPNSt15iterator_traitsISN_E10value_typeEPNST_ISO_E10value_typeEPSP_NS1_7vsmem_tEENKUlT_SN_SO_SP_E_clISG_PjSI_PS9_EESM_S12_SN_SO_SP_EUlS12_E_NS1_11comp_targetILNS1_3genE5ELNS1_11target_archE942ELNS1_3gpuE9ELNS1_3repE0EEENS1_48merge_mergepath_partition_config_static_selectorELNS0_4arch9wavefront6targetE0EEEvSO_: ; @_ZN7rocprim17ROCPRIM_400000_NS6detail17trampoline_kernelINS0_14default_configENS1_38merge_sort_block_merge_config_selectorIjN6thrust23THRUST_200600_302600_NS5tupleIffNS6_9null_typeES8_S8_S8_S8_S8_S8_S8_EEEEZZNS1_27merge_sort_block_merge_implIS3_NS6_6detail15normal_iteratorINS6_10device_ptrIjEEEENSD_INSE_IS9_EEEEjNS1_19radix_merge_compareILb0ELb0EjNS0_19identity_decomposerEEEEE10hipError_tT0_T1_T2_jT3_P12ihipStream_tbPNSt15iterator_traitsISN_E10value_typeEPNST_ISO_E10value_typeEPSP_NS1_7vsmem_tEENKUlT_SN_SO_SP_E_clISG_PjSI_PS9_EESM_S12_SN_SO_SP_EUlS12_E_NS1_11comp_targetILNS1_3genE5ELNS1_11target_archE942ELNS1_3gpuE9ELNS1_3repE0EEENS1_48merge_mergepath_partition_config_static_selectorELNS0_4arch9wavefront6targetE0EEEvSO_
; %bb.0:
	.section	.rodata,"a",@progbits
	.p2align	6, 0x0
	.amdhsa_kernel _ZN7rocprim17ROCPRIM_400000_NS6detail17trampoline_kernelINS0_14default_configENS1_38merge_sort_block_merge_config_selectorIjN6thrust23THRUST_200600_302600_NS5tupleIffNS6_9null_typeES8_S8_S8_S8_S8_S8_S8_EEEEZZNS1_27merge_sort_block_merge_implIS3_NS6_6detail15normal_iteratorINS6_10device_ptrIjEEEENSD_INSE_IS9_EEEEjNS1_19radix_merge_compareILb0ELb0EjNS0_19identity_decomposerEEEEE10hipError_tT0_T1_T2_jT3_P12ihipStream_tbPNSt15iterator_traitsISN_E10value_typeEPNST_ISO_E10value_typeEPSP_NS1_7vsmem_tEENKUlT_SN_SO_SP_E_clISG_PjSI_PS9_EESM_S12_SN_SO_SP_EUlS12_E_NS1_11comp_targetILNS1_3genE5ELNS1_11target_archE942ELNS1_3gpuE9ELNS1_3repE0EEENS1_48merge_mergepath_partition_config_static_selectorELNS0_4arch9wavefront6targetE0EEEvSO_
		.amdhsa_group_segment_fixed_size 0
		.amdhsa_private_segment_fixed_size 0
		.amdhsa_kernarg_size 40
		.amdhsa_user_sgpr_count 2
		.amdhsa_user_sgpr_dispatch_ptr 0
		.amdhsa_user_sgpr_queue_ptr 0
		.amdhsa_user_sgpr_kernarg_segment_ptr 1
		.amdhsa_user_sgpr_dispatch_id 0
		.amdhsa_user_sgpr_private_segment_size 0
		.amdhsa_wavefront_size32 1
		.amdhsa_uses_dynamic_stack 0
		.amdhsa_enable_private_segment 0
		.amdhsa_system_sgpr_workgroup_id_x 1
		.amdhsa_system_sgpr_workgroup_id_y 0
		.amdhsa_system_sgpr_workgroup_id_z 0
		.amdhsa_system_sgpr_workgroup_info 0
		.amdhsa_system_vgpr_workitem_id 0
		.amdhsa_next_free_vgpr 1
		.amdhsa_next_free_sgpr 1
		.amdhsa_reserve_vcc 0
		.amdhsa_float_round_mode_32 0
		.amdhsa_float_round_mode_16_64 0
		.amdhsa_float_denorm_mode_32 3
		.amdhsa_float_denorm_mode_16_64 3
		.amdhsa_fp16_overflow 0
		.amdhsa_workgroup_processor_mode 1
		.amdhsa_memory_ordered 1
		.amdhsa_forward_progress 1
		.amdhsa_inst_pref_size 0
		.amdhsa_round_robin_scheduling 0
		.amdhsa_exception_fp_ieee_invalid_op 0
		.amdhsa_exception_fp_denorm_src 0
		.amdhsa_exception_fp_ieee_div_zero 0
		.amdhsa_exception_fp_ieee_overflow 0
		.amdhsa_exception_fp_ieee_underflow 0
		.amdhsa_exception_fp_ieee_inexact 0
		.amdhsa_exception_int_div_zero 0
	.end_amdhsa_kernel
	.section	.text._ZN7rocprim17ROCPRIM_400000_NS6detail17trampoline_kernelINS0_14default_configENS1_38merge_sort_block_merge_config_selectorIjN6thrust23THRUST_200600_302600_NS5tupleIffNS6_9null_typeES8_S8_S8_S8_S8_S8_S8_EEEEZZNS1_27merge_sort_block_merge_implIS3_NS6_6detail15normal_iteratorINS6_10device_ptrIjEEEENSD_INSE_IS9_EEEEjNS1_19radix_merge_compareILb0ELb0EjNS0_19identity_decomposerEEEEE10hipError_tT0_T1_T2_jT3_P12ihipStream_tbPNSt15iterator_traitsISN_E10value_typeEPNST_ISO_E10value_typeEPSP_NS1_7vsmem_tEENKUlT_SN_SO_SP_E_clISG_PjSI_PS9_EESM_S12_SN_SO_SP_EUlS12_E_NS1_11comp_targetILNS1_3genE5ELNS1_11target_archE942ELNS1_3gpuE9ELNS1_3repE0EEENS1_48merge_mergepath_partition_config_static_selectorELNS0_4arch9wavefront6targetE0EEEvSO_,"axG",@progbits,_ZN7rocprim17ROCPRIM_400000_NS6detail17trampoline_kernelINS0_14default_configENS1_38merge_sort_block_merge_config_selectorIjN6thrust23THRUST_200600_302600_NS5tupleIffNS6_9null_typeES8_S8_S8_S8_S8_S8_S8_EEEEZZNS1_27merge_sort_block_merge_implIS3_NS6_6detail15normal_iteratorINS6_10device_ptrIjEEEENSD_INSE_IS9_EEEEjNS1_19radix_merge_compareILb0ELb0EjNS0_19identity_decomposerEEEEE10hipError_tT0_T1_T2_jT3_P12ihipStream_tbPNSt15iterator_traitsISN_E10value_typeEPNST_ISO_E10value_typeEPSP_NS1_7vsmem_tEENKUlT_SN_SO_SP_E_clISG_PjSI_PS9_EESM_S12_SN_SO_SP_EUlS12_E_NS1_11comp_targetILNS1_3genE5ELNS1_11target_archE942ELNS1_3gpuE9ELNS1_3repE0EEENS1_48merge_mergepath_partition_config_static_selectorELNS0_4arch9wavefront6targetE0EEEvSO_,comdat
.Lfunc_end51:
	.size	_ZN7rocprim17ROCPRIM_400000_NS6detail17trampoline_kernelINS0_14default_configENS1_38merge_sort_block_merge_config_selectorIjN6thrust23THRUST_200600_302600_NS5tupleIffNS6_9null_typeES8_S8_S8_S8_S8_S8_S8_EEEEZZNS1_27merge_sort_block_merge_implIS3_NS6_6detail15normal_iteratorINS6_10device_ptrIjEEEENSD_INSE_IS9_EEEEjNS1_19radix_merge_compareILb0ELb0EjNS0_19identity_decomposerEEEEE10hipError_tT0_T1_T2_jT3_P12ihipStream_tbPNSt15iterator_traitsISN_E10value_typeEPNST_ISO_E10value_typeEPSP_NS1_7vsmem_tEENKUlT_SN_SO_SP_E_clISG_PjSI_PS9_EESM_S12_SN_SO_SP_EUlS12_E_NS1_11comp_targetILNS1_3genE5ELNS1_11target_archE942ELNS1_3gpuE9ELNS1_3repE0EEENS1_48merge_mergepath_partition_config_static_selectorELNS0_4arch9wavefront6targetE0EEEvSO_, .Lfunc_end51-_ZN7rocprim17ROCPRIM_400000_NS6detail17trampoline_kernelINS0_14default_configENS1_38merge_sort_block_merge_config_selectorIjN6thrust23THRUST_200600_302600_NS5tupleIffNS6_9null_typeES8_S8_S8_S8_S8_S8_S8_EEEEZZNS1_27merge_sort_block_merge_implIS3_NS6_6detail15normal_iteratorINS6_10device_ptrIjEEEENSD_INSE_IS9_EEEEjNS1_19radix_merge_compareILb0ELb0EjNS0_19identity_decomposerEEEEE10hipError_tT0_T1_T2_jT3_P12ihipStream_tbPNSt15iterator_traitsISN_E10value_typeEPNST_ISO_E10value_typeEPSP_NS1_7vsmem_tEENKUlT_SN_SO_SP_E_clISG_PjSI_PS9_EESM_S12_SN_SO_SP_EUlS12_E_NS1_11comp_targetILNS1_3genE5ELNS1_11target_archE942ELNS1_3gpuE9ELNS1_3repE0EEENS1_48merge_mergepath_partition_config_static_selectorELNS0_4arch9wavefront6targetE0EEEvSO_
                                        ; -- End function
	.set _ZN7rocprim17ROCPRIM_400000_NS6detail17trampoline_kernelINS0_14default_configENS1_38merge_sort_block_merge_config_selectorIjN6thrust23THRUST_200600_302600_NS5tupleIffNS6_9null_typeES8_S8_S8_S8_S8_S8_S8_EEEEZZNS1_27merge_sort_block_merge_implIS3_NS6_6detail15normal_iteratorINS6_10device_ptrIjEEEENSD_INSE_IS9_EEEEjNS1_19radix_merge_compareILb0ELb0EjNS0_19identity_decomposerEEEEE10hipError_tT0_T1_T2_jT3_P12ihipStream_tbPNSt15iterator_traitsISN_E10value_typeEPNST_ISO_E10value_typeEPSP_NS1_7vsmem_tEENKUlT_SN_SO_SP_E_clISG_PjSI_PS9_EESM_S12_SN_SO_SP_EUlS12_E_NS1_11comp_targetILNS1_3genE5ELNS1_11target_archE942ELNS1_3gpuE9ELNS1_3repE0EEENS1_48merge_mergepath_partition_config_static_selectorELNS0_4arch9wavefront6targetE0EEEvSO_.num_vgpr, 0
	.set _ZN7rocprim17ROCPRIM_400000_NS6detail17trampoline_kernelINS0_14default_configENS1_38merge_sort_block_merge_config_selectorIjN6thrust23THRUST_200600_302600_NS5tupleIffNS6_9null_typeES8_S8_S8_S8_S8_S8_S8_EEEEZZNS1_27merge_sort_block_merge_implIS3_NS6_6detail15normal_iteratorINS6_10device_ptrIjEEEENSD_INSE_IS9_EEEEjNS1_19radix_merge_compareILb0ELb0EjNS0_19identity_decomposerEEEEE10hipError_tT0_T1_T2_jT3_P12ihipStream_tbPNSt15iterator_traitsISN_E10value_typeEPNST_ISO_E10value_typeEPSP_NS1_7vsmem_tEENKUlT_SN_SO_SP_E_clISG_PjSI_PS9_EESM_S12_SN_SO_SP_EUlS12_E_NS1_11comp_targetILNS1_3genE5ELNS1_11target_archE942ELNS1_3gpuE9ELNS1_3repE0EEENS1_48merge_mergepath_partition_config_static_selectorELNS0_4arch9wavefront6targetE0EEEvSO_.num_agpr, 0
	.set _ZN7rocprim17ROCPRIM_400000_NS6detail17trampoline_kernelINS0_14default_configENS1_38merge_sort_block_merge_config_selectorIjN6thrust23THRUST_200600_302600_NS5tupleIffNS6_9null_typeES8_S8_S8_S8_S8_S8_S8_EEEEZZNS1_27merge_sort_block_merge_implIS3_NS6_6detail15normal_iteratorINS6_10device_ptrIjEEEENSD_INSE_IS9_EEEEjNS1_19radix_merge_compareILb0ELb0EjNS0_19identity_decomposerEEEEE10hipError_tT0_T1_T2_jT3_P12ihipStream_tbPNSt15iterator_traitsISN_E10value_typeEPNST_ISO_E10value_typeEPSP_NS1_7vsmem_tEENKUlT_SN_SO_SP_E_clISG_PjSI_PS9_EESM_S12_SN_SO_SP_EUlS12_E_NS1_11comp_targetILNS1_3genE5ELNS1_11target_archE942ELNS1_3gpuE9ELNS1_3repE0EEENS1_48merge_mergepath_partition_config_static_selectorELNS0_4arch9wavefront6targetE0EEEvSO_.numbered_sgpr, 0
	.set _ZN7rocprim17ROCPRIM_400000_NS6detail17trampoline_kernelINS0_14default_configENS1_38merge_sort_block_merge_config_selectorIjN6thrust23THRUST_200600_302600_NS5tupleIffNS6_9null_typeES8_S8_S8_S8_S8_S8_S8_EEEEZZNS1_27merge_sort_block_merge_implIS3_NS6_6detail15normal_iteratorINS6_10device_ptrIjEEEENSD_INSE_IS9_EEEEjNS1_19radix_merge_compareILb0ELb0EjNS0_19identity_decomposerEEEEE10hipError_tT0_T1_T2_jT3_P12ihipStream_tbPNSt15iterator_traitsISN_E10value_typeEPNST_ISO_E10value_typeEPSP_NS1_7vsmem_tEENKUlT_SN_SO_SP_E_clISG_PjSI_PS9_EESM_S12_SN_SO_SP_EUlS12_E_NS1_11comp_targetILNS1_3genE5ELNS1_11target_archE942ELNS1_3gpuE9ELNS1_3repE0EEENS1_48merge_mergepath_partition_config_static_selectorELNS0_4arch9wavefront6targetE0EEEvSO_.num_named_barrier, 0
	.set _ZN7rocprim17ROCPRIM_400000_NS6detail17trampoline_kernelINS0_14default_configENS1_38merge_sort_block_merge_config_selectorIjN6thrust23THRUST_200600_302600_NS5tupleIffNS6_9null_typeES8_S8_S8_S8_S8_S8_S8_EEEEZZNS1_27merge_sort_block_merge_implIS3_NS6_6detail15normal_iteratorINS6_10device_ptrIjEEEENSD_INSE_IS9_EEEEjNS1_19radix_merge_compareILb0ELb0EjNS0_19identity_decomposerEEEEE10hipError_tT0_T1_T2_jT3_P12ihipStream_tbPNSt15iterator_traitsISN_E10value_typeEPNST_ISO_E10value_typeEPSP_NS1_7vsmem_tEENKUlT_SN_SO_SP_E_clISG_PjSI_PS9_EESM_S12_SN_SO_SP_EUlS12_E_NS1_11comp_targetILNS1_3genE5ELNS1_11target_archE942ELNS1_3gpuE9ELNS1_3repE0EEENS1_48merge_mergepath_partition_config_static_selectorELNS0_4arch9wavefront6targetE0EEEvSO_.private_seg_size, 0
	.set _ZN7rocprim17ROCPRIM_400000_NS6detail17trampoline_kernelINS0_14default_configENS1_38merge_sort_block_merge_config_selectorIjN6thrust23THRUST_200600_302600_NS5tupleIffNS6_9null_typeES8_S8_S8_S8_S8_S8_S8_EEEEZZNS1_27merge_sort_block_merge_implIS3_NS6_6detail15normal_iteratorINS6_10device_ptrIjEEEENSD_INSE_IS9_EEEEjNS1_19radix_merge_compareILb0ELb0EjNS0_19identity_decomposerEEEEE10hipError_tT0_T1_T2_jT3_P12ihipStream_tbPNSt15iterator_traitsISN_E10value_typeEPNST_ISO_E10value_typeEPSP_NS1_7vsmem_tEENKUlT_SN_SO_SP_E_clISG_PjSI_PS9_EESM_S12_SN_SO_SP_EUlS12_E_NS1_11comp_targetILNS1_3genE5ELNS1_11target_archE942ELNS1_3gpuE9ELNS1_3repE0EEENS1_48merge_mergepath_partition_config_static_selectorELNS0_4arch9wavefront6targetE0EEEvSO_.uses_vcc, 0
	.set _ZN7rocprim17ROCPRIM_400000_NS6detail17trampoline_kernelINS0_14default_configENS1_38merge_sort_block_merge_config_selectorIjN6thrust23THRUST_200600_302600_NS5tupleIffNS6_9null_typeES8_S8_S8_S8_S8_S8_S8_EEEEZZNS1_27merge_sort_block_merge_implIS3_NS6_6detail15normal_iteratorINS6_10device_ptrIjEEEENSD_INSE_IS9_EEEEjNS1_19radix_merge_compareILb0ELb0EjNS0_19identity_decomposerEEEEE10hipError_tT0_T1_T2_jT3_P12ihipStream_tbPNSt15iterator_traitsISN_E10value_typeEPNST_ISO_E10value_typeEPSP_NS1_7vsmem_tEENKUlT_SN_SO_SP_E_clISG_PjSI_PS9_EESM_S12_SN_SO_SP_EUlS12_E_NS1_11comp_targetILNS1_3genE5ELNS1_11target_archE942ELNS1_3gpuE9ELNS1_3repE0EEENS1_48merge_mergepath_partition_config_static_selectorELNS0_4arch9wavefront6targetE0EEEvSO_.uses_flat_scratch, 0
	.set _ZN7rocprim17ROCPRIM_400000_NS6detail17trampoline_kernelINS0_14default_configENS1_38merge_sort_block_merge_config_selectorIjN6thrust23THRUST_200600_302600_NS5tupleIffNS6_9null_typeES8_S8_S8_S8_S8_S8_S8_EEEEZZNS1_27merge_sort_block_merge_implIS3_NS6_6detail15normal_iteratorINS6_10device_ptrIjEEEENSD_INSE_IS9_EEEEjNS1_19radix_merge_compareILb0ELb0EjNS0_19identity_decomposerEEEEE10hipError_tT0_T1_T2_jT3_P12ihipStream_tbPNSt15iterator_traitsISN_E10value_typeEPNST_ISO_E10value_typeEPSP_NS1_7vsmem_tEENKUlT_SN_SO_SP_E_clISG_PjSI_PS9_EESM_S12_SN_SO_SP_EUlS12_E_NS1_11comp_targetILNS1_3genE5ELNS1_11target_archE942ELNS1_3gpuE9ELNS1_3repE0EEENS1_48merge_mergepath_partition_config_static_selectorELNS0_4arch9wavefront6targetE0EEEvSO_.has_dyn_sized_stack, 0
	.set _ZN7rocprim17ROCPRIM_400000_NS6detail17trampoline_kernelINS0_14default_configENS1_38merge_sort_block_merge_config_selectorIjN6thrust23THRUST_200600_302600_NS5tupleIffNS6_9null_typeES8_S8_S8_S8_S8_S8_S8_EEEEZZNS1_27merge_sort_block_merge_implIS3_NS6_6detail15normal_iteratorINS6_10device_ptrIjEEEENSD_INSE_IS9_EEEEjNS1_19radix_merge_compareILb0ELb0EjNS0_19identity_decomposerEEEEE10hipError_tT0_T1_T2_jT3_P12ihipStream_tbPNSt15iterator_traitsISN_E10value_typeEPNST_ISO_E10value_typeEPSP_NS1_7vsmem_tEENKUlT_SN_SO_SP_E_clISG_PjSI_PS9_EESM_S12_SN_SO_SP_EUlS12_E_NS1_11comp_targetILNS1_3genE5ELNS1_11target_archE942ELNS1_3gpuE9ELNS1_3repE0EEENS1_48merge_mergepath_partition_config_static_selectorELNS0_4arch9wavefront6targetE0EEEvSO_.has_recursion, 0
	.set _ZN7rocprim17ROCPRIM_400000_NS6detail17trampoline_kernelINS0_14default_configENS1_38merge_sort_block_merge_config_selectorIjN6thrust23THRUST_200600_302600_NS5tupleIffNS6_9null_typeES8_S8_S8_S8_S8_S8_S8_EEEEZZNS1_27merge_sort_block_merge_implIS3_NS6_6detail15normal_iteratorINS6_10device_ptrIjEEEENSD_INSE_IS9_EEEEjNS1_19radix_merge_compareILb0ELb0EjNS0_19identity_decomposerEEEEE10hipError_tT0_T1_T2_jT3_P12ihipStream_tbPNSt15iterator_traitsISN_E10value_typeEPNST_ISO_E10value_typeEPSP_NS1_7vsmem_tEENKUlT_SN_SO_SP_E_clISG_PjSI_PS9_EESM_S12_SN_SO_SP_EUlS12_E_NS1_11comp_targetILNS1_3genE5ELNS1_11target_archE942ELNS1_3gpuE9ELNS1_3repE0EEENS1_48merge_mergepath_partition_config_static_selectorELNS0_4arch9wavefront6targetE0EEEvSO_.has_indirect_call, 0
	.section	.AMDGPU.csdata,"",@progbits
; Kernel info:
; codeLenInByte = 0
; TotalNumSgprs: 0
; NumVgprs: 0
; ScratchSize: 0
; MemoryBound: 0
; FloatMode: 240
; IeeeMode: 1
; LDSByteSize: 0 bytes/workgroup (compile time only)
; SGPRBlocks: 0
; VGPRBlocks: 0
; NumSGPRsForWavesPerEU: 1
; NumVGPRsForWavesPerEU: 1
; Occupancy: 16
; WaveLimiterHint : 0
; COMPUTE_PGM_RSRC2:SCRATCH_EN: 0
; COMPUTE_PGM_RSRC2:USER_SGPR: 2
; COMPUTE_PGM_RSRC2:TRAP_HANDLER: 0
; COMPUTE_PGM_RSRC2:TGID_X_EN: 1
; COMPUTE_PGM_RSRC2:TGID_Y_EN: 0
; COMPUTE_PGM_RSRC2:TGID_Z_EN: 0
; COMPUTE_PGM_RSRC2:TIDIG_COMP_CNT: 0
	.section	.text._ZN7rocprim17ROCPRIM_400000_NS6detail17trampoline_kernelINS0_14default_configENS1_38merge_sort_block_merge_config_selectorIjN6thrust23THRUST_200600_302600_NS5tupleIffNS6_9null_typeES8_S8_S8_S8_S8_S8_S8_EEEEZZNS1_27merge_sort_block_merge_implIS3_NS6_6detail15normal_iteratorINS6_10device_ptrIjEEEENSD_INSE_IS9_EEEEjNS1_19radix_merge_compareILb0ELb0EjNS0_19identity_decomposerEEEEE10hipError_tT0_T1_T2_jT3_P12ihipStream_tbPNSt15iterator_traitsISN_E10value_typeEPNST_ISO_E10value_typeEPSP_NS1_7vsmem_tEENKUlT_SN_SO_SP_E_clISG_PjSI_PS9_EESM_S12_SN_SO_SP_EUlS12_E_NS1_11comp_targetILNS1_3genE4ELNS1_11target_archE910ELNS1_3gpuE8ELNS1_3repE0EEENS1_48merge_mergepath_partition_config_static_selectorELNS0_4arch9wavefront6targetE0EEEvSO_,"axG",@progbits,_ZN7rocprim17ROCPRIM_400000_NS6detail17trampoline_kernelINS0_14default_configENS1_38merge_sort_block_merge_config_selectorIjN6thrust23THRUST_200600_302600_NS5tupleIffNS6_9null_typeES8_S8_S8_S8_S8_S8_S8_EEEEZZNS1_27merge_sort_block_merge_implIS3_NS6_6detail15normal_iteratorINS6_10device_ptrIjEEEENSD_INSE_IS9_EEEEjNS1_19radix_merge_compareILb0ELb0EjNS0_19identity_decomposerEEEEE10hipError_tT0_T1_T2_jT3_P12ihipStream_tbPNSt15iterator_traitsISN_E10value_typeEPNST_ISO_E10value_typeEPSP_NS1_7vsmem_tEENKUlT_SN_SO_SP_E_clISG_PjSI_PS9_EESM_S12_SN_SO_SP_EUlS12_E_NS1_11comp_targetILNS1_3genE4ELNS1_11target_archE910ELNS1_3gpuE8ELNS1_3repE0EEENS1_48merge_mergepath_partition_config_static_selectorELNS0_4arch9wavefront6targetE0EEEvSO_,comdat
	.protected	_ZN7rocprim17ROCPRIM_400000_NS6detail17trampoline_kernelINS0_14default_configENS1_38merge_sort_block_merge_config_selectorIjN6thrust23THRUST_200600_302600_NS5tupleIffNS6_9null_typeES8_S8_S8_S8_S8_S8_S8_EEEEZZNS1_27merge_sort_block_merge_implIS3_NS6_6detail15normal_iteratorINS6_10device_ptrIjEEEENSD_INSE_IS9_EEEEjNS1_19radix_merge_compareILb0ELb0EjNS0_19identity_decomposerEEEEE10hipError_tT0_T1_T2_jT3_P12ihipStream_tbPNSt15iterator_traitsISN_E10value_typeEPNST_ISO_E10value_typeEPSP_NS1_7vsmem_tEENKUlT_SN_SO_SP_E_clISG_PjSI_PS9_EESM_S12_SN_SO_SP_EUlS12_E_NS1_11comp_targetILNS1_3genE4ELNS1_11target_archE910ELNS1_3gpuE8ELNS1_3repE0EEENS1_48merge_mergepath_partition_config_static_selectorELNS0_4arch9wavefront6targetE0EEEvSO_ ; -- Begin function _ZN7rocprim17ROCPRIM_400000_NS6detail17trampoline_kernelINS0_14default_configENS1_38merge_sort_block_merge_config_selectorIjN6thrust23THRUST_200600_302600_NS5tupleIffNS6_9null_typeES8_S8_S8_S8_S8_S8_S8_EEEEZZNS1_27merge_sort_block_merge_implIS3_NS6_6detail15normal_iteratorINS6_10device_ptrIjEEEENSD_INSE_IS9_EEEEjNS1_19radix_merge_compareILb0ELb0EjNS0_19identity_decomposerEEEEE10hipError_tT0_T1_T2_jT3_P12ihipStream_tbPNSt15iterator_traitsISN_E10value_typeEPNST_ISO_E10value_typeEPSP_NS1_7vsmem_tEENKUlT_SN_SO_SP_E_clISG_PjSI_PS9_EESM_S12_SN_SO_SP_EUlS12_E_NS1_11comp_targetILNS1_3genE4ELNS1_11target_archE910ELNS1_3gpuE8ELNS1_3repE0EEENS1_48merge_mergepath_partition_config_static_selectorELNS0_4arch9wavefront6targetE0EEEvSO_
	.globl	_ZN7rocprim17ROCPRIM_400000_NS6detail17trampoline_kernelINS0_14default_configENS1_38merge_sort_block_merge_config_selectorIjN6thrust23THRUST_200600_302600_NS5tupleIffNS6_9null_typeES8_S8_S8_S8_S8_S8_S8_EEEEZZNS1_27merge_sort_block_merge_implIS3_NS6_6detail15normal_iteratorINS6_10device_ptrIjEEEENSD_INSE_IS9_EEEEjNS1_19radix_merge_compareILb0ELb0EjNS0_19identity_decomposerEEEEE10hipError_tT0_T1_T2_jT3_P12ihipStream_tbPNSt15iterator_traitsISN_E10value_typeEPNST_ISO_E10value_typeEPSP_NS1_7vsmem_tEENKUlT_SN_SO_SP_E_clISG_PjSI_PS9_EESM_S12_SN_SO_SP_EUlS12_E_NS1_11comp_targetILNS1_3genE4ELNS1_11target_archE910ELNS1_3gpuE8ELNS1_3repE0EEENS1_48merge_mergepath_partition_config_static_selectorELNS0_4arch9wavefront6targetE0EEEvSO_
	.p2align	8
	.type	_ZN7rocprim17ROCPRIM_400000_NS6detail17trampoline_kernelINS0_14default_configENS1_38merge_sort_block_merge_config_selectorIjN6thrust23THRUST_200600_302600_NS5tupleIffNS6_9null_typeES8_S8_S8_S8_S8_S8_S8_EEEEZZNS1_27merge_sort_block_merge_implIS3_NS6_6detail15normal_iteratorINS6_10device_ptrIjEEEENSD_INSE_IS9_EEEEjNS1_19radix_merge_compareILb0ELb0EjNS0_19identity_decomposerEEEEE10hipError_tT0_T1_T2_jT3_P12ihipStream_tbPNSt15iterator_traitsISN_E10value_typeEPNST_ISO_E10value_typeEPSP_NS1_7vsmem_tEENKUlT_SN_SO_SP_E_clISG_PjSI_PS9_EESM_S12_SN_SO_SP_EUlS12_E_NS1_11comp_targetILNS1_3genE4ELNS1_11target_archE910ELNS1_3gpuE8ELNS1_3repE0EEENS1_48merge_mergepath_partition_config_static_selectorELNS0_4arch9wavefront6targetE0EEEvSO_,@function
_ZN7rocprim17ROCPRIM_400000_NS6detail17trampoline_kernelINS0_14default_configENS1_38merge_sort_block_merge_config_selectorIjN6thrust23THRUST_200600_302600_NS5tupleIffNS6_9null_typeES8_S8_S8_S8_S8_S8_S8_EEEEZZNS1_27merge_sort_block_merge_implIS3_NS6_6detail15normal_iteratorINS6_10device_ptrIjEEEENSD_INSE_IS9_EEEEjNS1_19radix_merge_compareILb0ELb0EjNS0_19identity_decomposerEEEEE10hipError_tT0_T1_T2_jT3_P12ihipStream_tbPNSt15iterator_traitsISN_E10value_typeEPNST_ISO_E10value_typeEPSP_NS1_7vsmem_tEENKUlT_SN_SO_SP_E_clISG_PjSI_PS9_EESM_S12_SN_SO_SP_EUlS12_E_NS1_11comp_targetILNS1_3genE4ELNS1_11target_archE910ELNS1_3gpuE8ELNS1_3repE0EEENS1_48merge_mergepath_partition_config_static_selectorELNS0_4arch9wavefront6targetE0EEEvSO_: ; @_ZN7rocprim17ROCPRIM_400000_NS6detail17trampoline_kernelINS0_14default_configENS1_38merge_sort_block_merge_config_selectorIjN6thrust23THRUST_200600_302600_NS5tupleIffNS6_9null_typeES8_S8_S8_S8_S8_S8_S8_EEEEZZNS1_27merge_sort_block_merge_implIS3_NS6_6detail15normal_iteratorINS6_10device_ptrIjEEEENSD_INSE_IS9_EEEEjNS1_19radix_merge_compareILb0ELb0EjNS0_19identity_decomposerEEEEE10hipError_tT0_T1_T2_jT3_P12ihipStream_tbPNSt15iterator_traitsISN_E10value_typeEPNST_ISO_E10value_typeEPSP_NS1_7vsmem_tEENKUlT_SN_SO_SP_E_clISG_PjSI_PS9_EESM_S12_SN_SO_SP_EUlS12_E_NS1_11comp_targetILNS1_3genE4ELNS1_11target_archE910ELNS1_3gpuE8ELNS1_3repE0EEENS1_48merge_mergepath_partition_config_static_selectorELNS0_4arch9wavefront6targetE0EEEvSO_
; %bb.0:
	.section	.rodata,"a",@progbits
	.p2align	6, 0x0
	.amdhsa_kernel _ZN7rocprim17ROCPRIM_400000_NS6detail17trampoline_kernelINS0_14default_configENS1_38merge_sort_block_merge_config_selectorIjN6thrust23THRUST_200600_302600_NS5tupleIffNS6_9null_typeES8_S8_S8_S8_S8_S8_S8_EEEEZZNS1_27merge_sort_block_merge_implIS3_NS6_6detail15normal_iteratorINS6_10device_ptrIjEEEENSD_INSE_IS9_EEEEjNS1_19radix_merge_compareILb0ELb0EjNS0_19identity_decomposerEEEEE10hipError_tT0_T1_T2_jT3_P12ihipStream_tbPNSt15iterator_traitsISN_E10value_typeEPNST_ISO_E10value_typeEPSP_NS1_7vsmem_tEENKUlT_SN_SO_SP_E_clISG_PjSI_PS9_EESM_S12_SN_SO_SP_EUlS12_E_NS1_11comp_targetILNS1_3genE4ELNS1_11target_archE910ELNS1_3gpuE8ELNS1_3repE0EEENS1_48merge_mergepath_partition_config_static_selectorELNS0_4arch9wavefront6targetE0EEEvSO_
		.amdhsa_group_segment_fixed_size 0
		.amdhsa_private_segment_fixed_size 0
		.amdhsa_kernarg_size 40
		.amdhsa_user_sgpr_count 2
		.amdhsa_user_sgpr_dispatch_ptr 0
		.amdhsa_user_sgpr_queue_ptr 0
		.amdhsa_user_sgpr_kernarg_segment_ptr 1
		.amdhsa_user_sgpr_dispatch_id 0
		.amdhsa_user_sgpr_private_segment_size 0
		.amdhsa_wavefront_size32 1
		.amdhsa_uses_dynamic_stack 0
		.amdhsa_enable_private_segment 0
		.amdhsa_system_sgpr_workgroup_id_x 1
		.amdhsa_system_sgpr_workgroup_id_y 0
		.amdhsa_system_sgpr_workgroup_id_z 0
		.amdhsa_system_sgpr_workgroup_info 0
		.amdhsa_system_vgpr_workitem_id 0
		.amdhsa_next_free_vgpr 1
		.amdhsa_next_free_sgpr 1
		.amdhsa_reserve_vcc 0
		.amdhsa_float_round_mode_32 0
		.amdhsa_float_round_mode_16_64 0
		.amdhsa_float_denorm_mode_32 3
		.amdhsa_float_denorm_mode_16_64 3
		.amdhsa_fp16_overflow 0
		.amdhsa_workgroup_processor_mode 1
		.amdhsa_memory_ordered 1
		.amdhsa_forward_progress 1
		.amdhsa_inst_pref_size 0
		.amdhsa_round_robin_scheduling 0
		.amdhsa_exception_fp_ieee_invalid_op 0
		.amdhsa_exception_fp_denorm_src 0
		.amdhsa_exception_fp_ieee_div_zero 0
		.amdhsa_exception_fp_ieee_overflow 0
		.amdhsa_exception_fp_ieee_underflow 0
		.amdhsa_exception_fp_ieee_inexact 0
		.amdhsa_exception_int_div_zero 0
	.end_amdhsa_kernel
	.section	.text._ZN7rocprim17ROCPRIM_400000_NS6detail17trampoline_kernelINS0_14default_configENS1_38merge_sort_block_merge_config_selectorIjN6thrust23THRUST_200600_302600_NS5tupleIffNS6_9null_typeES8_S8_S8_S8_S8_S8_S8_EEEEZZNS1_27merge_sort_block_merge_implIS3_NS6_6detail15normal_iteratorINS6_10device_ptrIjEEEENSD_INSE_IS9_EEEEjNS1_19radix_merge_compareILb0ELb0EjNS0_19identity_decomposerEEEEE10hipError_tT0_T1_T2_jT3_P12ihipStream_tbPNSt15iterator_traitsISN_E10value_typeEPNST_ISO_E10value_typeEPSP_NS1_7vsmem_tEENKUlT_SN_SO_SP_E_clISG_PjSI_PS9_EESM_S12_SN_SO_SP_EUlS12_E_NS1_11comp_targetILNS1_3genE4ELNS1_11target_archE910ELNS1_3gpuE8ELNS1_3repE0EEENS1_48merge_mergepath_partition_config_static_selectorELNS0_4arch9wavefront6targetE0EEEvSO_,"axG",@progbits,_ZN7rocprim17ROCPRIM_400000_NS6detail17trampoline_kernelINS0_14default_configENS1_38merge_sort_block_merge_config_selectorIjN6thrust23THRUST_200600_302600_NS5tupleIffNS6_9null_typeES8_S8_S8_S8_S8_S8_S8_EEEEZZNS1_27merge_sort_block_merge_implIS3_NS6_6detail15normal_iteratorINS6_10device_ptrIjEEEENSD_INSE_IS9_EEEEjNS1_19radix_merge_compareILb0ELb0EjNS0_19identity_decomposerEEEEE10hipError_tT0_T1_T2_jT3_P12ihipStream_tbPNSt15iterator_traitsISN_E10value_typeEPNST_ISO_E10value_typeEPSP_NS1_7vsmem_tEENKUlT_SN_SO_SP_E_clISG_PjSI_PS9_EESM_S12_SN_SO_SP_EUlS12_E_NS1_11comp_targetILNS1_3genE4ELNS1_11target_archE910ELNS1_3gpuE8ELNS1_3repE0EEENS1_48merge_mergepath_partition_config_static_selectorELNS0_4arch9wavefront6targetE0EEEvSO_,comdat
.Lfunc_end52:
	.size	_ZN7rocprim17ROCPRIM_400000_NS6detail17trampoline_kernelINS0_14default_configENS1_38merge_sort_block_merge_config_selectorIjN6thrust23THRUST_200600_302600_NS5tupleIffNS6_9null_typeES8_S8_S8_S8_S8_S8_S8_EEEEZZNS1_27merge_sort_block_merge_implIS3_NS6_6detail15normal_iteratorINS6_10device_ptrIjEEEENSD_INSE_IS9_EEEEjNS1_19radix_merge_compareILb0ELb0EjNS0_19identity_decomposerEEEEE10hipError_tT0_T1_T2_jT3_P12ihipStream_tbPNSt15iterator_traitsISN_E10value_typeEPNST_ISO_E10value_typeEPSP_NS1_7vsmem_tEENKUlT_SN_SO_SP_E_clISG_PjSI_PS9_EESM_S12_SN_SO_SP_EUlS12_E_NS1_11comp_targetILNS1_3genE4ELNS1_11target_archE910ELNS1_3gpuE8ELNS1_3repE0EEENS1_48merge_mergepath_partition_config_static_selectorELNS0_4arch9wavefront6targetE0EEEvSO_, .Lfunc_end52-_ZN7rocprim17ROCPRIM_400000_NS6detail17trampoline_kernelINS0_14default_configENS1_38merge_sort_block_merge_config_selectorIjN6thrust23THRUST_200600_302600_NS5tupleIffNS6_9null_typeES8_S8_S8_S8_S8_S8_S8_EEEEZZNS1_27merge_sort_block_merge_implIS3_NS6_6detail15normal_iteratorINS6_10device_ptrIjEEEENSD_INSE_IS9_EEEEjNS1_19radix_merge_compareILb0ELb0EjNS0_19identity_decomposerEEEEE10hipError_tT0_T1_T2_jT3_P12ihipStream_tbPNSt15iterator_traitsISN_E10value_typeEPNST_ISO_E10value_typeEPSP_NS1_7vsmem_tEENKUlT_SN_SO_SP_E_clISG_PjSI_PS9_EESM_S12_SN_SO_SP_EUlS12_E_NS1_11comp_targetILNS1_3genE4ELNS1_11target_archE910ELNS1_3gpuE8ELNS1_3repE0EEENS1_48merge_mergepath_partition_config_static_selectorELNS0_4arch9wavefront6targetE0EEEvSO_
                                        ; -- End function
	.set _ZN7rocprim17ROCPRIM_400000_NS6detail17trampoline_kernelINS0_14default_configENS1_38merge_sort_block_merge_config_selectorIjN6thrust23THRUST_200600_302600_NS5tupleIffNS6_9null_typeES8_S8_S8_S8_S8_S8_S8_EEEEZZNS1_27merge_sort_block_merge_implIS3_NS6_6detail15normal_iteratorINS6_10device_ptrIjEEEENSD_INSE_IS9_EEEEjNS1_19radix_merge_compareILb0ELb0EjNS0_19identity_decomposerEEEEE10hipError_tT0_T1_T2_jT3_P12ihipStream_tbPNSt15iterator_traitsISN_E10value_typeEPNST_ISO_E10value_typeEPSP_NS1_7vsmem_tEENKUlT_SN_SO_SP_E_clISG_PjSI_PS9_EESM_S12_SN_SO_SP_EUlS12_E_NS1_11comp_targetILNS1_3genE4ELNS1_11target_archE910ELNS1_3gpuE8ELNS1_3repE0EEENS1_48merge_mergepath_partition_config_static_selectorELNS0_4arch9wavefront6targetE0EEEvSO_.num_vgpr, 0
	.set _ZN7rocprim17ROCPRIM_400000_NS6detail17trampoline_kernelINS0_14default_configENS1_38merge_sort_block_merge_config_selectorIjN6thrust23THRUST_200600_302600_NS5tupleIffNS6_9null_typeES8_S8_S8_S8_S8_S8_S8_EEEEZZNS1_27merge_sort_block_merge_implIS3_NS6_6detail15normal_iteratorINS6_10device_ptrIjEEEENSD_INSE_IS9_EEEEjNS1_19radix_merge_compareILb0ELb0EjNS0_19identity_decomposerEEEEE10hipError_tT0_T1_T2_jT3_P12ihipStream_tbPNSt15iterator_traitsISN_E10value_typeEPNST_ISO_E10value_typeEPSP_NS1_7vsmem_tEENKUlT_SN_SO_SP_E_clISG_PjSI_PS9_EESM_S12_SN_SO_SP_EUlS12_E_NS1_11comp_targetILNS1_3genE4ELNS1_11target_archE910ELNS1_3gpuE8ELNS1_3repE0EEENS1_48merge_mergepath_partition_config_static_selectorELNS0_4arch9wavefront6targetE0EEEvSO_.num_agpr, 0
	.set _ZN7rocprim17ROCPRIM_400000_NS6detail17trampoline_kernelINS0_14default_configENS1_38merge_sort_block_merge_config_selectorIjN6thrust23THRUST_200600_302600_NS5tupleIffNS6_9null_typeES8_S8_S8_S8_S8_S8_S8_EEEEZZNS1_27merge_sort_block_merge_implIS3_NS6_6detail15normal_iteratorINS6_10device_ptrIjEEEENSD_INSE_IS9_EEEEjNS1_19radix_merge_compareILb0ELb0EjNS0_19identity_decomposerEEEEE10hipError_tT0_T1_T2_jT3_P12ihipStream_tbPNSt15iterator_traitsISN_E10value_typeEPNST_ISO_E10value_typeEPSP_NS1_7vsmem_tEENKUlT_SN_SO_SP_E_clISG_PjSI_PS9_EESM_S12_SN_SO_SP_EUlS12_E_NS1_11comp_targetILNS1_3genE4ELNS1_11target_archE910ELNS1_3gpuE8ELNS1_3repE0EEENS1_48merge_mergepath_partition_config_static_selectorELNS0_4arch9wavefront6targetE0EEEvSO_.numbered_sgpr, 0
	.set _ZN7rocprim17ROCPRIM_400000_NS6detail17trampoline_kernelINS0_14default_configENS1_38merge_sort_block_merge_config_selectorIjN6thrust23THRUST_200600_302600_NS5tupleIffNS6_9null_typeES8_S8_S8_S8_S8_S8_S8_EEEEZZNS1_27merge_sort_block_merge_implIS3_NS6_6detail15normal_iteratorINS6_10device_ptrIjEEEENSD_INSE_IS9_EEEEjNS1_19radix_merge_compareILb0ELb0EjNS0_19identity_decomposerEEEEE10hipError_tT0_T1_T2_jT3_P12ihipStream_tbPNSt15iterator_traitsISN_E10value_typeEPNST_ISO_E10value_typeEPSP_NS1_7vsmem_tEENKUlT_SN_SO_SP_E_clISG_PjSI_PS9_EESM_S12_SN_SO_SP_EUlS12_E_NS1_11comp_targetILNS1_3genE4ELNS1_11target_archE910ELNS1_3gpuE8ELNS1_3repE0EEENS1_48merge_mergepath_partition_config_static_selectorELNS0_4arch9wavefront6targetE0EEEvSO_.num_named_barrier, 0
	.set _ZN7rocprim17ROCPRIM_400000_NS6detail17trampoline_kernelINS0_14default_configENS1_38merge_sort_block_merge_config_selectorIjN6thrust23THRUST_200600_302600_NS5tupleIffNS6_9null_typeES8_S8_S8_S8_S8_S8_S8_EEEEZZNS1_27merge_sort_block_merge_implIS3_NS6_6detail15normal_iteratorINS6_10device_ptrIjEEEENSD_INSE_IS9_EEEEjNS1_19radix_merge_compareILb0ELb0EjNS0_19identity_decomposerEEEEE10hipError_tT0_T1_T2_jT3_P12ihipStream_tbPNSt15iterator_traitsISN_E10value_typeEPNST_ISO_E10value_typeEPSP_NS1_7vsmem_tEENKUlT_SN_SO_SP_E_clISG_PjSI_PS9_EESM_S12_SN_SO_SP_EUlS12_E_NS1_11comp_targetILNS1_3genE4ELNS1_11target_archE910ELNS1_3gpuE8ELNS1_3repE0EEENS1_48merge_mergepath_partition_config_static_selectorELNS0_4arch9wavefront6targetE0EEEvSO_.private_seg_size, 0
	.set _ZN7rocprim17ROCPRIM_400000_NS6detail17trampoline_kernelINS0_14default_configENS1_38merge_sort_block_merge_config_selectorIjN6thrust23THRUST_200600_302600_NS5tupleIffNS6_9null_typeES8_S8_S8_S8_S8_S8_S8_EEEEZZNS1_27merge_sort_block_merge_implIS3_NS6_6detail15normal_iteratorINS6_10device_ptrIjEEEENSD_INSE_IS9_EEEEjNS1_19radix_merge_compareILb0ELb0EjNS0_19identity_decomposerEEEEE10hipError_tT0_T1_T2_jT3_P12ihipStream_tbPNSt15iterator_traitsISN_E10value_typeEPNST_ISO_E10value_typeEPSP_NS1_7vsmem_tEENKUlT_SN_SO_SP_E_clISG_PjSI_PS9_EESM_S12_SN_SO_SP_EUlS12_E_NS1_11comp_targetILNS1_3genE4ELNS1_11target_archE910ELNS1_3gpuE8ELNS1_3repE0EEENS1_48merge_mergepath_partition_config_static_selectorELNS0_4arch9wavefront6targetE0EEEvSO_.uses_vcc, 0
	.set _ZN7rocprim17ROCPRIM_400000_NS6detail17trampoline_kernelINS0_14default_configENS1_38merge_sort_block_merge_config_selectorIjN6thrust23THRUST_200600_302600_NS5tupleIffNS6_9null_typeES8_S8_S8_S8_S8_S8_S8_EEEEZZNS1_27merge_sort_block_merge_implIS3_NS6_6detail15normal_iteratorINS6_10device_ptrIjEEEENSD_INSE_IS9_EEEEjNS1_19radix_merge_compareILb0ELb0EjNS0_19identity_decomposerEEEEE10hipError_tT0_T1_T2_jT3_P12ihipStream_tbPNSt15iterator_traitsISN_E10value_typeEPNST_ISO_E10value_typeEPSP_NS1_7vsmem_tEENKUlT_SN_SO_SP_E_clISG_PjSI_PS9_EESM_S12_SN_SO_SP_EUlS12_E_NS1_11comp_targetILNS1_3genE4ELNS1_11target_archE910ELNS1_3gpuE8ELNS1_3repE0EEENS1_48merge_mergepath_partition_config_static_selectorELNS0_4arch9wavefront6targetE0EEEvSO_.uses_flat_scratch, 0
	.set _ZN7rocprim17ROCPRIM_400000_NS6detail17trampoline_kernelINS0_14default_configENS1_38merge_sort_block_merge_config_selectorIjN6thrust23THRUST_200600_302600_NS5tupleIffNS6_9null_typeES8_S8_S8_S8_S8_S8_S8_EEEEZZNS1_27merge_sort_block_merge_implIS3_NS6_6detail15normal_iteratorINS6_10device_ptrIjEEEENSD_INSE_IS9_EEEEjNS1_19radix_merge_compareILb0ELb0EjNS0_19identity_decomposerEEEEE10hipError_tT0_T1_T2_jT3_P12ihipStream_tbPNSt15iterator_traitsISN_E10value_typeEPNST_ISO_E10value_typeEPSP_NS1_7vsmem_tEENKUlT_SN_SO_SP_E_clISG_PjSI_PS9_EESM_S12_SN_SO_SP_EUlS12_E_NS1_11comp_targetILNS1_3genE4ELNS1_11target_archE910ELNS1_3gpuE8ELNS1_3repE0EEENS1_48merge_mergepath_partition_config_static_selectorELNS0_4arch9wavefront6targetE0EEEvSO_.has_dyn_sized_stack, 0
	.set _ZN7rocprim17ROCPRIM_400000_NS6detail17trampoline_kernelINS0_14default_configENS1_38merge_sort_block_merge_config_selectorIjN6thrust23THRUST_200600_302600_NS5tupleIffNS6_9null_typeES8_S8_S8_S8_S8_S8_S8_EEEEZZNS1_27merge_sort_block_merge_implIS3_NS6_6detail15normal_iteratorINS6_10device_ptrIjEEEENSD_INSE_IS9_EEEEjNS1_19radix_merge_compareILb0ELb0EjNS0_19identity_decomposerEEEEE10hipError_tT0_T1_T2_jT3_P12ihipStream_tbPNSt15iterator_traitsISN_E10value_typeEPNST_ISO_E10value_typeEPSP_NS1_7vsmem_tEENKUlT_SN_SO_SP_E_clISG_PjSI_PS9_EESM_S12_SN_SO_SP_EUlS12_E_NS1_11comp_targetILNS1_3genE4ELNS1_11target_archE910ELNS1_3gpuE8ELNS1_3repE0EEENS1_48merge_mergepath_partition_config_static_selectorELNS0_4arch9wavefront6targetE0EEEvSO_.has_recursion, 0
	.set _ZN7rocprim17ROCPRIM_400000_NS6detail17trampoline_kernelINS0_14default_configENS1_38merge_sort_block_merge_config_selectorIjN6thrust23THRUST_200600_302600_NS5tupleIffNS6_9null_typeES8_S8_S8_S8_S8_S8_S8_EEEEZZNS1_27merge_sort_block_merge_implIS3_NS6_6detail15normal_iteratorINS6_10device_ptrIjEEEENSD_INSE_IS9_EEEEjNS1_19radix_merge_compareILb0ELb0EjNS0_19identity_decomposerEEEEE10hipError_tT0_T1_T2_jT3_P12ihipStream_tbPNSt15iterator_traitsISN_E10value_typeEPNST_ISO_E10value_typeEPSP_NS1_7vsmem_tEENKUlT_SN_SO_SP_E_clISG_PjSI_PS9_EESM_S12_SN_SO_SP_EUlS12_E_NS1_11comp_targetILNS1_3genE4ELNS1_11target_archE910ELNS1_3gpuE8ELNS1_3repE0EEENS1_48merge_mergepath_partition_config_static_selectorELNS0_4arch9wavefront6targetE0EEEvSO_.has_indirect_call, 0
	.section	.AMDGPU.csdata,"",@progbits
; Kernel info:
; codeLenInByte = 0
; TotalNumSgprs: 0
; NumVgprs: 0
; ScratchSize: 0
; MemoryBound: 0
; FloatMode: 240
; IeeeMode: 1
; LDSByteSize: 0 bytes/workgroup (compile time only)
; SGPRBlocks: 0
; VGPRBlocks: 0
; NumSGPRsForWavesPerEU: 1
; NumVGPRsForWavesPerEU: 1
; Occupancy: 16
; WaveLimiterHint : 0
; COMPUTE_PGM_RSRC2:SCRATCH_EN: 0
; COMPUTE_PGM_RSRC2:USER_SGPR: 2
; COMPUTE_PGM_RSRC2:TRAP_HANDLER: 0
; COMPUTE_PGM_RSRC2:TGID_X_EN: 1
; COMPUTE_PGM_RSRC2:TGID_Y_EN: 0
; COMPUTE_PGM_RSRC2:TGID_Z_EN: 0
; COMPUTE_PGM_RSRC2:TIDIG_COMP_CNT: 0
	.section	.text._ZN7rocprim17ROCPRIM_400000_NS6detail17trampoline_kernelINS0_14default_configENS1_38merge_sort_block_merge_config_selectorIjN6thrust23THRUST_200600_302600_NS5tupleIffNS6_9null_typeES8_S8_S8_S8_S8_S8_S8_EEEEZZNS1_27merge_sort_block_merge_implIS3_NS6_6detail15normal_iteratorINS6_10device_ptrIjEEEENSD_INSE_IS9_EEEEjNS1_19radix_merge_compareILb0ELb0EjNS0_19identity_decomposerEEEEE10hipError_tT0_T1_T2_jT3_P12ihipStream_tbPNSt15iterator_traitsISN_E10value_typeEPNST_ISO_E10value_typeEPSP_NS1_7vsmem_tEENKUlT_SN_SO_SP_E_clISG_PjSI_PS9_EESM_S12_SN_SO_SP_EUlS12_E_NS1_11comp_targetILNS1_3genE3ELNS1_11target_archE908ELNS1_3gpuE7ELNS1_3repE0EEENS1_48merge_mergepath_partition_config_static_selectorELNS0_4arch9wavefront6targetE0EEEvSO_,"axG",@progbits,_ZN7rocprim17ROCPRIM_400000_NS6detail17trampoline_kernelINS0_14default_configENS1_38merge_sort_block_merge_config_selectorIjN6thrust23THRUST_200600_302600_NS5tupleIffNS6_9null_typeES8_S8_S8_S8_S8_S8_S8_EEEEZZNS1_27merge_sort_block_merge_implIS3_NS6_6detail15normal_iteratorINS6_10device_ptrIjEEEENSD_INSE_IS9_EEEEjNS1_19radix_merge_compareILb0ELb0EjNS0_19identity_decomposerEEEEE10hipError_tT0_T1_T2_jT3_P12ihipStream_tbPNSt15iterator_traitsISN_E10value_typeEPNST_ISO_E10value_typeEPSP_NS1_7vsmem_tEENKUlT_SN_SO_SP_E_clISG_PjSI_PS9_EESM_S12_SN_SO_SP_EUlS12_E_NS1_11comp_targetILNS1_3genE3ELNS1_11target_archE908ELNS1_3gpuE7ELNS1_3repE0EEENS1_48merge_mergepath_partition_config_static_selectorELNS0_4arch9wavefront6targetE0EEEvSO_,comdat
	.protected	_ZN7rocprim17ROCPRIM_400000_NS6detail17trampoline_kernelINS0_14default_configENS1_38merge_sort_block_merge_config_selectorIjN6thrust23THRUST_200600_302600_NS5tupleIffNS6_9null_typeES8_S8_S8_S8_S8_S8_S8_EEEEZZNS1_27merge_sort_block_merge_implIS3_NS6_6detail15normal_iteratorINS6_10device_ptrIjEEEENSD_INSE_IS9_EEEEjNS1_19radix_merge_compareILb0ELb0EjNS0_19identity_decomposerEEEEE10hipError_tT0_T1_T2_jT3_P12ihipStream_tbPNSt15iterator_traitsISN_E10value_typeEPNST_ISO_E10value_typeEPSP_NS1_7vsmem_tEENKUlT_SN_SO_SP_E_clISG_PjSI_PS9_EESM_S12_SN_SO_SP_EUlS12_E_NS1_11comp_targetILNS1_3genE3ELNS1_11target_archE908ELNS1_3gpuE7ELNS1_3repE0EEENS1_48merge_mergepath_partition_config_static_selectorELNS0_4arch9wavefront6targetE0EEEvSO_ ; -- Begin function _ZN7rocprim17ROCPRIM_400000_NS6detail17trampoline_kernelINS0_14default_configENS1_38merge_sort_block_merge_config_selectorIjN6thrust23THRUST_200600_302600_NS5tupleIffNS6_9null_typeES8_S8_S8_S8_S8_S8_S8_EEEEZZNS1_27merge_sort_block_merge_implIS3_NS6_6detail15normal_iteratorINS6_10device_ptrIjEEEENSD_INSE_IS9_EEEEjNS1_19radix_merge_compareILb0ELb0EjNS0_19identity_decomposerEEEEE10hipError_tT0_T1_T2_jT3_P12ihipStream_tbPNSt15iterator_traitsISN_E10value_typeEPNST_ISO_E10value_typeEPSP_NS1_7vsmem_tEENKUlT_SN_SO_SP_E_clISG_PjSI_PS9_EESM_S12_SN_SO_SP_EUlS12_E_NS1_11comp_targetILNS1_3genE3ELNS1_11target_archE908ELNS1_3gpuE7ELNS1_3repE0EEENS1_48merge_mergepath_partition_config_static_selectorELNS0_4arch9wavefront6targetE0EEEvSO_
	.globl	_ZN7rocprim17ROCPRIM_400000_NS6detail17trampoline_kernelINS0_14default_configENS1_38merge_sort_block_merge_config_selectorIjN6thrust23THRUST_200600_302600_NS5tupleIffNS6_9null_typeES8_S8_S8_S8_S8_S8_S8_EEEEZZNS1_27merge_sort_block_merge_implIS3_NS6_6detail15normal_iteratorINS6_10device_ptrIjEEEENSD_INSE_IS9_EEEEjNS1_19radix_merge_compareILb0ELb0EjNS0_19identity_decomposerEEEEE10hipError_tT0_T1_T2_jT3_P12ihipStream_tbPNSt15iterator_traitsISN_E10value_typeEPNST_ISO_E10value_typeEPSP_NS1_7vsmem_tEENKUlT_SN_SO_SP_E_clISG_PjSI_PS9_EESM_S12_SN_SO_SP_EUlS12_E_NS1_11comp_targetILNS1_3genE3ELNS1_11target_archE908ELNS1_3gpuE7ELNS1_3repE0EEENS1_48merge_mergepath_partition_config_static_selectorELNS0_4arch9wavefront6targetE0EEEvSO_
	.p2align	8
	.type	_ZN7rocprim17ROCPRIM_400000_NS6detail17trampoline_kernelINS0_14default_configENS1_38merge_sort_block_merge_config_selectorIjN6thrust23THRUST_200600_302600_NS5tupleIffNS6_9null_typeES8_S8_S8_S8_S8_S8_S8_EEEEZZNS1_27merge_sort_block_merge_implIS3_NS6_6detail15normal_iteratorINS6_10device_ptrIjEEEENSD_INSE_IS9_EEEEjNS1_19radix_merge_compareILb0ELb0EjNS0_19identity_decomposerEEEEE10hipError_tT0_T1_T2_jT3_P12ihipStream_tbPNSt15iterator_traitsISN_E10value_typeEPNST_ISO_E10value_typeEPSP_NS1_7vsmem_tEENKUlT_SN_SO_SP_E_clISG_PjSI_PS9_EESM_S12_SN_SO_SP_EUlS12_E_NS1_11comp_targetILNS1_3genE3ELNS1_11target_archE908ELNS1_3gpuE7ELNS1_3repE0EEENS1_48merge_mergepath_partition_config_static_selectorELNS0_4arch9wavefront6targetE0EEEvSO_,@function
_ZN7rocprim17ROCPRIM_400000_NS6detail17trampoline_kernelINS0_14default_configENS1_38merge_sort_block_merge_config_selectorIjN6thrust23THRUST_200600_302600_NS5tupleIffNS6_9null_typeES8_S8_S8_S8_S8_S8_S8_EEEEZZNS1_27merge_sort_block_merge_implIS3_NS6_6detail15normal_iteratorINS6_10device_ptrIjEEEENSD_INSE_IS9_EEEEjNS1_19radix_merge_compareILb0ELb0EjNS0_19identity_decomposerEEEEE10hipError_tT0_T1_T2_jT3_P12ihipStream_tbPNSt15iterator_traitsISN_E10value_typeEPNST_ISO_E10value_typeEPSP_NS1_7vsmem_tEENKUlT_SN_SO_SP_E_clISG_PjSI_PS9_EESM_S12_SN_SO_SP_EUlS12_E_NS1_11comp_targetILNS1_3genE3ELNS1_11target_archE908ELNS1_3gpuE7ELNS1_3repE0EEENS1_48merge_mergepath_partition_config_static_selectorELNS0_4arch9wavefront6targetE0EEEvSO_: ; @_ZN7rocprim17ROCPRIM_400000_NS6detail17trampoline_kernelINS0_14default_configENS1_38merge_sort_block_merge_config_selectorIjN6thrust23THRUST_200600_302600_NS5tupleIffNS6_9null_typeES8_S8_S8_S8_S8_S8_S8_EEEEZZNS1_27merge_sort_block_merge_implIS3_NS6_6detail15normal_iteratorINS6_10device_ptrIjEEEENSD_INSE_IS9_EEEEjNS1_19radix_merge_compareILb0ELb0EjNS0_19identity_decomposerEEEEE10hipError_tT0_T1_T2_jT3_P12ihipStream_tbPNSt15iterator_traitsISN_E10value_typeEPNST_ISO_E10value_typeEPSP_NS1_7vsmem_tEENKUlT_SN_SO_SP_E_clISG_PjSI_PS9_EESM_S12_SN_SO_SP_EUlS12_E_NS1_11comp_targetILNS1_3genE3ELNS1_11target_archE908ELNS1_3gpuE7ELNS1_3repE0EEENS1_48merge_mergepath_partition_config_static_selectorELNS0_4arch9wavefront6targetE0EEEvSO_
; %bb.0:
	.section	.rodata,"a",@progbits
	.p2align	6, 0x0
	.amdhsa_kernel _ZN7rocprim17ROCPRIM_400000_NS6detail17trampoline_kernelINS0_14default_configENS1_38merge_sort_block_merge_config_selectorIjN6thrust23THRUST_200600_302600_NS5tupleIffNS6_9null_typeES8_S8_S8_S8_S8_S8_S8_EEEEZZNS1_27merge_sort_block_merge_implIS3_NS6_6detail15normal_iteratorINS6_10device_ptrIjEEEENSD_INSE_IS9_EEEEjNS1_19radix_merge_compareILb0ELb0EjNS0_19identity_decomposerEEEEE10hipError_tT0_T1_T2_jT3_P12ihipStream_tbPNSt15iterator_traitsISN_E10value_typeEPNST_ISO_E10value_typeEPSP_NS1_7vsmem_tEENKUlT_SN_SO_SP_E_clISG_PjSI_PS9_EESM_S12_SN_SO_SP_EUlS12_E_NS1_11comp_targetILNS1_3genE3ELNS1_11target_archE908ELNS1_3gpuE7ELNS1_3repE0EEENS1_48merge_mergepath_partition_config_static_selectorELNS0_4arch9wavefront6targetE0EEEvSO_
		.amdhsa_group_segment_fixed_size 0
		.amdhsa_private_segment_fixed_size 0
		.amdhsa_kernarg_size 40
		.amdhsa_user_sgpr_count 2
		.amdhsa_user_sgpr_dispatch_ptr 0
		.amdhsa_user_sgpr_queue_ptr 0
		.amdhsa_user_sgpr_kernarg_segment_ptr 1
		.amdhsa_user_sgpr_dispatch_id 0
		.amdhsa_user_sgpr_private_segment_size 0
		.amdhsa_wavefront_size32 1
		.amdhsa_uses_dynamic_stack 0
		.amdhsa_enable_private_segment 0
		.amdhsa_system_sgpr_workgroup_id_x 1
		.amdhsa_system_sgpr_workgroup_id_y 0
		.amdhsa_system_sgpr_workgroup_id_z 0
		.amdhsa_system_sgpr_workgroup_info 0
		.amdhsa_system_vgpr_workitem_id 0
		.amdhsa_next_free_vgpr 1
		.amdhsa_next_free_sgpr 1
		.amdhsa_reserve_vcc 0
		.amdhsa_float_round_mode_32 0
		.amdhsa_float_round_mode_16_64 0
		.amdhsa_float_denorm_mode_32 3
		.amdhsa_float_denorm_mode_16_64 3
		.amdhsa_fp16_overflow 0
		.amdhsa_workgroup_processor_mode 1
		.amdhsa_memory_ordered 1
		.amdhsa_forward_progress 1
		.amdhsa_inst_pref_size 0
		.amdhsa_round_robin_scheduling 0
		.amdhsa_exception_fp_ieee_invalid_op 0
		.amdhsa_exception_fp_denorm_src 0
		.amdhsa_exception_fp_ieee_div_zero 0
		.amdhsa_exception_fp_ieee_overflow 0
		.amdhsa_exception_fp_ieee_underflow 0
		.amdhsa_exception_fp_ieee_inexact 0
		.amdhsa_exception_int_div_zero 0
	.end_amdhsa_kernel
	.section	.text._ZN7rocprim17ROCPRIM_400000_NS6detail17trampoline_kernelINS0_14default_configENS1_38merge_sort_block_merge_config_selectorIjN6thrust23THRUST_200600_302600_NS5tupleIffNS6_9null_typeES8_S8_S8_S8_S8_S8_S8_EEEEZZNS1_27merge_sort_block_merge_implIS3_NS6_6detail15normal_iteratorINS6_10device_ptrIjEEEENSD_INSE_IS9_EEEEjNS1_19radix_merge_compareILb0ELb0EjNS0_19identity_decomposerEEEEE10hipError_tT0_T1_T2_jT3_P12ihipStream_tbPNSt15iterator_traitsISN_E10value_typeEPNST_ISO_E10value_typeEPSP_NS1_7vsmem_tEENKUlT_SN_SO_SP_E_clISG_PjSI_PS9_EESM_S12_SN_SO_SP_EUlS12_E_NS1_11comp_targetILNS1_3genE3ELNS1_11target_archE908ELNS1_3gpuE7ELNS1_3repE0EEENS1_48merge_mergepath_partition_config_static_selectorELNS0_4arch9wavefront6targetE0EEEvSO_,"axG",@progbits,_ZN7rocprim17ROCPRIM_400000_NS6detail17trampoline_kernelINS0_14default_configENS1_38merge_sort_block_merge_config_selectorIjN6thrust23THRUST_200600_302600_NS5tupleIffNS6_9null_typeES8_S8_S8_S8_S8_S8_S8_EEEEZZNS1_27merge_sort_block_merge_implIS3_NS6_6detail15normal_iteratorINS6_10device_ptrIjEEEENSD_INSE_IS9_EEEEjNS1_19radix_merge_compareILb0ELb0EjNS0_19identity_decomposerEEEEE10hipError_tT0_T1_T2_jT3_P12ihipStream_tbPNSt15iterator_traitsISN_E10value_typeEPNST_ISO_E10value_typeEPSP_NS1_7vsmem_tEENKUlT_SN_SO_SP_E_clISG_PjSI_PS9_EESM_S12_SN_SO_SP_EUlS12_E_NS1_11comp_targetILNS1_3genE3ELNS1_11target_archE908ELNS1_3gpuE7ELNS1_3repE0EEENS1_48merge_mergepath_partition_config_static_selectorELNS0_4arch9wavefront6targetE0EEEvSO_,comdat
.Lfunc_end53:
	.size	_ZN7rocprim17ROCPRIM_400000_NS6detail17trampoline_kernelINS0_14default_configENS1_38merge_sort_block_merge_config_selectorIjN6thrust23THRUST_200600_302600_NS5tupleIffNS6_9null_typeES8_S8_S8_S8_S8_S8_S8_EEEEZZNS1_27merge_sort_block_merge_implIS3_NS6_6detail15normal_iteratorINS6_10device_ptrIjEEEENSD_INSE_IS9_EEEEjNS1_19radix_merge_compareILb0ELb0EjNS0_19identity_decomposerEEEEE10hipError_tT0_T1_T2_jT3_P12ihipStream_tbPNSt15iterator_traitsISN_E10value_typeEPNST_ISO_E10value_typeEPSP_NS1_7vsmem_tEENKUlT_SN_SO_SP_E_clISG_PjSI_PS9_EESM_S12_SN_SO_SP_EUlS12_E_NS1_11comp_targetILNS1_3genE3ELNS1_11target_archE908ELNS1_3gpuE7ELNS1_3repE0EEENS1_48merge_mergepath_partition_config_static_selectorELNS0_4arch9wavefront6targetE0EEEvSO_, .Lfunc_end53-_ZN7rocprim17ROCPRIM_400000_NS6detail17trampoline_kernelINS0_14default_configENS1_38merge_sort_block_merge_config_selectorIjN6thrust23THRUST_200600_302600_NS5tupleIffNS6_9null_typeES8_S8_S8_S8_S8_S8_S8_EEEEZZNS1_27merge_sort_block_merge_implIS3_NS6_6detail15normal_iteratorINS6_10device_ptrIjEEEENSD_INSE_IS9_EEEEjNS1_19radix_merge_compareILb0ELb0EjNS0_19identity_decomposerEEEEE10hipError_tT0_T1_T2_jT3_P12ihipStream_tbPNSt15iterator_traitsISN_E10value_typeEPNST_ISO_E10value_typeEPSP_NS1_7vsmem_tEENKUlT_SN_SO_SP_E_clISG_PjSI_PS9_EESM_S12_SN_SO_SP_EUlS12_E_NS1_11comp_targetILNS1_3genE3ELNS1_11target_archE908ELNS1_3gpuE7ELNS1_3repE0EEENS1_48merge_mergepath_partition_config_static_selectorELNS0_4arch9wavefront6targetE0EEEvSO_
                                        ; -- End function
	.set _ZN7rocprim17ROCPRIM_400000_NS6detail17trampoline_kernelINS0_14default_configENS1_38merge_sort_block_merge_config_selectorIjN6thrust23THRUST_200600_302600_NS5tupleIffNS6_9null_typeES8_S8_S8_S8_S8_S8_S8_EEEEZZNS1_27merge_sort_block_merge_implIS3_NS6_6detail15normal_iteratorINS6_10device_ptrIjEEEENSD_INSE_IS9_EEEEjNS1_19radix_merge_compareILb0ELb0EjNS0_19identity_decomposerEEEEE10hipError_tT0_T1_T2_jT3_P12ihipStream_tbPNSt15iterator_traitsISN_E10value_typeEPNST_ISO_E10value_typeEPSP_NS1_7vsmem_tEENKUlT_SN_SO_SP_E_clISG_PjSI_PS9_EESM_S12_SN_SO_SP_EUlS12_E_NS1_11comp_targetILNS1_3genE3ELNS1_11target_archE908ELNS1_3gpuE7ELNS1_3repE0EEENS1_48merge_mergepath_partition_config_static_selectorELNS0_4arch9wavefront6targetE0EEEvSO_.num_vgpr, 0
	.set _ZN7rocprim17ROCPRIM_400000_NS6detail17trampoline_kernelINS0_14default_configENS1_38merge_sort_block_merge_config_selectorIjN6thrust23THRUST_200600_302600_NS5tupleIffNS6_9null_typeES8_S8_S8_S8_S8_S8_S8_EEEEZZNS1_27merge_sort_block_merge_implIS3_NS6_6detail15normal_iteratorINS6_10device_ptrIjEEEENSD_INSE_IS9_EEEEjNS1_19radix_merge_compareILb0ELb0EjNS0_19identity_decomposerEEEEE10hipError_tT0_T1_T2_jT3_P12ihipStream_tbPNSt15iterator_traitsISN_E10value_typeEPNST_ISO_E10value_typeEPSP_NS1_7vsmem_tEENKUlT_SN_SO_SP_E_clISG_PjSI_PS9_EESM_S12_SN_SO_SP_EUlS12_E_NS1_11comp_targetILNS1_3genE3ELNS1_11target_archE908ELNS1_3gpuE7ELNS1_3repE0EEENS1_48merge_mergepath_partition_config_static_selectorELNS0_4arch9wavefront6targetE0EEEvSO_.num_agpr, 0
	.set _ZN7rocprim17ROCPRIM_400000_NS6detail17trampoline_kernelINS0_14default_configENS1_38merge_sort_block_merge_config_selectorIjN6thrust23THRUST_200600_302600_NS5tupleIffNS6_9null_typeES8_S8_S8_S8_S8_S8_S8_EEEEZZNS1_27merge_sort_block_merge_implIS3_NS6_6detail15normal_iteratorINS6_10device_ptrIjEEEENSD_INSE_IS9_EEEEjNS1_19radix_merge_compareILb0ELb0EjNS0_19identity_decomposerEEEEE10hipError_tT0_T1_T2_jT3_P12ihipStream_tbPNSt15iterator_traitsISN_E10value_typeEPNST_ISO_E10value_typeEPSP_NS1_7vsmem_tEENKUlT_SN_SO_SP_E_clISG_PjSI_PS9_EESM_S12_SN_SO_SP_EUlS12_E_NS1_11comp_targetILNS1_3genE3ELNS1_11target_archE908ELNS1_3gpuE7ELNS1_3repE0EEENS1_48merge_mergepath_partition_config_static_selectorELNS0_4arch9wavefront6targetE0EEEvSO_.numbered_sgpr, 0
	.set _ZN7rocprim17ROCPRIM_400000_NS6detail17trampoline_kernelINS0_14default_configENS1_38merge_sort_block_merge_config_selectorIjN6thrust23THRUST_200600_302600_NS5tupleIffNS6_9null_typeES8_S8_S8_S8_S8_S8_S8_EEEEZZNS1_27merge_sort_block_merge_implIS3_NS6_6detail15normal_iteratorINS6_10device_ptrIjEEEENSD_INSE_IS9_EEEEjNS1_19radix_merge_compareILb0ELb0EjNS0_19identity_decomposerEEEEE10hipError_tT0_T1_T2_jT3_P12ihipStream_tbPNSt15iterator_traitsISN_E10value_typeEPNST_ISO_E10value_typeEPSP_NS1_7vsmem_tEENKUlT_SN_SO_SP_E_clISG_PjSI_PS9_EESM_S12_SN_SO_SP_EUlS12_E_NS1_11comp_targetILNS1_3genE3ELNS1_11target_archE908ELNS1_3gpuE7ELNS1_3repE0EEENS1_48merge_mergepath_partition_config_static_selectorELNS0_4arch9wavefront6targetE0EEEvSO_.num_named_barrier, 0
	.set _ZN7rocprim17ROCPRIM_400000_NS6detail17trampoline_kernelINS0_14default_configENS1_38merge_sort_block_merge_config_selectorIjN6thrust23THRUST_200600_302600_NS5tupleIffNS6_9null_typeES8_S8_S8_S8_S8_S8_S8_EEEEZZNS1_27merge_sort_block_merge_implIS3_NS6_6detail15normal_iteratorINS6_10device_ptrIjEEEENSD_INSE_IS9_EEEEjNS1_19radix_merge_compareILb0ELb0EjNS0_19identity_decomposerEEEEE10hipError_tT0_T1_T2_jT3_P12ihipStream_tbPNSt15iterator_traitsISN_E10value_typeEPNST_ISO_E10value_typeEPSP_NS1_7vsmem_tEENKUlT_SN_SO_SP_E_clISG_PjSI_PS9_EESM_S12_SN_SO_SP_EUlS12_E_NS1_11comp_targetILNS1_3genE3ELNS1_11target_archE908ELNS1_3gpuE7ELNS1_3repE0EEENS1_48merge_mergepath_partition_config_static_selectorELNS0_4arch9wavefront6targetE0EEEvSO_.private_seg_size, 0
	.set _ZN7rocprim17ROCPRIM_400000_NS6detail17trampoline_kernelINS0_14default_configENS1_38merge_sort_block_merge_config_selectorIjN6thrust23THRUST_200600_302600_NS5tupleIffNS6_9null_typeES8_S8_S8_S8_S8_S8_S8_EEEEZZNS1_27merge_sort_block_merge_implIS3_NS6_6detail15normal_iteratorINS6_10device_ptrIjEEEENSD_INSE_IS9_EEEEjNS1_19radix_merge_compareILb0ELb0EjNS0_19identity_decomposerEEEEE10hipError_tT0_T1_T2_jT3_P12ihipStream_tbPNSt15iterator_traitsISN_E10value_typeEPNST_ISO_E10value_typeEPSP_NS1_7vsmem_tEENKUlT_SN_SO_SP_E_clISG_PjSI_PS9_EESM_S12_SN_SO_SP_EUlS12_E_NS1_11comp_targetILNS1_3genE3ELNS1_11target_archE908ELNS1_3gpuE7ELNS1_3repE0EEENS1_48merge_mergepath_partition_config_static_selectorELNS0_4arch9wavefront6targetE0EEEvSO_.uses_vcc, 0
	.set _ZN7rocprim17ROCPRIM_400000_NS6detail17trampoline_kernelINS0_14default_configENS1_38merge_sort_block_merge_config_selectorIjN6thrust23THRUST_200600_302600_NS5tupleIffNS6_9null_typeES8_S8_S8_S8_S8_S8_S8_EEEEZZNS1_27merge_sort_block_merge_implIS3_NS6_6detail15normal_iteratorINS6_10device_ptrIjEEEENSD_INSE_IS9_EEEEjNS1_19radix_merge_compareILb0ELb0EjNS0_19identity_decomposerEEEEE10hipError_tT0_T1_T2_jT3_P12ihipStream_tbPNSt15iterator_traitsISN_E10value_typeEPNST_ISO_E10value_typeEPSP_NS1_7vsmem_tEENKUlT_SN_SO_SP_E_clISG_PjSI_PS9_EESM_S12_SN_SO_SP_EUlS12_E_NS1_11comp_targetILNS1_3genE3ELNS1_11target_archE908ELNS1_3gpuE7ELNS1_3repE0EEENS1_48merge_mergepath_partition_config_static_selectorELNS0_4arch9wavefront6targetE0EEEvSO_.uses_flat_scratch, 0
	.set _ZN7rocprim17ROCPRIM_400000_NS6detail17trampoline_kernelINS0_14default_configENS1_38merge_sort_block_merge_config_selectorIjN6thrust23THRUST_200600_302600_NS5tupleIffNS6_9null_typeES8_S8_S8_S8_S8_S8_S8_EEEEZZNS1_27merge_sort_block_merge_implIS3_NS6_6detail15normal_iteratorINS6_10device_ptrIjEEEENSD_INSE_IS9_EEEEjNS1_19radix_merge_compareILb0ELb0EjNS0_19identity_decomposerEEEEE10hipError_tT0_T1_T2_jT3_P12ihipStream_tbPNSt15iterator_traitsISN_E10value_typeEPNST_ISO_E10value_typeEPSP_NS1_7vsmem_tEENKUlT_SN_SO_SP_E_clISG_PjSI_PS9_EESM_S12_SN_SO_SP_EUlS12_E_NS1_11comp_targetILNS1_3genE3ELNS1_11target_archE908ELNS1_3gpuE7ELNS1_3repE0EEENS1_48merge_mergepath_partition_config_static_selectorELNS0_4arch9wavefront6targetE0EEEvSO_.has_dyn_sized_stack, 0
	.set _ZN7rocprim17ROCPRIM_400000_NS6detail17trampoline_kernelINS0_14default_configENS1_38merge_sort_block_merge_config_selectorIjN6thrust23THRUST_200600_302600_NS5tupleIffNS6_9null_typeES8_S8_S8_S8_S8_S8_S8_EEEEZZNS1_27merge_sort_block_merge_implIS3_NS6_6detail15normal_iteratorINS6_10device_ptrIjEEEENSD_INSE_IS9_EEEEjNS1_19radix_merge_compareILb0ELb0EjNS0_19identity_decomposerEEEEE10hipError_tT0_T1_T2_jT3_P12ihipStream_tbPNSt15iterator_traitsISN_E10value_typeEPNST_ISO_E10value_typeEPSP_NS1_7vsmem_tEENKUlT_SN_SO_SP_E_clISG_PjSI_PS9_EESM_S12_SN_SO_SP_EUlS12_E_NS1_11comp_targetILNS1_3genE3ELNS1_11target_archE908ELNS1_3gpuE7ELNS1_3repE0EEENS1_48merge_mergepath_partition_config_static_selectorELNS0_4arch9wavefront6targetE0EEEvSO_.has_recursion, 0
	.set _ZN7rocprim17ROCPRIM_400000_NS6detail17trampoline_kernelINS0_14default_configENS1_38merge_sort_block_merge_config_selectorIjN6thrust23THRUST_200600_302600_NS5tupleIffNS6_9null_typeES8_S8_S8_S8_S8_S8_S8_EEEEZZNS1_27merge_sort_block_merge_implIS3_NS6_6detail15normal_iteratorINS6_10device_ptrIjEEEENSD_INSE_IS9_EEEEjNS1_19radix_merge_compareILb0ELb0EjNS0_19identity_decomposerEEEEE10hipError_tT0_T1_T2_jT3_P12ihipStream_tbPNSt15iterator_traitsISN_E10value_typeEPNST_ISO_E10value_typeEPSP_NS1_7vsmem_tEENKUlT_SN_SO_SP_E_clISG_PjSI_PS9_EESM_S12_SN_SO_SP_EUlS12_E_NS1_11comp_targetILNS1_3genE3ELNS1_11target_archE908ELNS1_3gpuE7ELNS1_3repE0EEENS1_48merge_mergepath_partition_config_static_selectorELNS0_4arch9wavefront6targetE0EEEvSO_.has_indirect_call, 0
	.section	.AMDGPU.csdata,"",@progbits
; Kernel info:
; codeLenInByte = 0
; TotalNumSgprs: 0
; NumVgprs: 0
; ScratchSize: 0
; MemoryBound: 0
; FloatMode: 240
; IeeeMode: 1
; LDSByteSize: 0 bytes/workgroup (compile time only)
; SGPRBlocks: 0
; VGPRBlocks: 0
; NumSGPRsForWavesPerEU: 1
; NumVGPRsForWavesPerEU: 1
; Occupancy: 16
; WaveLimiterHint : 0
; COMPUTE_PGM_RSRC2:SCRATCH_EN: 0
; COMPUTE_PGM_RSRC2:USER_SGPR: 2
; COMPUTE_PGM_RSRC2:TRAP_HANDLER: 0
; COMPUTE_PGM_RSRC2:TGID_X_EN: 1
; COMPUTE_PGM_RSRC2:TGID_Y_EN: 0
; COMPUTE_PGM_RSRC2:TGID_Z_EN: 0
; COMPUTE_PGM_RSRC2:TIDIG_COMP_CNT: 0
	.section	.text._ZN7rocprim17ROCPRIM_400000_NS6detail17trampoline_kernelINS0_14default_configENS1_38merge_sort_block_merge_config_selectorIjN6thrust23THRUST_200600_302600_NS5tupleIffNS6_9null_typeES8_S8_S8_S8_S8_S8_S8_EEEEZZNS1_27merge_sort_block_merge_implIS3_NS6_6detail15normal_iteratorINS6_10device_ptrIjEEEENSD_INSE_IS9_EEEEjNS1_19radix_merge_compareILb0ELb0EjNS0_19identity_decomposerEEEEE10hipError_tT0_T1_T2_jT3_P12ihipStream_tbPNSt15iterator_traitsISN_E10value_typeEPNST_ISO_E10value_typeEPSP_NS1_7vsmem_tEENKUlT_SN_SO_SP_E_clISG_PjSI_PS9_EESM_S12_SN_SO_SP_EUlS12_E_NS1_11comp_targetILNS1_3genE2ELNS1_11target_archE906ELNS1_3gpuE6ELNS1_3repE0EEENS1_48merge_mergepath_partition_config_static_selectorELNS0_4arch9wavefront6targetE0EEEvSO_,"axG",@progbits,_ZN7rocprim17ROCPRIM_400000_NS6detail17trampoline_kernelINS0_14default_configENS1_38merge_sort_block_merge_config_selectorIjN6thrust23THRUST_200600_302600_NS5tupleIffNS6_9null_typeES8_S8_S8_S8_S8_S8_S8_EEEEZZNS1_27merge_sort_block_merge_implIS3_NS6_6detail15normal_iteratorINS6_10device_ptrIjEEEENSD_INSE_IS9_EEEEjNS1_19radix_merge_compareILb0ELb0EjNS0_19identity_decomposerEEEEE10hipError_tT0_T1_T2_jT3_P12ihipStream_tbPNSt15iterator_traitsISN_E10value_typeEPNST_ISO_E10value_typeEPSP_NS1_7vsmem_tEENKUlT_SN_SO_SP_E_clISG_PjSI_PS9_EESM_S12_SN_SO_SP_EUlS12_E_NS1_11comp_targetILNS1_3genE2ELNS1_11target_archE906ELNS1_3gpuE6ELNS1_3repE0EEENS1_48merge_mergepath_partition_config_static_selectorELNS0_4arch9wavefront6targetE0EEEvSO_,comdat
	.protected	_ZN7rocprim17ROCPRIM_400000_NS6detail17trampoline_kernelINS0_14default_configENS1_38merge_sort_block_merge_config_selectorIjN6thrust23THRUST_200600_302600_NS5tupleIffNS6_9null_typeES8_S8_S8_S8_S8_S8_S8_EEEEZZNS1_27merge_sort_block_merge_implIS3_NS6_6detail15normal_iteratorINS6_10device_ptrIjEEEENSD_INSE_IS9_EEEEjNS1_19radix_merge_compareILb0ELb0EjNS0_19identity_decomposerEEEEE10hipError_tT0_T1_T2_jT3_P12ihipStream_tbPNSt15iterator_traitsISN_E10value_typeEPNST_ISO_E10value_typeEPSP_NS1_7vsmem_tEENKUlT_SN_SO_SP_E_clISG_PjSI_PS9_EESM_S12_SN_SO_SP_EUlS12_E_NS1_11comp_targetILNS1_3genE2ELNS1_11target_archE906ELNS1_3gpuE6ELNS1_3repE0EEENS1_48merge_mergepath_partition_config_static_selectorELNS0_4arch9wavefront6targetE0EEEvSO_ ; -- Begin function _ZN7rocprim17ROCPRIM_400000_NS6detail17trampoline_kernelINS0_14default_configENS1_38merge_sort_block_merge_config_selectorIjN6thrust23THRUST_200600_302600_NS5tupleIffNS6_9null_typeES8_S8_S8_S8_S8_S8_S8_EEEEZZNS1_27merge_sort_block_merge_implIS3_NS6_6detail15normal_iteratorINS6_10device_ptrIjEEEENSD_INSE_IS9_EEEEjNS1_19radix_merge_compareILb0ELb0EjNS0_19identity_decomposerEEEEE10hipError_tT0_T1_T2_jT3_P12ihipStream_tbPNSt15iterator_traitsISN_E10value_typeEPNST_ISO_E10value_typeEPSP_NS1_7vsmem_tEENKUlT_SN_SO_SP_E_clISG_PjSI_PS9_EESM_S12_SN_SO_SP_EUlS12_E_NS1_11comp_targetILNS1_3genE2ELNS1_11target_archE906ELNS1_3gpuE6ELNS1_3repE0EEENS1_48merge_mergepath_partition_config_static_selectorELNS0_4arch9wavefront6targetE0EEEvSO_
	.globl	_ZN7rocprim17ROCPRIM_400000_NS6detail17trampoline_kernelINS0_14default_configENS1_38merge_sort_block_merge_config_selectorIjN6thrust23THRUST_200600_302600_NS5tupleIffNS6_9null_typeES8_S8_S8_S8_S8_S8_S8_EEEEZZNS1_27merge_sort_block_merge_implIS3_NS6_6detail15normal_iteratorINS6_10device_ptrIjEEEENSD_INSE_IS9_EEEEjNS1_19radix_merge_compareILb0ELb0EjNS0_19identity_decomposerEEEEE10hipError_tT0_T1_T2_jT3_P12ihipStream_tbPNSt15iterator_traitsISN_E10value_typeEPNST_ISO_E10value_typeEPSP_NS1_7vsmem_tEENKUlT_SN_SO_SP_E_clISG_PjSI_PS9_EESM_S12_SN_SO_SP_EUlS12_E_NS1_11comp_targetILNS1_3genE2ELNS1_11target_archE906ELNS1_3gpuE6ELNS1_3repE0EEENS1_48merge_mergepath_partition_config_static_selectorELNS0_4arch9wavefront6targetE0EEEvSO_
	.p2align	8
	.type	_ZN7rocprim17ROCPRIM_400000_NS6detail17trampoline_kernelINS0_14default_configENS1_38merge_sort_block_merge_config_selectorIjN6thrust23THRUST_200600_302600_NS5tupleIffNS6_9null_typeES8_S8_S8_S8_S8_S8_S8_EEEEZZNS1_27merge_sort_block_merge_implIS3_NS6_6detail15normal_iteratorINS6_10device_ptrIjEEEENSD_INSE_IS9_EEEEjNS1_19radix_merge_compareILb0ELb0EjNS0_19identity_decomposerEEEEE10hipError_tT0_T1_T2_jT3_P12ihipStream_tbPNSt15iterator_traitsISN_E10value_typeEPNST_ISO_E10value_typeEPSP_NS1_7vsmem_tEENKUlT_SN_SO_SP_E_clISG_PjSI_PS9_EESM_S12_SN_SO_SP_EUlS12_E_NS1_11comp_targetILNS1_3genE2ELNS1_11target_archE906ELNS1_3gpuE6ELNS1_3repE0EEENS1_48merge_mergepath_partition_config_static_selectorELNS0_4arch9wavefront6targetE0EEEvSO_,@function
_ZN7rocprim17ROCPRIM_400000_NS6detail17trampoline_kernelINS0_14default_configENS1_38merge_sort_block_merge_config_selectorIjN6thrust23THRUST_200600_302600_NS5tupleIffNS6_9null_typeES8_S8_S8_S8_S8_S8_S8_EEEEZZNS1_27merge_sort_block_merge_implIS3_NS6_6detail15normal_iteratorINS6_10device_ptrIjEEEENSD_INSE_IS9_EEEEjNS1_19radix_merge_compareILb0ELb0EjNS0_19identity_decomposerEEEEE10hipError_tT0_T1_T2_jT3_P12ihipStream_tbPNSt15iterator_traitsISN_E10value_typeEPNST_ISO_E10value_typeEPSP_NS1_7vsmem_tEENKUlT_SN_SO_SP_E_clISG_PjSI_PS9_EESM_S12_SN_SO_SP_EUlS12_E_NS1_11comp_targetILNS1_3genE2ELNS1_11target_archE906ELNS1_3gpuE6ELNS1_3repE0EEENS1_48merge_mergepath_partition_config_static_selectorELNS0_4arch9wavefront6targetE0EEEvSO_: ; @_ZN7rocprim17ROCPRIM_400000_NS6detail17trampoline_kernelINS0_14default_configENS1_38merge_sort_block_merge_config_selectorIjN6thrust23THRUST_200600_302600_NS5tupleIffNS6_9null_typeES8_S8_S8_S8_S8_S8_S8_EEEEZZNS1_27merge_sort_block_merge_implIS3_NS6_6detail15normal_iteratorINS6_10device_ptrIjEEEENSD_INSE_IS9_EEEEjNS1_19radix_merge_compareILb0ELb0EjNS0_19identity_decomposerEEEEE10hipError_tT0_T1_T2_jT3_P12ihipStream_tbPNSt15iterator_traitsISN_E10value_typeEPNST_ISO_E10value_typeEPSP_NS1_7vsmem_tEENKUlT_SN_SO_SP_E_clISG_PjSI_PS9_EESM_S12_SN_SO_SP_EUlS12_E_NS1_11comp_targetILNS1_3genE2ELNS1_11target_archE906ELNS1_3gpuE6ELNS1_3repE0EEENS1_48merge_mergepath_partition_config_static_selectorELNS0_4arch9wavefront6targetE0EEEvSO_
; %bb.0:
	.section	.rodata,"a",@progbits
	.p2align	6, 0x0
	.amdhsa_kernel _ZN7rocprim17ROCPRIM_400000_NS6detail17trampoline_kernelINS0_14default_configENS1_38merge_sort_block_merge_config_selectorIjN6thrust23THRUST_200600_302600_NS5tupleIffNS6_9null_typeES8_S8_S8_S8_S8_S8_S8_EEEEZZNS1_27merge_sort_block_merge_implIS3_NS6_6detail15normal_iteratorINS6_10device_ptrIjEEEENSD_INSE_IS9_EEEEjNS1_19radix_merge_compareILb0ELb0EjNS0_19identity_decomposerEEEEE10hipError_tT0_T1_T2_jT3_P12ihipStream_tbPNSt15iterator_traitsISN_E10value_typeEPNST_ISO_E10value_typeEPSP_NS1_7vsmem_tEENKUlT_SN_SO_SP_E_clISG_PjSI_PS9_EESM_S12_SN_SO_SP_EUlS12_E_NS1_11comp_targetILNS1_3genE2ELNS1_11target_archE906ELNS1_3gpuE6ELNS1_3repE0EEENS1_48merge_mergepath_partition_config_static_selectorELNS0_4arch9wavefront6targetE0EEEvSO_
		.amdhsa_group_segment_fixed_size 0
		.amdhsa_private_segment_fixed_size 0
		.amdhsa_kernarg_size 40
		.amdhsa_user_sgpr_count 2
		.amdhsa_user_sgpr_dispatch_ptr 0
		.amdhsa_user_sgpr_queue_ptr 0
		.amdhsa_user_sgpr_kernarg_segment_ptr 1
		.amdhsa_user_sgpr_dispatch_id 0
		.amdhsa_user_sgpr_private_segment_size 0
		.amdhsa_wavefront_size32 1
		.amdhsa_uses_dynamic_stack 0
		.amdhsa_enable_private_segment 0
		.amdhsa_system_sgpr_workgroup_id_x 1
		.amdhsa_system_sgpr_workgroup_id_y 0
		.amdhsa_system_sgpr_workgroup_id_z 0
		.amdhsa_system_sgpr_workgroup_info 0
		.amdhsa_system_vgpr_workitem_id 0
		.amdhsa_next_free_vgpr 1
		.amdhsa_next_free_sgpr 1
		.amdhsa_reserve_vcc 0
		.amdhsa_float_round_mode_32 0
		.amdhsa_float_round_mode_16_64 0
		.amdhsa_float_denorm_mode_32 3
		.amdhsa_float_denorm_mode_16_64 3
		.amdhsa_fp16_overflow 0
		.amdhsa_workgroup_processor_mode 1
		.amdhsa_memory_ordered 1
		.amdhsa_forward_progress 1
		.amdhsa_inst_pref_size 0
		.amdhsa_round_robin_scheduling 0
		.amdhsa_exception_fp_ieee_invalid_op 0
		.amdhsa_exception_fp_denorm_src 0
		.amdhsa_exception_fp_ieee_div_zero 0
		.amdhsa_exception_fp_ieee_overflow 0
		.amdhsa_exception_fp_ieee_underflow 0
		.amdhsa_exception_fp_ieee_inexact 0
		.amdhsa_exception_int_div_zero 0
	.end_amdhsa_kernel
	.section	.text._ZN7rocprim17ROCPRIM_400000_NS6detail17trampoline_kernelINS0_14default_configENS1_38merge_sort_block_merge_config_selectorIjN6thrust23THRUST_200600_302600_NS5tupleIffNS6_9null_typeES8_S8_S8_S8_S8_S8_S8_EEEEZZNS1_27merge_sort_block_merge_implIS3_NS6_6detail15normal_iteratorINS6_10device_ptrIjEEEENSD_INSE_IS9_EEEEjNS1_19radix_merge_compareILb0ELb0EjNS0_19identity_decomposerEEEEE10hipError_tT0_T1_T2_jT3_P12ihipStream_tbPNSt15iterator_traitsISN_E10value_typeEPNST_ISO_E10value_typeEPSP_NS1_7vsmem_tEENKUlT_SN_SO_SP_E_clISG_PjSI_PS9_EESM_S12_SN_SO_SP_EUlS12_E_NS1_11comp_targetILNS1_3genE2ELNS1_11target_archE906ELNS1_3gpuE6ELNS1_3repE0EEENS1_48merge_mergepath_partition_config_static_selectorELNS0_4arch9wavefront6targetE0EEEvSO_,"axG",@progbits,_ZN7rocprim17ROCPRIM_400000_NS6detail17trampoline_kernelINS0_14default_configENS1_38merge_sort_block_merge_config_selectorIjN6thrust23THRUST_200600_302600_NS5tupleIffNS6_9null_typeES8_S8_S8_S8_S8_S8_S8_EEEEZZNS1_27merge_sort_block_merge_implIS3_NS6_6detail15normal_iteratorINS6_10device_ptrIjEEEENSD_INSE_IS9_EEEEjNS1_19radix_merge_compareILb0ELb0EjNS0_19identity_decomposerEEEEE10hipError_tT0_T1_T2_jT3_P12ihipStream_tbPNSt15iterator_traitsISN_E10value_typeEPNST_ISO_E10value_typeEPSP_NS1_7vsmem_tEENKUlT_SN_SO_SP_E_clISG_PjSI_PS9_EESM_S12_SN_SO_SP_EUlS12_E_NS1_11comp_targetILNS1_3genE2ELNS1_11target_archE906ELNS1_3gpuE6ELNS1_3repE0EEENS1_48merge_mergepath_partition_config_static_selectorELNS0_4arch9wavefront6targetE0EEEvSO_,comdat
.Lfunc_end54:
	.size	_ZN7rocprim17ROCPRIM_400000_NS6detail17trampoline_kernelINS0_14default_configENS1_38merge_sort_block_merge_config_selectorIjN6thrust23THRUST_200600_302600_NS5tupleIffNS6_9null_typeES8_S8_S8_S8_S8_S8_S8_EEEEZZNS1_27merge_sort_block_merge_implIS3_NS6_6detail15normal_iteratorINS6_10device_ptrIjEEEENSD_INSE_IS9_EEEEjNS1_19radix_merge_compareILb0ELb0EjNS0_19identity_decomposerEEEEE10hipError_tT0_T1_T2_jT3_P12ihipStream_tbPNSt15iterator_traitsISN_E10value_typeEPNST_ISO_E10value_typeEPSP_NS1_7vsmem_tEENKUlT_SN_SO_SP_E_clISG_PjSI_PS9_EESM_S12_SN_SO_SP_EUlS12_E_NS1_11comp_targetILNS1_3genE2ELNS1_11target_archE906ELNS1_3gpuE6ELNS1_3repE0EEENS1_48merge_mergepath_partition_config_static_selectorELNS0_4arch9wavefront6targetE0EEEvSO_, .Lfunc_end54-_ZN7rocprim17ROCPRIM_400000_NS6detail17trampoline_kernelINS0_14default_configENS1_38merge_sort_block_merge_config_selectorIjN6thrust23THRUST_200600_302600_NS5tupleIffNS6_9null_typeES8_S8_S8_S8_S8_S8_S8_EEEEZZNS1_27merge_sort_block_merge_implIS3_NS6_6detail15normal_iteratorINS6_10device_ptrIjEEEENSD_INSE_IS9_EEEEjNS1_19radix_merge_compareILb0ELb0EjNS0_19identity_decomposerEEEEE10hipError_tT0_T1_T2_jT3_P12ihipStream_tbPNSt15iterator_traitsISN_E10value_typeEPNST_ISO_E10value_typeEPSP_NS1_7vsmem_tEENKUlT_SN_SO_SP_E_clISG_PjSI_PS9_EESM_S12_SN_SO_SP_EUlS12_E_NS1_11comp_targetILNS1_3genE2ELNS1_11target_archE906ELNS1_3gpuE6ELNS1_3repE0EEENS1_48merge_mergepath_partition_config_static_selectorELNS0_4arch9wavefront6targetE0EEEvSO_
                                        ; -- End function
	.set _ZN7rocprim17ROCPRIM_400000_NS6detail17trampoline_kernelINS0_14default_configENS1_38merge_sort_block_merge_config_selectorIjN6thrust23THRUST_200600_302600_NS5tupleIffNS6_9null_typeES8_S8_S8_S8_S8_S8_S8_EEEEZZNS1_27merge_sort_block_merge_implIS3_NS6_6detail15normal_iteratorINS6_10device_ptrIjEEEENSD_INSE_IS9_EEEEjNS1_19radix_merge_compareILb0ELb0EjNS0_19identity_decomposerEEEEE10hipError_tT0_T1_T2_jT3_P12ihipStream_tbPNSt15iterator_traitsISN_E10value_typeEPNST_ISO_E10value_typeEPSP_NS1_7vsmem_tEENKUlT_SN_SO_SP_E_clISG_PjSI_PS9_EESM_S12_SN_SO_SP_EUlS12_E_NS1_11comp_targetILNS1_3genE2ELNS1_11target_archE906ELNS1_3gpuE6ELNS1_3repE0EEENS1_48merge_mergepath_partition_config_static_selectorELNS0_4arch9wavefront6targetE0EEEvSO_.num_vgpr, 0
	.set _ZN7rocprim17ROCPRIM_400000_NS6detail17trampoline_kernelINS0_14default_configENS1_38merge_sort_block_merge_config_selectorIjN6thrust23THRUST_200600_302600_NS5tupleIffNS6_9null_typeES8_S8_S8_S8_S8_S8_S8_EEEEZZNS1_27merge_sort_block_merge_implIS3_NS6_6detail15normal_iteratorINS6_10device_ptrIjEEEENSD_INSE_IS9_EEEEjNS1_19radix_merge_compareILb0ELb0EjNS0_19identity_decomposerEEEEE10hipError_tT0_T1_T2_jT3_P12ihipStream_tbPNSt15iterator_traitsISN_E10value_typeEPNST_ISO_E10value_typeEPSP_NS1_7vsmem_tEENKUlT_SN_SO_SP_E_clISG_PjSI_PS9_EESM_S12_SN_SO_SP_EUlS12_E_NS1_11comp_targetILNS1_3genE2ELNS1_11target_archE906ELNS1_3gpuE6ELNS1_3repE0EEENS1_48merge_mergepath_partition_config_static_selectorELNS0_4arch9wavefront6targetE0EEEvSO_.num_agpr, 0
	.set _ZN7rocprim17ROCPRIM_400000_NS6detail17trampoline_kernelINS0_14default_configENS1_38merge_sort_block_merge_config_selectorIjN6thrust23THRUST_200600_302600_NS5tupleIffNS6_9null_typeES8_S8_S8_S8_S8_S8_S8_EEEEZZNS1_27merge_sort_block_merge_implIS3_NS6_6detail15normal_iteratorINS6_10device_ptrIjEEEENSD_INSE_IS9_EEEEjNS1_19radix_merge_compareILb0ELb0EjNS0_19identity_decomposerEEEEE10hipError_tT0_T1_T2_jT3_P12ihipStream_tbPNSt15iterator_traitsISN_E10value_typeEPNST_ISO_E10value_typeEPSP_NS1_7vsmem_tEENKUlT_SN_SO_SP_E_clISG_PjSI_PS9_EESM_S12_SN_SO_SP_EUlS12_E_NS1_11comp_targetILNS1_3genE2ELNS1_11target_archE906ELNS1_3gpuE6ELNS1_3repE0EEENS1_48merge_mergepath_partition_config_static_selectorELNS0_4arch9wavefront6targetE0EEEvSO_.numbered_sgpr, 0
	.set _ZN7rocprim17ROCPRIM_400000_NS6detail17trampoline_kernelINS0_14default_configENS1_38merge_sort_block_merge_config_selectorIjN6thrust23THRUST_200600_302600_NS5tupleIffNS6_9null_typeES8_S8_S8_S8_S8_S8_S8_EEEEZZNS1_27merge_sort_block_merge_implIS3_NS6_6detail15normal_iteratorINS6_10device_ptrIjEEEENSD_INSE_IS9_EEEEjNS1_19radix_merge_compareILb0ELb0EjNS0_19identity_decomposerEEEEE10hipError_tT0_T1_T2_jT3_P12ihipStream_tbPNSt15iterator_traitsISN_E10value_typeEPNST_ISO_E10value_typeEPSP_NS1_7vsmem_tEENKUlT_SN_SO_SP_E_clISG_PjSI_PS9_EESM_S12_SN_SO_SP_EUlS12_E_NS1_11comp_targetILNS1_3genE2ELNS1_11target_archE906ELNS1_3gpuE6ELNS1_3repE0EEENS1_48merge_mergepath_partition_config_static_selectorELNS0_4arch9wavefront6targetE0EEEvSO_.num_named_barrier, 0
	.set _ZN7rocprim17ROCPRIM_400000_NS6detail17trampoline_kernelINS0_14default_configENS1_38merge_sort_block_merge_config_selectorIjN6thrust23THRUST_200600_302600_NS5tupleIffNS6_9null_typeES8_S8_S8_S8_S8_S8_S8_EEEEZZNS1_27merge_sort_block_merge_implIS3_NS6_6detail15normal_iteratorINS6_10device_ptrIjEEEENSD_INSE_IS9_EEEEjNS1_19radix_merge_compareILb0ELb0EjNS0_19identity_decomposerEEEEE10hipError_tT0_T1_T2_jT3_P12ihipStream_tbPNSt15iterator_traitsISN_E10value_typeEPNST_ISO_E10value_typeEPSP_NS1_7vsmem_tEENKUlT_SN_SO_SP_E_clISG_PjSI_PS9_EESM_S12_SN_SO_SP_EUlS12_E_NS1_11comp_targetILNS1_3genE2ELNS1_11target_archE906ELNS1_3gpuE6ELNS1_3repE0EEENS1_48merge_mergepath_partition_config_static_selectorELNS0_4arch9wavefront6targetE0EEEvSO_.private_seg_size, 0
	.set _ZN7rocprim17ROCPRIM_400000_NS6detail17trampoline_kernelINS0_14default_configENS1_38merge_sort_block_merge_config_selectorIjN6thrust23THRUST_200600_302600_NS5tupleIffNS6_9null_typeES8_S8_S8_S8_S8_S8_S8_EEEEZZNS1_27merge_sort_block_merge_implIS3_NS6_6detail15normal_iteratorINS6_10device_ptrIjEEEENSD_INSE_IS9_EEEEjNS1_19radix_merge_compareILb0ELb0EjNS0_19identity_decomposerEEEEE10hipError_tT0_T1_T2_jT3_P12ihipStream_tbPNSt15iterator_traitsISN_E10value_typeEPNST_ISO_E10value_typeEPSP_NS1_7vsmem_tEENKUlT_SN_SO_SP_E_clISG_PjSI_PS9_EESM_S12_SN_SO_SP_EUlS12_E_NS1_11comp_targetILNS1_3genE2ELNS1_11target_archE906ELNS1_3gpuE6ELNS1_3repE0EEENS1_48merge_mergepath_partition_config_static_selectorELNS0_4arch9wavefront6targetE0EEEvSO_.uses_vcc, 0
	.set _ZN7rocprim17ROCPRIM_400000_NS6detail17trampoline_kernelINS0_14default_configENS1_38merge_sort_block_merge_config_selectorIjN6thrust23THRUST_200600_302600_NS5tupleIffNS6_9null_typeES8_S8_S8_S8_S8_S8_S8_EEEEZZNS1_27merge_sort_block_merge_implIS3_NS6_6detail15normal_iteratorINS6_10device_ptrIjEEEENSD_INSE_IS9_EEEEjNS1_19radix_merge_compareILb0ELb0EjNS0_19identity_decomposerEEEEE10hipError_tT0_T1_T2_jT3_P12ihipStream_tbPNSt15iterator_traitsISN_E10value_typeEPNST_ISO_E10value_typeEPSP_NS1_7vsmem_tEENKUlT_SN_SO_SP_E_clISG_PjSI_PS9_EESM_S12_SN_SO_SP_EUlS12_E_NS1_11comp_targetILNS1_3genE2ELNS1_11target_archE906ELNS1_3gpuE6ELNS1_3repE0EEENS1_48merge_mergepath_partition_config_static_selectorELNS0_4arch9wavefront6targetE0EEEvSO_.uses_flat_scratch, 0
	.set _ZN7rocprim17ROCPRIM_400000_NS6detail17trampoline_kernelINS0_14default_configENS1_38merge_sort_block_merge_config_selectorIjN6thrust23THRUST_200600_302600_NS5tupleIffNS6_9null_typeES8_S8_S8_S8_S8_S8_S8_EEEEZZNS1_27merge_sort_block_merge_implIS3_NS6_6detail15normal_iteratorINS6_10device_ptrIjEEEENSD_INSE_IS9_EEEEjNS1_19radix_merge_compareILb0ELb0EjNS0_19identity_decomposerEEEEE10hipError_tT0_T1_T2_jT3_P12ihipStream_tbPNSt15iterator_traitsISN_E10value_typeEPNST_ISO_E10value_typeEPSP_NS1_7vsmem_tEENKUlT_SN_SO_SP_E_clISG_PjSI_PS9_EESM_S12_SN_SO_SP_EUlS12_E_NS1_11comp_targetILNS1_3genE2ELNS1_11target_archE906ELNS1_3gpuE6ELNS1_3repE0EEENS1_48merge_mergepath_partition_config_static_selectorELNS0_4arch9wavefront6targetE0EEEvSO_.has_dyn_sized_stack, 0
	.set _ZN7rocprim17ROCPRIM_400000_NS6detail17trampoline_kernelINS0_14default_configENS1_38merge_sort_block_merge_config_selectorIjN6thrust23THRUST_200600_302600_NS5tupleIffNS6_9null_typeES8_S8_S8_S8_S8_S8_S8_EEEEZZNS1_27merge_sort_block_merge_implIS3_NS6_6detail15normal_iteratorINS6_10device_ptrIjEEEENSD_INSE_IS9_EEEEjNS1_19radix_merge_compareILb0ELb0EjNS0_19identity_decomposerEEEEE10hipError_tT0_T1_T2_jT3_P12ihipStream_tbPNSt15iterator_traitsISN_E10value_typeEPNST_ISO_E10value_typeEPSP_NS1_7vsmem_tEENKUlT_SN_SO_SP_E_clISG_PjSI_PS9_EESM_S12_SN_SO_SP_EUlS12_E_NS1_11comp_targetILNS1_3genE2ELNS1_11target_archE906ELNS1_3gpuE6ELNS1_3repE0EEENS1_48merge_mergepath_partition_config_static_selectorELNS0_4arch9wavefront6targetE0EEEvSO_.has_recursion, 0
	.set _ZN7rocprim17ROCPRIM_400000_NS6detail17trampoline_kernelINS0_14default_configENS1_38merge_sort_block_merge_config_selectorIjN6thrust23THRUST_200600_302600_NS5tupleIffNS6_9null_typeES8_S8_S8_S8_S8_S8_S8_EEEEZZNS1_27merge_sort_block_merge_implIS3_NS6_6detail15normal_iteratorINS6_10device_ptrIjEEEENSD_INSE_IS9_EEEEjNS1_19radix_merge_compareILb0ELb0EjNS0_19identity_decomposerEEEEE10hipError_tT0_T1_T2_jT3_P12ihipStream_tbPNSt15iterator_traitsISN_E10value_typeEPNST_ISO_E10value_typeEPSP_NS1_7vsmem_tEENKUlT_SN_SO_SP_E_clISG_PjSI_PS9_EESM_S12_SN_SO_SP_EUlS12_E_NS1_11comp_targetILNS1_3genE2ELNS1_11target_archE906ELNS1_3gpuE6ELNS1_3repE0EEENS1_48merge_mergepath_partition_config_static_selectorELNS0_4arch9wavefront6targetE0EEEvSO_.has_indirect_call, 0
	.section	.AMDGPU.csdata,"",@progbits
; Kernel info:
; codeLenInByte = 0
; TotalNumSgprs: 0
; NumVgprs: 0
; ScratchSize: 0
; MemoryBound: 0
; FloatMode: 240
; IeeeMode: 1
; LDSByteSize: 0 bytes/workgroup (compile time only)
; SGPRBlocks: 0
; VGPRBlocks: 0
; NumSGPRsForWavesPerEU: 1
; NumVGPRsForWavesPerEU: 1
; Occupancy: 16
; WaveLimiterHint : 0
; COMPUTE_PGM_RSRC2:SCRATCH_EN: 0
; COMPUTE_PGM_RSRC2:USER_SGPR: 2
; COMPUTE_PGM_RSRC2:TRAP_HANDLER: 0
; COMPUTE_PGM_RSRC2:TGID_X_EN: 1
; COMPUTE_PGM_RSRC2:TGID_Y_EN: 0
; COMPUTE_PGM_RSRC2:TGID_Z_EN: 0
; COMPUTE_PGM_RSRC2:TIDIG_COMP_CNT: 0
	.section	.text._ZN7rocprim17ROCPRIM_400000_NS6detail17trampoline_kernelINS0_14default_configENS1_38merge_sort_block_merge_config_selectorIjN6thrust23THRUST_200600_302600_NS5tupleIffNS6_9null_typeES8_S8_S8_S8_S8_S8_S8_EEEEZZNS1_27merge_sort_block_merge_implIS3_NS6_6detail15normal_iteratorINS6_10device_ptrIjEEEENSD_INSE_IS9_EEEEjNS1_19radix_merge_compareILb0ELb0EjNS0_19identity_decomposerEEEEE10hipError_tT0_T1_T2_jT3_P12ihipStream_tbPNSt15iterator_traitsISN_E10value_typeEPNST_ISO_E10value_typeEPSP_NS1_7vsmem_tEENKUlT_SN_SO_SP_E_clISG_PjSI_PS9_EESM_S12_SN_SO_SP_EUlS12_E_NS1_11comp_targetILNS1_3genE9ELNS1_11target_archE1100ELNS1_3gpuE3ELNS1_3repE0EEENS1_48merge_mergepath_partition_config_static_selectorELNS0_4arch9wavefront6targetE0EEEvSO_,"axG",@progbits,_ZN7rocprim17ROCPRIM_400000_NS6detail17trampoline_kernelINS0_14default_configENS1_38merge_sort_block_merge_config_selectorIjN6thrust23THRUST_200600_302600_NS5tupleIffNS6_9null_typeES8_S8_S8_S8_S8_S8_S8_EEEEZZNS1_27merge_sort_block_merge_implIS3_NS6_6detail15normal_iteratorINS6_10device_ptrIjEEEENSD_INSE_IS9_EEEEjNS1_19radix_merge_compareILb0ELb0EjNS0_19identity_decomposerEEEEE10hipError_tT0_T1_T2_jT3_P12ihipStream_tbPNSt15iterator_traitsISN_E10value_typeEPNST_ISO_E10value_typeEPSP_NS1_7vsmem_tEENKUlT_SN_SO_SP_E_clISG_PjSI_PS9_EESM_S12_SN_SO_SP_EUlS12_E_NS1_11comp_targetILNS1_3genE9ELNS1_11target_archE1100ELNS1_3gpuE3ELNS1_3repE0EEENS1_48merge_mergepath_partition_config_static_selectorELNS0_4arch9wavefront6targetE0EEEvSO_,comdat
	.protected	_ZN7rocprim17ROCPRIM_400000_NS6detail17trampoline_kernelINS0_14default_configENS1_38merge_sort_block_merge_config_selectorIjN6thrust23THRUST_200600_302600_NS5tupleIffNS6_9null_typeES8_S8_S8_S8_S8_S8_S8_EEEEZZNS1_27merge_sort_block_merge_implIS3_NS6_6detail15normal_iteratorINS6_10device_ptrIjEEEENSD_INSE_IS9_EEEEjNS1_19radix_merge_compareILb0ELb0EjNS0_19identity_decomposerEEEEE10hipError_tT0_T1_T2_jT3_P12ihipStream_tbPNSt15iterator_traitsISN_E10value_typeEPNST_ISO_E10value_typeEPSP_NS1_7vsmem_tEENKUlT_SN_SO_SP_E_clISG_PjSI_PS9_EESM_S12_SN_SO_SP_EUlS12_E_NS1_11comp_targetILNS1_3genE9ELNS1_11target_archE1100ELNS1_3gpuE3ELNS1_3repE0EEENS1_48merge_mergepath_partition_config_static_selectorELNS0_4arch9wavefront6targetE0EEEvSO_ ; -- Begin function _ZN7rocprim17ROCPRIM_400000_NS6detail17trampoline_kernelINS0_14default_configENS1_38merge_sort_block_merge_config_selectorIjN6thrust23THRUST_200600_302600_NS5tupleIffNS6_9null_typeES8_S8_S8_S8_S8_S8_S8_EEEEZZNS1_27merge_sort_block_merge_implIS3_NS6_6detail15normal_iteratorINS6_10device_ptrIjEEEENSD_INSE_IS9_EEEEjNS1_19radix_merge_compareILb0ELb0EjNS0_19identity_decomposerEEEEE10hipError_tT0_T1_T2_jT3_P12ihipStream_tbPNSt15iterator_traitsISN_E10value_typeEPNST_ISO_E10value_typeEPSP_NS1_7vsmem_tEENKUlT_SN_SO_SP_E_clISG_PjSI_PS9_EESM_S12_SN_SO_SP_EUlS12_E_NS1_11comp_targetILNS1_3genE9ELNS1_11target_archE1100ELNS1_3gpuE3ELNS1_3repE0EEENS1_48merge_mergepath_partition_config_static_selectorELNS0_4arch9wavefront6targetE0EEEvSO_
	.globl	_ZN7rocprim17ROCPRIM_400000_NS6detail17trampoline_kernelINS0_14default_configENS1_38merge_sort_block_merge_config_selectorIjN6thrust23THRUST_200600_302600_NS5tupleIffNS6_9null_typeES8_S8_S8_S8_S8_S8_S8_EEEEZZNS1_27merge_sort_block_merge_implIS3_NS6_6detail15normal_iteratorINS6_10device_ptrIjEEEENSD_INSE_IS9_EEEEjNS1_19radix_merge_compareILb0ELb0EjNS0_19identity_decomposerEEEEE10hipError_tT0_T1_T2_jT3_P12ihipStream_tbPNSt15iterator_traitsISN_E10value_typeEPNST_ISO_E10value_typeEPSP_NS1_7vsmem_tEENKUlT_SN_SO_SP_E_clISG_PjSI_PS9_EESM_S12_SN_SO_SP_EUlS12_E_NS1_11comp_targetILNS1_3genE9ELNS1_11target_archE1100ELNS1_3gpuE3ELNS1_3repE0EEENS1_48merge_mergepath_partition_config_static_selectorELNS0_4arch9wavefront6targetE0EEEvSO_
	.p2align	8
	.type	_ZN7rocprim17ROCPRIM_400000_NS6detail17trampoline_kernelINS0_14default_configENS1_38merge_sort_block_merge_config_selectorIjN6thrust23THRUST_200600_302600_NS5tupleIffNS6_9null_typeES8_S8_S8_S8_S8_S8_S8_EEEEZZNS1_27merge_sort_block_merge_implIS3_NS6_6detail15normal_iteratorINS6_10device_ptrIjEEEENSD_INSE_IS9_EEEEjNS1_19radix_merge_compareILb0ELb0EjNS0_19identity_decomposerEEEEE10hipError_tT0_T1_T2_jT3_P12ihipStream_tbPNSt15iterator_traitsISN_E10value_typeEPNST_ISO_E10value_typeEPSP_NS1_7vsmem_tEENKUlT_SN_SO_SP_E_clISG_PjSI_PS9_EESM_S12_SN_SO_SP_EUlS12_E_NS1_11comp_targetILNS1_3genE9ELNS1_11target_archE1100ELNS1_3gpuE3ELNS1_3repE0EEENS1_48merge_mergepath_partition_config_static_selectorELNS0_4arch9wavefront6targetE0EEEvSO_,@function
_ZN7rocprim17ROCPRIM_400000_NS6detail17trampoline_kernelINS0_14default_configENS1_38merge_sort_block_merge_config_selectorIjN6thrust23THRUST_200600_302600_NS5tupleIffNS6_9null_typeES8_S8_S8_S8_S8_S8_S8_EEEEZZNS1_27merge_sort_block_merge_implIS3_NS6_6detail15normal_iteratorINS6_10device_ptrIjEEEENSD_INSE_IS9_EEEEjNS1_19radix_merge_compareILb0ELb0EjNS0_19identity_decomposerEEEEE10hipError_tT0_T1_T2_jT3_P12ihipStream_tbPNSt15iterator_traitsISN_E10value_typeEPNST_ISO_E10value_typeEPSP_NS1_7vsmem_tEENKUlT_SN_SO_SP_E_clISG_PjSI_PS9_EESM_S12_SN_SO_SP_EUlS12_E_NS1_11comp_targetILNS1_3genE9ELNS1_11target_archE1100ELNS1_3gpuE3ELNS1_3repE0EEENS1_48merge_mergepath_partition_config_static_selectorELNS0_4arch9wavefront6targetE0EEEvSO_: ; @_ZN7rocprim17ROCPRIM_400000_NS6detail17trampoline_kernelINS0_14default_configENS1_38merge_sort_block_merge_config_selectorIjN6thrust23THRUST_200600_302600_NS5tupleIffNS6_9null_typeES8_S8_S8_S8_S8_S8_S8_EEEEZZNS1_27merge_sort_block_merge_implIS3_NS6_6detail15normal_iteratorINS6_10device_ptrIjEEEENSD_INSE_IS9_EEEEjNS1_19radix_merge_compareILb0ELb0EjNS0_19identity_decomposerEEEEE10hipError_tT0_T1_T2_jT3_P12ihipStream_tbPNSt15iterator_traitsISN_E10value_typeEPNST_ISO_E10value_typeEPSP_NS1_7vsmem_tEENKUlT_SN_SO_SP_E_clISG_PjSI_PS9_EESM_S12_SN_SO_SP_EUlS12_E_NS1_11comp_targetILNS1_3genE9ELNS1_11target_archE1100ELNS1_3gpuE3ELNS1_3repE0EEENS1_48merge_mergepath_partition_config_static_selectorELNS0_4arch9wavefront6targetE0EEEvSO_
; %bb.0:
	.section	.rodata,"a",@progbits
	.p2align	6, 0x0
	.amdhsa_kernel _ZN7rocprim17ROCPRIM_400000_NS6detail17trampoline_kernelINS0_14default_configENS1_38merge_sort_block_merge_config_selectorIjN6thrust23THRUST_200600_302600_NS5tupleIffNS6_9null_typeES8_S8_S8_S8_S8_S8_S8_EEEEZZNS1_27merge_sort_block_merge_implIS3_NS6_6detail15normal_iteratorINS6_10device_ptrIjEEEENSD_INSE_IS9_EEEEjNS1_19radix_merge_compareILb0ELb0EjNS0_19identity_decomposerEEEEE10hipError_tT0_T1_T2_jT3_P12ihipStream_tbPNSt15iterator_traitsISN_E10value_typeEPNST_ISO_E10value_typeEPSP_NS1_7vsmem_tEENKUlT_SN_SO_SP_E_clISG_PjSI_PS9_EESM_S12_SN_SO_SP_EUlS12_E_NS1_11comp_targetILNS1_3genE9ELNS1_11target_archE1100ELNS1_3gpuE3ELNS1_3repE0EEENS1_48merge_mergepath_partition_config_static_selectorELNS0_4arch9wavefront6targetE0EEEvSO_
		.amdhsa_group_segment_fixed_size 0
		.amdhsa_private_segment_fixed_size 0
		.amdhsa_kernarg_size 40
		.amdhsa_user_sgpr_count 2
		.amdhsa_user_sgpr_dispatch_ptr 0
		.amdhsa_user_sgpr_queue_ptr 0
		.amdhsa_user_sgpr_kernarg_segment_ptr 1
		.amdhsa_user_sgpr_dispatch_id 0
		.amdhsa_user_sgpr_private_segment_size 0
		.amdhsa_wavefront_size32 1
		.amdhsa_uses_dynamic_stack 0
		.amdhsa_enable_private_segment 0
		.amdhsa_system_sgpr_workgroup_id_x 1
		.amdhsa_system_sgpr_workgroup_id_y 0
		.amdhsa_system_sgpr_workgroup_id_z 0
		.amdhsa_system_sgpr_workgroup_info 0
		.amdhsa_system_vgpr_workitem_id 0
		.amdhsa_next_free_vgpr 1
		.amdhsa_next_free_sgpr 1
		.amdhsa_reserve_vcc 0
		.amdhsa_float_round_mode_32 0
		.amdhsa_float_round_mode_16_64 0
		.amdhsa_float_denorm_mode_32 3
		.amdhsa_float_denorm_mode_16_64 3
		.amdhsa_fp16_overflow 0
		.amdhsa_workgroup_processor_mode 1
		.amdhsa_memory_ordered 1
		.amdhsa_forward_progress 1
		.amdhsa_inst_pref_size 0
		.amdhsa_round_robin_scheduling 0
		.amdhsa_exception_fp_ieee_invalid_op 0
		.amdhsa_exception_fp_denorm_src 0
		.amdhsa_exception_fp_ieee_div_zero 0
		.amdhsa_exception_fp_ieee_overflow 0
		.amdhsa_exception_fp_ieee_underflow 0
		.amdhsa_exception_fp_ieee_inexact 0
		.amdhsa_exception_int_div_zero 0
	.end_amdhsa_kernel
	.section	.text._ZN7rocprim17ROCPRIM_400000_NS6detail17trampoline_kernelINS0_14default_configENS1_38merge_sort_block_merge_config_selectorIjN6thrust23THRUST_200600_302600_NS5tupleIffNS6_9null_typeES8_S8_S8_S8_S8_S8_S8_EEEEZZNS1_27merge_sort_block_merge_implIS3_NS6_6detail15normal_iteratorINS6_10device_ptrIjEEEENSD_INSE_IS9_EEEEjNS1_19radix_merge_compareILb0ELb0EjNS0_19identity_decomposerEEEEE10hipError_tT0_T1_T2_jT3_P12ihipStream_tbPNSt15iterator_traitsISN_E10value_typeEPNST_ISO_E10value_typeEPSP_NS1_7vsmem_tEENKUlT_SN_SO_SP_E_clISG_PjSI_PS9_EESM_S12_SN_SO_SP_EUlS12_E_NS1_11comp_targetILNS1_3genE9ELNS1_11target_archE1100ELNS1_3gpuE3ELNS1_3repE0EEENS1_48merge_mergepath_partition_config_static_selectorELNS0_4arch9wavefront6targetE0EEEvSO_,"axG",@progbits,_ZN7rocprim17ROCPRIM_400000_NS6detail17trampoline_kernelINS0_14default_configENS1_38merge_sort_block_merge_config_selectorIjN6thrust23THRUST_200600_302600_NS5tupleIffNS6_9null_typeES8_S8_S8_S8_S8_S8_S8_EEEEZZNS1_27merge_sort_block_merge_implIS3_NS6_6detail15normal_iteratorINS6_10device_ptrIjEEEENSD_INSE_IS9_EEEEjNS1_19radix_merge_compareILb0ELb0EjNS0_19identity_decomposerEEEEE10hipError_tT0_T1_T2_jT3_P12ihipStream_tbPNSt15iterator_traitsISN_E10value_typeEPNST_ISO_E10value_typeEPSP_NS1_7vsmem_tEENKUlT_SN_SO_SP_E_clISG_PjSI_PS9_EESM_S12_SN_SO_SP_EUlS12_E_NS1_11comp_targetILNS1_3genE9ELNS1_11target_archE1100ELNS1_3gpuE3ELNS1_3repE0EEENS1_48merge_mergepath_partition_config_static_selectorELNS0_4arch9wavefront6targetE0EEEvSO_,comdat
.Lfunc_end55:
	.size	_ZN7rocprim17ROCPRIM_400000_NS6detail17trampoline_kernelINS0_14default_configENS1_38merge_sort_block_merge_config_selectorIjN6thrust23THRUST_200600_302600_NS5tupleIffNS6_9null_typeES8_S8_S8_S8_S8_S8_S8_EEEEZZNS1_27merge_sort_block_merge_implIS3_NS6_6detail15normal_iteratorINS6_10device_ptrIjEEEENSD_INSE_IS9_EEEEjNS1_19radix_merge_compareILb0ELb0EjNS0_19identity_decomposerEEEEE10hipError_tT0_T1_T2_jT3_P12ihipStream_tbPNSt15iterator_traitsISN_E10value_typeEPNST_ISO_E10value_typeEPSP_NS1_7vsmem_tEENKUlT_SN_SO_SP_E_clISG_PjSI_PS9_EESM_S12_SN_SO_SP_EUlS12_E_NS1_11comp_targetILNS1_3genE9ELNS1_11target_archE1100ELNS1_3gpuE3ELNS1_3repE0EEENS1_48merge_mergepath_partition_config_static_selectorELNS0_4arch9wavefront6targetE0EEEvSO_, .Lfunc_end55-_ZN7rocprim17ROCPRIM_400000_NS6detail17trampoline_kernelINS0_14default_configENS1_38merge_sort_block_merge_config_selectorIjN6thrust23THRUST_200600_302600_NS5tupleIffNS6_9null_typeES8_S8_S8_S8_S8_S8_S8_EEEEZZNS1_27merge_sort_block_merge_implIS3_NS6_6detail15normal_iteratorINS6_10device_ptrIjEEEENSD_INSE_IS9_EEEEjNS1_19radix_merge_compareILb0ELb0EjNS0_19identity_decomposerEEEEE10hipError_tT0_T1_T2_jT3_P12ihipStream_tbPNSt15iterator_traitsISN_E10value_typeEPNST_ISO_E10value_typeEPSP_NS1_7vsmem_tEENKUlT_SN_SO_SP_E_clISG_PjSI_PS9_EESM_S12_SN_SO_SP_EUlS12_E_NS1_11comp_targetILNS1_3genE9ELNS1_11target_archE1100ELNS1_3gpuE3ELNS1_3repE0EEENS1_48merge_mergepath_partition_config_static_selectorELNS0_4arch9wavefront6targetE0EEEvSO_
                                        ; -- End function
	.set _ZN7rocprim17ROCPRIM_400000_NS6detail17trampoline_kernelINS0_14default_configENS1_38merge_sort_block_merge_config_selectorIjN6thrust23THRUST_200600_302600_NS5tupleIffNS6_9null_typeES8_S8_S8_S8_S8_S8_S8_EEEEZZNS1_27merge_sort_block_merge_implIS3_NS6_6detail15normal_iteratorINS6_10device_ptrIjEEEENSD_INSE_IS9_EEEEjNS1_19radix_merge_compareILb0ELb0EjNS0_19identity_decomposerEEEEE10hipError_tT0_T1_T2_jT3_P12ihipStream_tbPNSt15iterator_traitsISN_E10value_typeEPNST_ISO_E10value_typeEPSP_NS1_7vsmem_tEENKUlT_SN_SO_SP_E_clISG_PjSI_PS9_EESM_S12_SN_SO_SP_EUlS12_E_NS1_11comp_targetILNS1_3genE9ELNS1_11target_archE1100ELNS1_3gpuE3ELNS1_3repE0EEENS1_48merge_mergepath_partition_config_static_selectorELNS0_4arch9wavefront6targetE0EEEvSO_.num_vgpr, 0
	.set _ZN7rocprim17ROCPRIM_400000_NS6detail17trampoline_kernelINS0_14default_configENS1_38merge_sort_block_merge_config_selectorIjN6thrust23THRUST_200600_302600_NS5tupleIffNS6_9null_typeES8_S8_S8_S8_S8_S8_S8_EEEEZZNS1_27merge_sort_block_merge_implIS3_NS6_6detail15normal_iteratorINS6_10device_ptrIjEEEENSD_INSE_IS9_EEEEjNS1_19radix_merge_compareILb0ELb0EjNS0_19identity_decomposerEEEEE10hipError_tT0_T1_T2_jT3_P12ihipStream_tbPNSt15iterator_traitsISN_E10value_typeEPNST_ISO_E10value_typeEPSP_NS1_7vsmem_tEENKUlT_SN_SO_SP_E_clISG_PjSI_PS9_EESM_S12_SN_SO_SP_EUlS12_E_NS1_11comp_targetILNS1_3genE9ELNS1_11target_archE1100ELNS1_3gpuE3ELNS1_3repE0EEENS1_48merge_mergepath_partition_config_static_selectorELNS0_4arch9wavefront6targetE0EEEvSO_.num_agpr, 0
	.set _ZN7rocprim17ROCPRIM_400000_NS6detail17trampoline_kernelINS0_14default_configENS1_38merge_sort_block_merge_config_selectorIjN6thrust23THRUST_200600_302600_NS5tupleIffNS6_9null_typeES8_S8_S8_S8_S8_S8_S8_EEEEZZNS1_27merge_sort_block_merge_implIS3_NS6_6detail15normal_iteratorINS6_10device_ptrIjEEEENSD_INSE_IS9_EEEEjNS1_19radix_merge_compareILb0ELb0EjNS0_19identity_decomposerEEEEE10hipError_tT0_T1_T2_jT3_P12ihipStream_tbPNSt15iterator_traitsISN_E10value_typeEPNST_ISO_E10value_typeEPSP_NS1_7vsmem_tEENKUlT_SN_SO_SP_E_clISG_PjSI_PS9_EESM_S12_SN_SO_SP_EUlS12_E_NS1_11comp_targetILNS1_3genE9ELNS1_11target_archE1100ELNS1_3gpuE3ELNS1_3repE0EEENS1_48merge_mergepath_partition_config_static_selectorELNS0_4arch9wavefront6targetE0EEEvSO_.numbered_sgpr, 0
	.set _ZN7rocprim17ROCPRIM_400000_NS6detail17trampoline_kernelINS0_14default_configENS1_38merge_sort_block_merge_config_selectorIjN6thrust23THRUST_200600_302600_NS5tupleIffNS6_9null_typeES8_S8_S8_S8_S8_S8_S8_EEEEZZNS1_27merge_sort_block_merge_implIS3_NS6_6detail15normal_iteratorINS6_10device_ptrIjEEEENSD_INSE_IS9_EEEEjNS1_19radix_merge_compareILb0ELb0EjNS0_19identity_decomposerEEEEE10hipError_tT0_T1_T2_jT3_P12ihipStream_tbPNSt15iterator_traitsISN_E10value_typeEPNST_ISO_E10value_typeEPSP_NS1_7vsmem_tEENKUlT_SN_SO_SP_E_clISG_PjSI_PS9_EESM_S12_SN_SO_SP_EUlS12_E_NS1_11comp_targetILNS1_3genE9ELNS1_11target_archE1100ELNS1_3gpuE3ELNS1_3repE0EEENS1_48merge_mergepath_partition_config_static_selectorELNS0_4arch9wavefront6targetE0EEEvSO_.num_named_barrier, 0
	.set _ZN7rocprim17ROCPRIM_400000_NS6detail17trampoline_kernelINS0_14default_configENS1_38merge_sort_block_merge_config_selectorIjN6thrust23THRUST_200600_302600_NS5tupleIffNS6_9null_typeES8_S8_S8_S8_S8_S8_S8_EEEEZZNS1_27merge_sort_block_merge_implIS3_NS6_6detail15normal_iteratorINS6_10device_ptrIjEEEENSD_INSE_IS9_EEEEjNS1_19radix_merge_compareILb0ELb0EjNS0_19identity_decomposerEEEEE10hipError_tT0_T1_T2_jT3_P12ihipStream_tbPNSt15iterator_traitsISN_E10value_typeEPNST_ISO_E10value_typeEPSP_NS1_7vsmem_tEENKUlT_SN_SO_SP_E_clISG_PjSI_PS9_EESM_S12_SN_SO_SP_EUlS12_E_NS1_11comp_targetILNS1_3genE9ELNS1_11target_archE1100ELNS1_3gpuE3ELNS1_3repE0EEENS1_48merge_mergepath_partition_config_static_selectorELNS0_4arch9wavefront6targetE0EEEvSO_.private_seg_size, 0
	.set _ZN7rocprim17ROCPRIM_400000_NS6detail17trampoline_kernelINS0_14default_configENS1_38merge_sort_block_merge_config_selectorIjN6thrust23THRUST_200600_302600_NS5tupleIffNS6_9null_typeES8_S8_S8_S8_S8_S8_S8_EEEEZZNS1_27merge_sort_block_merge_implIS3_NS6_6detail15normal_iteratorINS6_10device_ptrIjEEEENSD_INSE_IS9_EEEEjNS1_19radix_merge_compareILb0ELb0EjNS0_19identity_decomposerEEEEE10hipError_tT0_T1_T2_jT3_P12ihipStream_tbPNSt15iterator_traitsISN_E10value_typeEPNST_ISO_E10value_typeEPSP_NS1_7vsmem_tEENKUlT_SN_SO_SP_E_clISG_PjSI_PS9_EESM_S12_SN_SO_SP_EUlS12_E_NS1_11comp_targetILNS1_3genE9ELNS1_11target_archE1100ELNS1_3gpuE3ELNS1_3repE0EEENS1_48merge_mergepath_partition_config_static_selectorELNS0_4arch9wavefront6targetE0EEEvSO_.uses_vcc, 0
	.set _ZN7rocprim17ROCPRIM_400000_NS6detail17trampoline_kernelINS0_14default_configENS1_38merge_sort_block_merge_config_selectorIjN6thrust23THRUST_200600_302600_NS5tupleIffNS6_9null_typeES8_S8_S8_S8_S8_S8_S8_EEEEZZNS1_27merge_sort_block_merge_implIS3_NS6_6detail15normal_iteratorINS6_10device_ptrIjEEEENSD_INSE_IS9_EEEEjNS1_19radix_merge_compareILb0ELb0EjNS0_19identity_decomposerEEEEE10hipError_tT0_T1_T2_jT3_P12ihipStream_tbPNSt15iterator_traitsISN_E10value_typeEPNST_ISO_E10value_typeEPSP_NS1_7vsmem_tEENKUlT_SN_SO_SP_E_clISG_PjSI_PS9_EESM_S12_SN_SO_SP_EUlS12_E_NS1_11comp_targetILNS1_3genE9ELNS1_11target_archE1100ELNS1_3gpuE3ELNS1_3repE0EEENS1_48merge_mergepath_partition_config_static_selectorELNS0_4arch9wavefront6targetE0EEEvSO_.uses_flat_scratch, 0
	.set _ZN7rocprim17ROCPRIM_400000_NS6detail17trampoline_kernelINS0_14default_configENS1_38merge_sort_block_merge_config_selectorIjN6thrust23THRUST_200600_302600_NS5tupleIffNS6_9null_typeES8_S8_S8_S8_S8_S8_S8_EEEEZZNS1_27merge_sort_block_merge_implIS3_NS6_6detail15normal_iteratorINS6_10device_ptrIjEEEENSD_INSE_IS9_EEEEjNS1_19radix_merge_compareILb0ELb0EjNS0_19identity_decomposerEEEEE10hipError_tT0_T1_T2_jT3_P12ihipStream_tbPNSt15iterator_traitsISN_E10value_typeEPNST_ISO_E10value_typeEPSP_NS1_7vsmem_tEENKUlT_SN_SO_SP_E_clISG_PjSI_PS9_EESM_S12_SN_SO_SP_EUlS12_E_NS1_11comp_targetILNS1_3genE9ELNS1_11target_archE1100ELNS1_3gpuE3ELNS1_3repE0EEENS1_48merge_mergepath_partition_config_static_selectorELNS0_4arch9wavefront6targetE0EEEvSO_.has_dyn_sized_stack, 0
	.set _ZN7rocprim17ROCPRIM_400000_NS6detail17trampoline_kernelINS0_14default_configENS1_38merge_sort_block_merge_config_selectorIjN6thrust23THRUST_200600_302600_NS5tupleIffNS6_9null_typeES8_S8_S8_S8_S8_S8_S8_EEEEZZNS1_27merge_sort_block_merge_implIS3_NS6_6detail15normal_iteratorINS6_10device_ptrIjEEEENSD_INSE_IS9_EEEEjNS1_19radix_merge_compareILb0ELb0EjNS0_19identity_decomposerEEEEE10hipError_tT0_T1_T2_jT3_P12ihipStream_tbPNSt15iterator_traitsISN_E10value_typeEPNST_ISO_E10value_typeEPSP_NS1_7vsmem_tEENKUlT_SN_SO_SP_E_clISG_PjSI_PS9_EESM_S12_SN_SO_SP_EUlS12_E_NS1_11comp_targetILNS1_3genE9ELNS1_11target_archE1100ELNS1_3gpuE3ELNS1_3repE0EEENS1_48merge_mergepath_partition_config_static_selectorELNS0_4arch9wavefront6targetE0EEEvSO_.has_recursion, 0
	.set _ZN7rocprim17ROCPRIM_400000_NS6detail17trampoline_kernelINS0_14default_configENS1_38merge_sort_block_merge_config_selectorIjN6thrust23THRUST_200600_302600_NS5tupleIffNS6_9null_typeES8_S8_S8_S8_S8_S8_S8_EEEEZZNS1_27merge_sort_block_merge_implIS3_NS6_6detail15normal_iteratorINS6_10device_ptrIjEEEENSD_INSE_IS9_EEEEjNS1_19radix_merge_compareILb0ELb0EjNS0_19identity_decomposerEEEEE10hipError_tT0_T1_T2_jT3_P12ihipStream_tbPNSt15iterator_traitsISN_E10value_typeEPNST_ISO_E10value_typeEPSP_NS1_7vsmem_tEENKUlT_SN_SO_SP_E_clISG_PjSI_PS9_EESM_S12_SN_SO_SP_EUlS12_E_NS1_11comp_targetILNS1_3genE9ELNS1_11target_archE1100ELNS1_3gpuE3ELNS1_3repE0EEENS1_48merge_mergepath_partition_config_static_selectorELNS0_4arch9wavefront6targetE0EEEvSO_.has_indirect_call, 0
	.section	.AMDGPU.csdata,"",@progbits
; Kernel info:
; codeLenInByte = 0
; TotalNumSgprs: 0
; NumVgprs: 0
; ScratchSize: 0
; MemoryBound: 0
; FloatMode: 240
; IeeeMode: 1
; LDSByteSize: 0 bytes/workgroup (compile time only)
; SGPRBlocks: 0
; VGPRBlocks: 0
; NumSGPRsForWavesPerEU: 1
; NumVGPRsForWavesPerEU: 1
; Occupancy: 16
; WaveLimiterHint : 0
; COMPUTE_PGM_RSRC2:SCRATCH_EN: 0
; COMPUTE_PGM_RSRC2:USER_SGPR: 2
; COMPUTE_PGM_RSRC2:TRAP_HANDLER: 0
; COMPUTE_PGM_RSRC2:TGID_X_EN: 1
; COMPUTE_PGM_RSRC2:TGID_Y_EN: 0
; COMPUTE_PGM_RSRC2:TGID_Z_EN: 0
; COMPUTE_PGM_RSRC2:TIDIG_COMP_CNT: 0
	.section	.text._ZN7rocprim17ROCPRIM_400000_NS6detail17trampoline_kernelINS0_14default_configENS1_38merge_sort_block_merge_config_selectorIjN6thrust23THRUST_200600_302600_NS5tupleIffNS6_9null_typeES8_S8_S8_S8_S8_S8_S8_EEEEZZNS1_27merge_sort_block_merge_implIS3_NS6_6detail15normal_iteratorINS6_10device_ptrIjEEEENSD_INSE_IS9_EEEEjNS1_19radix_merge_compareILb0ELb0EjNS0_19identity_decomposerEEEEE10hipError_tT0_T1_T2_jT3_P12ihipStream_tbPNSt15iterator_traitsISN_E10value_typeEPNST_ISO_E10value_typeEPSP_NS1_7vsmem_tEENKUlT_SN_SO_SP_E_clISG_PjSI_PS9_EESM_S12_SN_SO_SP_EUlS12_E_NS1_11comp_targetILNS1_3genE8ELNS1_11target_archE1030ELNS1_3gpuE2ELNS1_3repE0EEENS1_48merge_mergepath_partition_config_static_selectorELNS0_4arch9wavefront6targetE0EEEvSO_,"axG",@progbits,_ZN7rocprim17ROCPRIM_400000_NS6detail17trampoline_kernelINS0_14default_configENS1_38merge_sort_block_merge_config_selectorIjN6thrust23THRUST_200600_302600_NS5tupleIffNS6_9null_typeES8_S8_S8_S8_S8_S8_S8_EEEEZZNS1_27merge_sort_block_merge_implIS3_NS6_6detail15normal_iteratorINS6_10device_ptrIjEEEENSD_INSE_IS9_EEEEjNS1_19radix_merge_compareILb0ELb0EjNS0_19identity_decomposerEEEEE10hipError_tT0_T1_T2_jT3_P12ihipStream_tbPNSt15iterator_traitsISN_E10value_typeEPNST_ISO_E10value_typeEPSP_NS1_7vsmem_tEENKUlT_SN_SO_SP_E_clISG_PjSI_PS9_EESM_S12_SN_SO_SP_EUlS12_E_NS1_11comp_targetILNS1_3genE8ELNS1_11target_archE1030ELNS1_3gpuE2ELNS1_3repE0EEENS1_48merge_mergepath_partition_config_static_selectorELNS0_4arch9wavefront6targetE0EEEvSO_,comdat
	.protected	_ZN7rocprim17ROCPRIM_400000_NS6detail17trampoline_kernelINS0_14default_configENS1_38merge_sort_block_merge_config_selectorIjN6thrust23THRUST_200600_302600_NS5tupleIffNS6_9null_typeES8_S8_S8_S8_S8_S8_S8_EEEEZZNS1_27merge_sort_block_merge_implIS3_NS6_6detail15normal_iteratorINS6_10device_ptrIjEEEENSD_INSE_IS9_EEEEjNS1_19radix_merge_compareILb0ELb0EjNS0_19identity_decomposerEEEEE10hipError_tT0_T1_T2_jT3_P12ihipStream_tbPNSt15iterator_traitsISN_E10value_typeEPNST_ISO_E10value_typeEPSP_NS1_7vsmem_tEENKUlT_SN_SO_SP_E_clISG_PjSI_PS9_EESM_S12_SN_SO_SP_EUlS12_E_NS1_11comp_targetILNS1_3genE8ELNS1_11target_archE1030ELNS1_3gpuE2ELNS1_3repE0EEENS1_48merge_mergepath_partition_config_static_selectorELNS0_4arch9wavefront6targetE0EEEvSO_ ; -- Begin function _ZN7rocprim17ROCPRIM_400000_NS6detail17trampoline_kernelINS0_14default_configENS1_38merge_sort_block_merge_config_selectorIjN6thrust23THRUST_200600_302600_NS5tupleIffNS6_9null_typeES8_S8_S8_S8_S8_S8_S8_EEEEZZNS1_27merge_sort_block_merge_implIS3_NS6_6detail15normal_iteratorINS6_10device_ptrIjEEEENSD_INSE_IS9_EEEEjNS1_19radix_merge_compareILb0ELb0EjNS0_19identity_decomposerEEEEE10hipError_tT0_T1_T2_jT3_P12ihipStream_tbPNSt15iterator_traitsISN_E10value_typeEPNST_ISO_E10value_typeEPSP_NS1_7vsmem_tEENKUlT_SN_SO_SP_E_clISG_PjSI_PS9_EESM_S12_SN_SO_SP_EUlS12_E_NS1_11comp_targetILNS1_3genE8ELNS1_11target_archE1030ELNS1_3gpuE2ELNS1_3repE0EEENS1_48merge_mergepath_partition_config_static_selectorELNS0_4arch9wavefront6targetE0EEEvSO_
	.globl	_ZN7rocprim17ROCPRIM_400000_NS6detail17trampoline_kernelINS0_14default_configENS1_38merge_sort_block_merge_config_selectorIjN6thrust23THRUST_200600_302600_NS5tupleIffNS6_9null_typeES8_S8_S8_S8_S8_S8_S8_EEEEZZNS1_27merge_sort_block_merge_implIS3_NS6_6detail15normal_iteratorINS6_10device_ptrIjEEEENSD_INSE_IS9_EEEEjNS1_19radix_merge_compareILb0ELb0EjNS0_19identity_decomposerEEEEE10hipError_tT0_T1_T2_jT3_P12ihipStream_tbPNSt15iterator_traitsISN_E10value_typeEPNST_ISO_E10value_typeEPSP_NS1_7vsmem_tEENKUlT_SN_SO_SP_E_clISG_PjSI_PS9_EESM_S12_SN_SO_SP_EUlS12_E_NS1_11comp_targetILNS1_3genE8ELNS1_11target_archE1030ELNS1_3gpuE2ELNS1_3repE0EEENS1_48merge_mergepath_partition_config_static_selectorELNS0_4arch9wavefront6targetE0EEEvSO_
	.p2align	8
	.type	_ZN7rocprim17ROCPRIM_400000_NS6detail17trampoline_kernelINS0_14default_configENS1_38merge_sort_block_merge_config_selectorIjN6thrust23THRUST_200600_302600_NS5tupleIffNS6_9null_typeES8_S8_S8_S8_S8_S8_S8_EEEEZZNS1_27merge_sort_block_merge_implIS3_NS6_6detail15normal_iteratorINS6_10device_ptrIjEEEENSD_INSE_IS9_EEEEjNS1_19radix_merge_compareILb0ELb0EjNS0_19identity_decomposerEEEEE10hipError_tT0_T1_T2_jT3_P12ihipStream_tbPNSt15iterator_traitsISN_E10value_typeEPNST_ISO_E10value_typeEPSP_NS1_7vsmem_tEENKUlT_SN_SO_SP_E_clISG_PjSI_PS9_EESM_S12_SN_SO_SP_EUlS12_E_NS1_11comp_targetILNS1_3genE8ELNS1_11target_archE1030ELNS1_3gpuE2ELNS1_3repE0EEENS1_48merge_mergepath_partition_config_static_selectorELNS0_4arch9wavefront6targetE0EEEvSO_,@function
_ZN7rocprim17ROCPRIM_400000_NS6detail17trampoline_kernelINS0_14default_configENS1_38merge_sort_block_merge_config_selectorIjN6thrust23THRUST_200600_302600_NS5tupleIffNS6_9null_typeES8_S8_S8_S8_S8_S8_S8_EEEEZZNS1_27merge_sort_block_merge_implIS3_NS6_6detail15normal_iteratorINS6_10device_ptrIjEEEENSD_INSE_IS9_EEEEjNS1_19radix_merge_compareILb0ELb0EjNS0_19identity_decomposerEEEEE10hipError_tT0_T1_T2_jT3_P12ihipStream_tbPNSt15iterator_traitsISN_E10value_typeEPNST_ISO_E10value_typeEPSP_NS1_7vsmem_tEENKUlT_SN_SO_SP_E_clISG_PjSI_PS9_EESM_S12_SN_SO_SP_EUlS12_E_NS1_11comp_targetILNS1_3genE8ELNS1_11target_archE1030ELNS1_3gpuE2ELNS1_3repE0EEENS1_48merge_mergepath_partition_config_static_selectorELNS0_4arch9wavefront6targetE0EEEvSO_: ; @_ZN7rocprim17ROCPRIM_400000_NS6detail17trampoline_kernelINS0_14default_configENS1_38merge_sort_block_merge_config_selectorIjN6thrust23THRUST_200600_302600_NS5tupleIffNS6_9null_typeES8_S8_S8_S8_S8_S8_S8_EEEEZZNS1_27merge_sort_block_merge_implIS3_NS6_6detail15normal_iteratorINS6_10device_ptrIjEEEENSD_INSE_IS9_EEEEjNS1_19radix_merge_compareILb0ELb0EjNS0_19identity_decomposerEEEEE10hipError_tT0_T1_T2_jT3_P12ihipStream_tbPNSt15iterator_traitsISN_E10value_typeEPNST_ISO_E10value_typeEPSP_NS1_7vsmem_tEENKUlT_SN_SO_SP_E_clISG_PjSI_PS9_EESM_S12_SN_SO_SP_EUlS12_E_NS1_11comp_targetILNS1_3genE8ELNS1_11target_archE1030ELNS1_3gpuE2ELNS1_3repE0EEENS1_48merge_mergepath_partition_config_static_selectorELNS0_4arch9wavefront6targetE0EEEvSO_
; %bb.0:
	.section	.rodata,"a",@progbits
	.p2align	6, 0x0
	.amdhsa_kernel _ZN7rocprim17ROCPRIM_400000_NS6detail17trampoline_kernelINS0_14default_configENS1_38merge_sort_block_merge_config_selectorIjN6thrust23THRUST_200600_302600_NS5tupleIffNS6_9null_typeES8_S8_S8_S8_S8_S8_S8_EEEEZZNS1_27merge_sort_block_merge_implIS3_NS6_6detail15normal_iteratorINS6_10device_ptrIjEEEENSD_INSE_IS9_EEEEjNS1_19radix_merge_compareILb0ELb0EjNS0_19identity_decomposerEEEEE10hipError_tT0_T1_T2_jT3_P12ihipStream_tbPNSt15iterator_traitsISN_E10value_typeEPNST_ISO_E10value_typeEPSP_NS1_7vsmem_tEENKUlT_SN_SO_SP_E_clISG_PjSI_PS9_EESM_S12_SN_SO_SP_EUlS12_E_NS1_11comp_targetILNS1_3genE8ELNS1_11target_archE1030ELNS1_3gpuE2ELNS1_3repE0EEENS1_48merge_mergepath_partition_config_static_selectorELNS0_4arch9wavefront6targetE0EEEvSO_
		.amdhsa_group_segment_fixed_size 0
		.amdhsa_private_segment_fixed_size 0
		.amdhsa_kernarg_size 40
		.amdhsa_user_sgpr_count 2
		.amdhsa_user_sgpr_dispatch_ptr 0
		.amdhsa_user_sgpr_queue_ptr 0
		.amdhsa_user_sgpr_kernarg_segment_ptr 1
		.amdhsa_user_sgpr_dispatch_id 0
		.amdhsa_user_sgpr_private_segment_size 0
		.amdhsa_wavefront_size32 1
		.amdhsa_uses_dynamic_stack 0
		.amdhsa_enable_private_segment 0
		.amdhsa_system_sgpr_workgroup_id_x 1
		.amdhsa_system_sgpr_workgroup_id_y 0
		.amdhsa_system_sgpr_workgroup_id_z 0
		.amdhsa_system_sgpr_workgroup_info 0
		.amdhsa_system_vgpr_workitem_id 0
		.amdhsa_next_free_vgpr 1
		.amdhsa_next_free_sgpr 1
		.amdhsa_reserve_vcc 0
		.amdhsa_float_round_mode_32 0
		.amdhsa_float_round_mode_16_64 0
		.amdhsa_float_denorm_mode_32 3
		.amdhsa_float_denorm_mode_16_64 3
		.amdhsa_fp16_overflow 0
		.amdhsa_workgroup_processor_mode 1
		.amdhsa_memory_ordered 1
		.amdhsa_forward_progress 1
		.amdhsa_inst_pref_size 0
		.amdhsa_round_robin_scheduling 0
		.amdhsa_exception_fp_ieee_invalid_op 0
		.amdhsa_exception_fp_denorm_src 0
		.amdhsa_exception_fp_ieee_div_zero 0
		.amdhsa_exception_fp_ieee_overflow 0
		.amdhsa_exception_fp_ieee_underflow 0
		.amdhsa_exception_fp_ieee_inexact 0
		.amdhsa_exception_int_div_zero 0
	.end_amdhsa_kernel
	.section	.text._ZN7rocprim17ROCPRIM_400000_NS6detail17trampoline_kernelINS0_14default_configENS1_38merge_sort_block_merge_config_selectorIjN6thrust23THRUST_200600_302600_NS5tupleIffNS6_9null_typeES8_S8_S8_S8_S8_S8_S8_EEEEZZNS1_27merge_sort_block_merge_implIS3_NS6_6detail15normal_iteratorINS6_10device_ptrIjEEEENSD_INSE_IS9_EEEEjNS1_19radix_merge_compareILb0ELb0EjNS0_19identity_decomposerEEEEE10hipError_tT0_T1_T2_jT3_P12ihipStream_tbPNSt15iterator_traitsISN_E10value_typeEPNST_ISO_E10value_typeEPSP_NS1_7vsmem_tEENKUlT_SN_SO_SP_E_clISG_PjSI_PS9_EESM_S12_SN_SO_SP_EUlS12_E_NS1_11comp_targetILNS1_3genE8ELNS1_11target_archE1030ELNS1_3gpuE2ELNS1_3repE0EEENS1_48merge_mergepath_partition_config_static_selectorELNS0_4arch9wavefront6targetE0EEEvSO_,"axG",@progbits,_ZN7rocprim17ROCPRIM_400000_NS6detail17trampoline_kernelINS0_14default_configENS1_38merge_sort_block_merge_config_selectorIjN6thrust23THRUST_200600_302600_NS5tupleIffNS6_9null_typeES8_S8_S8_S8_S8_S8_S8_EEEEZZNS1_27merge_sort_block_merge_implIS3_NS6_6detail15normal_iteratorINS6_10device_ptrIjEEEENSD_INSE_IS9_EEEEjNS1_19radix_merge_compareILb0ELb0EjNS0_19identity_decomposerEEEEE10hipError_tT0_T1_T2_jT3_P12ihipStream_tbPNSt15iterator_traitsISN_E10value_typeEPNST_ISO_E10value_typeEPSP_NS1_7vsmem_tEENKUlT_SN_SO_SP_E_clISG_PjSI_PS9_EESM_S12_SN_SO_SP_EUlS12_E_NS1_11comp_targetILNS1_3genE8ELNS1_11target_archE1030ELNS1_3gpuE2ELNS1_3repE0EEENS1_48merge_mergepath_partition_config_static_selectorELNS0_4arch9wavefront6targetE0EEEvSO_,comdat
.Lfunc_end56:
	.size	_ZN7rocprim17ROCPRIM_400000_NS6detail17trampoline_kernelINS0_14default_configENS1_38merge_sort_block_merge_config_selectorIjN6thrust23THRUST_200600_302600_NS5tupleIffNS6_9null_typeES8_S8_S8_S8_S8_S8_S8_EEEEZZNS1_27merge_sort_block_merge_implIS3_NS6_6detail15normal_iteratorINS6_10device_ptrIjEEEENSD_INSE_IS9_EEEEjNS1_19radix_merge_compareILb0ELb0EjNS0_19identity_decomposerEEEEE10hipError_tT0_T1_T2_jT3_P12ihipStream_tbPNSt15iterator_traitsISN_E10value_typeEPNST_ISO_E10value_typeEPSP_NS1_7vsmem_tEENKUlT_SN_SO_SP_E_clISG_PjSI_PS9_EESM_S12_SN_SO_SP_EUlS12_E_NS1_11comp_targetILNS1_3genE8ELNS1_11target_archE1030ELNS1_3gpuE2ELNS1_3repE0EEENS1_48merge_mergepath_partition_config_static_selectorELNS0_4arch9wavefront6targetE0EEEvSO_, .Lfunc_end56-_ZN7rocprim17ROCPRIM_400000_NS6detail17trampoline_kernelINS0_14default_configENS1_38merge_sort_block_merge_config_selectorIjN6thrust23THRUST_200600_302600_NS5tupleIffNS6_9null_typeES8_S8_S8_S8_S8_S8_S8_EEEEZZNS1_27merge_sort_block_merge_implIS3_NS6_6detail15normal_iteratorINS6_10device_ptrIjEEEENSD_INSE_IS9_EEEEjNS1_19radix_merge_compareILb0ELb0EjNS0_19identity_decomposerEEEEE10hipError_tT0_T1_T2_jT3_P12ihipStream_tbPNSt15iterator_traitsISN_E10value_typeEPNST_ISO_E10value_typeEPSP_NS1_7vsmem_tEENKUlT_SN_SO_SP_E_clISG_PjSI_PS9_EESM_S12_SN_SO_SP_EUlS12_E_NS1_11comp_targetILNS1_3genE8ELNS1_11target_archE1030ELNS1_3gpuE2ELNS1_3repE0EEENS1_48merge_mergepath_partition_config_static_selectorELNS0_4arch9wavefront6targetE0EEEvSO_
                                        ; -- End function
	.set _ZN7rocprim17ROCPRIM_400000_NS6detail17trampoline_kernelINS0_14default_configENS1_38merge_sort_block_merge_config_selectorIjN6thrust23THRUST_200600_302600_NS5tupleIffNS6_9null_typeES8_S8_S8_S8_S8_S8_S8_EEEEZZNS1_27merge_sort_block_merge_implIS3_NS6_6detail15normal_iteratorINS6_10device_ptrIjEEEENSD_INSE_IS9_EEEEjNS1_19radix_merge_compareILb0ELb0EjNS0_19identity_decomposerEEEEE10hipError_tT0_T1_T2_jT3_P12ihipStream_tbPNSt15iterator_traitsISN_E10value_typeEPNST_ISO_E10value_typeEPSP_NS1_7vsmem_tEENKUlT_SN_SO_SP_E_clISG_PjSI_PS9_EESM_S12_SN_SO_SP_EUlS12_E_NS1_11comp_targetILNS1_3genE8ELNS1_11target_archE1030ELNS1_3gpuE2ELNS1_3repE0EEENS1_48merge_mergepath_partition_config_static_selectorELNS0_4arch9wavefront6targetE0EEEvSO_.num_vgpr, 0
	.set _ZN7rocprim17ROCPRIM_400000_NS6detail17trampoline_kernelINS0_14default_configENS1_38merge_sort_block_merge_config_selectorIjN6thrust23THRUST_200600_302600_NS5tupleIffNS6_9null_typeES8_S8_S8_S8_S8_S8_S8_EEEEZZNS1_27merge_sort_block_merge_implIS3_NS6_6detail15normal_iteratorINS6_10device_ptrIjEEEENSD_INSE_IS9_EEEEjNS1_19radix_merge_compareILb0ELb0EjNS0_19identity_decomposerEEEEE10hipError_tT0_T1_T2_jT3_P12ihipStream_tbPNSt15iterator_traitsISN_E10value_typeEPNST_ISO_E10value_typeEPSP_NS1_7vsmem_tEENKUlT_SN_SO_SP_E_clISG_PjSI_PS9_EESM_S12_SN_SO_SP_EUlS12_E_NS1_11comp_targetILNS1_3genE8ELNS1_11target_archE1030ELNS1_3gpuE2ELNS1_3repE0EEENS1_48merge_mergepath_partition_config_static_selectorELNS0_4arch9wavefront6targetE0EEEvSO_.num_agpr, 0
	.set _ZN7rocprim17ROCPRIM_400000_NS6detail17trampoline_kernelINS0_14default_configENS1_38merge_sort_block_merge_config_selectorIjN6thrust23THRUST_200600_302600_NS5tupleIffNS6_9null_typeES8_S8_S8_S8_S8_S8_S8_EEEEZZNS1_27merge_sort_block_merge_implIS3_NS6_6detail15normal_iteratorINS6_10device_ptrIjEEEENSD_INSE_IS9_EEEEjNS1_19radix_merge_compareILb0ELb0EjNS0_19identity_decomposerEEEEE10hipError_tT0_T1_T2_jT3_P12ihipStream_tbPNSt15iterator_traitsISN_E10value_typeEPNST_ISO_E10value_typeEPSP_NS1_7vsmem_tEENKUlT_SN_SO_SP_E_clISG_PjSI_PS9_EESM_S12_SN_SO_SP_EUlS12_E_NS1_11comp_targetILNS1_3genE8ELNS1_11target_archE1030ELNS1_3gpuE2ELNS1_3repE0EEENS1_48merge_mergepath_partition_config_static_selectorELNS0_4arch9wavefront6targetE0EEEvSO_.numbered_sgpr, 0
	.set _ZN7rocprim17ROCPRIM_400000_NS6detail17trampoline_kernelINS0_14default_configENS1_38merge_sort_block_merge_config_selectorIjN6thrust23THRUST_200600_302600_NS5tupleIffNS6_9null_typeES8_S8_S8_S8_S8_S8_S8_EEEEZZNS1_27merge_sort_block_merge_implIS3_NS6_6detail15normal_iteratorINS6_10device_ptrIjEEEENSD_INSE_IS9_EEEEjNS1_19radix_merge_compareILb0ELb0EjNS0_19identity_decomposerEEEEE10hipError_tT0_T1_T2_jT3_P12ihipStream_tbPNSt15iterator_traitsISN_E10value_typeEPNST_ISO_E10value_typeEPSP_NS1_7vsmem_tEENKUlT_SN_SO_SP_E_clISG_PjSI_PS9_EESM_S12_SN_SO_SP_EUlS12_E_NS1_11comp_targetILNS1_3genE8ELNS1_11target_archE1030ELNS1_3gpuE2ELNS1_3repE0EEENS1_48merge_mergepath_partition_config_static_selectorELNS0_4arch9wavefront6targetE0EEEvSO_.num_named_barrier, 0
	.set _ZN7rocprim17ROCPRIM_400000_NS6detail17trampoline_kernelINS0_14default_configENS1_38merge_sort_block_merge_config_selectorIjN6thrust23THRUST_200600_302600_NS5tupleIffNS6_9null_typeES8_S8_S8_S8_S8_S8_S8_EEEEZZNS1_27merge_sort_block_merge_implIS3_NS6_6detail15normal_iteratorINS6_10device_ptrIjEEEENSD_INSE_IS9_EEEEjNS1_19radix_merge_compareILb0ELb0EjNS0_19identity_decomposerEEEEE10hipError_tT0_T1_T2_jT3_P12ihipStream_tbPNSt15iterator_traitsISN_E10value_typeEPNST_ISO_E10value_typeEPSP_NS1_7vsmem_tEENKUlT_SN_SO_SP_E_clISG_PjSI_PS9_EESM_S12_SN_SO_SP_EUlS12_E_NS1_11comp_targetILNS1_3genE8ELNS1_11target_archE1030ELNS1_3gpuE2ELNS1_3repE0EEENS1_48merge_mergepath_partition_config_static_selectorELNS0_4arch9wavefront6targetE0EEEvSO_.private_seg_size, 0
	.set _ZN7rocprim17ROCPRIM_400000_NS6detail17trampoline_kernelINS0_14default_configENS1_38merge_sort_block_merge_config_selectorIjN6thrust23THRUST_200600_302600_NS5tupleIffNS6_9null_typeES8_S8_S8_S8_S8_S8_S8_EEEEZZNS1_27merge_sort_block_merge_implIS3_NS6_6detail15normal_iteratorINS6_10device_ptrIjEEEENSD_INSE_IS9_EEEEjNS1_19radix_merge_compareILb0ELb0EjNS0_19identity_decomposerEEEEE10hipError_tT0_T1_T2_jT3_P12ihipStream_tbPNSt15iterator_traitsISN_E10value_typeEPNST_ISO_E10value_typeEPSP_NS1_7vsmem_tEENKUlT_SN_SO_SP_E_clISG_PjSI_PS9_EESM_S12_SN_SO_SP_EUlS12_E_NS1_11comp_targetILNS1_3genE8ELNS1_11target_archE1030ELNS1_3gpuE2ELNS1_3repE0EEENS1_48merge_mergepath_partition_config_static_selectorELNS0_4arch9wavefront6targetE0EEEvSO_.uses_vcc, 0
	.set _ZN7rocprim17ROCPRIM_400000_NS6detail17trampoline_kernelINS0_14default_configENS1_38merge_sort_block_merge_config_selectorIjN6thrust23THRUST_200600_302600_NS5tupleIffNS6_9null_typeES8_S8_S8_S8_S8_S8_S8_EEEEZZNS1_27merge_sort_block_merge_implIS3_NS6_6detail15normal_iteratorINS6_10device_ptrIjEEEENSD_INSE_IS9_EEEEjNS1_19radix_merge_compareILb0ELb0EjNS0_19identity_decomposerEEEEE10hipError_tT0_T1_T2_jT3_P12ihipStream_tbPNSt15iterator_traitsISN_E10value_typeEPNST_ISO_E10value_typeEPSP_NS1_7vsmem_tEENKUlT_SN_SO_SP_E_clISG_PjSI_PS9_EESM_S12_SN_SO_SP_EUlS12_E_NS1_11comp_targetILNS1_3genE8ELNS1_11target_archE1030ELNS1_3gpuE2ELNS1_3repE0EEENS1_48merge_mergepath_partition_config_static_selectorELNS0_4arch9wavefront6targetE0EEEvSO_.uses_flat_scratch, 0
	.set _ZN7rocprim17ROCPRIM_400000_NS6detail17trampoline_kernelINS0_14default_configENS1_38merge_sort_block_merge_config_selectorIjN6thrust23THRUST_200600_302600_NS5tupleIffNS6_9null_typeES8_S8_S8_S8_S8_S8_S8_EEEEZZNS1_27merge_sort_block_merge_implIS3_NS6_6detail15normal_iteratorINS6_10device_ptrIjEEEENSD_INSE_IS9_EEEEjNS1_19radix_merge_compareILb0ELb0EjNS0_19identity_decomposerEEEEE10hipError_tT0_T1_T2_jT3_P12ihipStream_tbPNSt15iterator_traitsISN_E10value_typeEPNST_ISO_E10value_typeEPSP_NS1_7vsmem_tEENKUlT_SN_SO_SP_E_clISG_PjSI_PS9_EESM_S12_SN_SO_SP_EUlS12_E_NS1_11comp_targetILNS1_3genE8ELNS1_11target_archE1030ELNS1_3gpuE2ELNS1_3repE0EEENS1_48merge_mergepath_partition_config_static_selectorELNS0_4arch9wavefront6targetE0EEEvSO_.has_dyn_sized_stack, 0
	.set _ZN7rocprim17ROCPRIM_400000_NS6detail17trampoline_kernelINS0_14default_configENS1_38merge_sort_block_merge_config_selectorIjN6thrust23THRUST_200600_302600_NS5tupleIffNS6_9null_typeES8_S8_S8_S8_S8_S8_S8_EEEEZZNS1_27merge_sort_block_merge_implIS3_NS6_6detail15normal_iteratorINS6_10device_ptrIjEEEENSD_INSE_IS9_EEEEjNS1_19radix_merge_compareILb0ELb0EjNS0_19identity_decomposerEEEEE10hipError_tT0_T1_T2_jT3_P12ihipStream_tbPNSt15iterator_traitsISN_E10value_typeEPNST_ISO_E10value_typeEPSP_NS1_7vsmem_tEENKUlT_SN_SO_SP_E_clISG_PjSI_PS9_EESM_S12_SN_SO_SP_EUlS12_E_NS1_11comp_targetILNS1_3genE8ELNS1_11target_archE1030ELNS1_3gpuE2ELNS1_3repE0EEENS1_48merge_mergepath_partition_config_static_selectorELNS0_4arch9wavefront6targetE0EEEvSO_.has_recursion, 0
	.set _ZN7rocprim17ROCPRIM_400000_NS6detail17trampoline_kernelINS0_14default_configENS1_38merge_sort_block_merge_config_selectorIjN6thrust23THRUST_200600_302600_NS5tupleIffNS6_9null_typeES8_S8_S8_S8_S8_S8_S8_EEEEZZNS1_27merge_sort_block_merge_implIS3_NS6_6detail15normal_iteratorINS6_10device_ptrIjEEEENSD_INSE_IS9_EEEEjNS1_19radix_merge_compareILb0ELb0EjNS0_19identity_decomposerEEEEE10hipError_tT0_T1_T2_jT3_P12ihipStream_tbPNSt15iterator_traitsISN_E10value_typeEPNST_ISO_E10value_typeEPSP_NS1_7vsmem_tEENKUlT_SN_SO_SP_E_clISG_PjSI_PS9_EESM_S12_SN_SO_SP_EUlS12_E_NS1_11comp_targetILNS1_3genE8ELNS1_11target_archE1030ELNS1_3gpuE2ELNS1_3repE0EEENS1_48merge_mergepath_partition_config_static_selectorELNS0_4arch9wavefront6targetE0EEEvSO_.has_indirect_call, 0
	.section	.AMDGPU.csdata,"",@progbits
; Kernel info:
; codeLenInByte = 0
; TotalNumSgprs: 0
; NumVgprs: 0
; ScratchSize: 0
; MemoryBound: 0
; FloatMode: 240
; IeeeMode: 1
; LDSByteSize: 0 bytes/workgroup (compile time only)
; SGPRBlocks: 0
; VGPRBlocks: 0
; NumSGPRsForWavesPerEU: 1
; NumVGPRsForWavesPerEU: 1
; Occupancy: 16
; WaveLimiterHint : 0
; COMPUTE_PGM_RSRC2:SCRATCH_EN: 0
; COMPUTE_PGM_RSRC2:USER_SGPR: 2
; COMPUTE_PGM_RSRC2:TRAP_HANDLER: 0
; COMPUTE_PGM_RSRC2:TGID_X_EN: 1
; COMPUTE_PGM_RSRC2:TGID_Y_EN: 0
; COMPUTE_PGM_RSRC2:TGID_Z_EN: 0
; COMPUTE_PGM_RSRC2:TIDIG_COMP_CNT: 0
	.section	.text._ZN7rocprim17ROCPRIM_400000_NS6detail17trampoline_kernelINS0_14default_configENS1_38merge_sort_block_merge_config_selectorIjN6thrust23THRUST_200600_302600_NS5tupleIffNS6_9null_typeES8_S8_S8_S8_S8_S8_S8_EEEEZZNS1_27merge_sort_block_merge_implIS3_NS6_6detail15normal_iteratorINS6_10device_ptrIjEEEENSD_INSE_IS9_EEEEjNS1_19radix_merge_compareILb0ELb0EjNS0_19identity_decomposerEEEEE10hipError_tT0_T1_T2_jT3_P12ihipStream_tbPNSt15iterator_traitsISN_E10value_typeEPNST_ISO_E10value_typeEPSP_NS1_7vsmem_tEENKUlT_SN_SO_SP_E_clISG_PjSI_PS9_EESM_S12_SN_SO_SP_EUlS12_E0_NS1_11comp_targetILNS1_3genE0ELNS1_11target_archE4294967295ELNS1_3gpuE0ELNS1_3repE0EEENS1_38merge_mergepath_config_static_selectorELNS0_4arch9wavefront6targetE0EEEvSO_,"axG",@progbits,_ZN7rocprim17ROCPRIM_400000_NS6detail17trampoline_kernelINS0_14default_configENS1_38merge_sort_block_merge_config_selectorIjN6thrust23THRUST_200600_302600_NS5tupleIffNS6_9null_typeES8_S8_S8_S8_S8_S8_S8_EEEEZZNS1_27merge_sort_block_merge_implIS3_NS6_6detail15normal_iteratorINS6_10device_ptrIjEEEENSD_INSE_IS9_EEEEjNS1_19radix_merge_compareILb0ELb0EjNS0_19identity_decomposerEEEEE10hipError_tT0_T1_T2_jT3_P12ihipStream_tbPNSt15iterator_traitsISN_E10value_typeEPNST_ISO_E10value_typeEPSP_NS1_7vsmem_tEENKUlT_SN_SO_SP_E_clISG_PjSI_PS9_EESM_S12_SN_SO_SP_EUlS12_E0_NS1_11comp_targetILNS1_3genE0ELNS1_11target_archE4294967295ELNS1_3gpuE0ELNS1_3repE0EEENS1_38merge_mergepath_config_static_selectorELNS0_4arch9wavefront6targetE0EEEvSO_,comdat
	.protected	_ZN7rocprim17ROCPRIM_400000_NS6detail17trampoline_kernelINS0_14default_configENS1_38merge_sort_block_merge_config_selectorIjN6thrust23THRUST_200600_302600_NS5tupleIffNS6_9null_typeES8_S8_S8_S8_S8_S8_S8_EEEEZZNS1_27merge_sort_block_merge_implIS3_NS6_6detail15normal_iteratorINS6_10device_ptrIjEEEENSD_INSE_IS9_EEEEjNS1_19radix_merge_compareILb0ELb0EjNS0_19identity_decomposerEEEEE10hipError_tT0_T1_T2_jT3_P12ihipStream_tbPNSt15iterator_traitsISN_E10value_typeEPNST_ISO_E10value_typeEPSP_NS1_7vsmem_tEENKUlT_SN_SO_SP_E_clISG_PjSI_PS9_EESM_S12_SN_SO_SP_EUlS12_E0_NS1_11comp_targetILNS1_3genE0ELNS1_11target_archE4294967295ELNS1_3gpuE0ELNS1_3repE0EEENS1_38merge_mergepath_config_static_selectorELNS0_4arch9wavefront6targetE0EEEvSO_ ; -- Begin function _ZN7rocprim17ROCPRIM_400000_NS6detail17trampoline_kernelINS0_14default_configENS1_38merge_sort_block_merge_config_selectorIjN6thrust23THRUST_200600_302600_NS5tupleIffNS6_9null_typeES8_S8_S8_S8_S8_S8_S8_EEEEZZNS1_27merge_sort_block_merge_implIS3_NS6_6detail15normal_iteratorINS6_10device_ptrIjEEEENSD_INSE_IS9_EEEEjNS1_19radix_merge_compareILb0ELb0EjNS0_19identity_decomposerEEEEE10hipError_tT0_T1_T2_jT3_P12ihipStream_tbPNSt15iterator_traitsISN_E10value_typeEPNST_ISO_E10value_typeEPSP_NS1_7vsmem_tEENKUlT_SN_SO_SP_E_clISG_PjSI_PS9_EESM_S12_SN_SO_SP_EUlS12_E0_NS1_11comp_targetILNS1_3genE0ELNS1_11target_archE4294967295ELNS1_3gpuE0ELNS1_3repE0EEENS1_38merge_mergepath_config_static_selectorELNS0_4arch9wavefront6targetE0EEEvSO_
	.globl	_ZN7rocprim17ROCPRIM_400000_NS6detail17trampoline_kernelINS0_14default_configENS1_38merge_sort_block_merge_config_selectorIjN6thrust23THRUST_200600_302600_NS5tupleIffNS6_9null_typeES8_S8_S8_S8_S8_S8_S8_EEEEZZNS1_27merge_sort_block_merge_implIS3_NS6_6detail15normal_iteratorINS6_10device_ptrIjEEEENSD_INSE_IS9_EEEEjNS1_19radix_merge_compareILb0ELb0EjNS0_19identity_decomposerEEEEE10hipError_tT0_T1_T2_jT3_P12ihipStream_tbPNSt15iterator_traitsISN_E10value_typeEPNST_ISO_E10value_typeEPSP_NS1_7vsmem_tEENKUlT_SN_SO_SP_E_clISG_PjSI_PS9_EESM_S12_SN_SO_SP_EUlS12_E0_NS1_11comp_targetILNS1_3genE0ELNS1_11target_archE4294967295ELNS1_3gpuE0ELNS1_3repE0EEENS1_38merge_mergepath_config_static_selectorELNS0_4arch9wavefront6targetE0EEEvSO_
	.p2align	8
	.type	_ZN7rocprim17ROCPRIM_400000_NS6detail17trampoline_kernelINS0_14default_configENS1_38merge_sort_block_merge_config_selectorIjN6thrust23THRUST_200600_302600_NS5tupleIffNS6_9null_typeES8_S8_S8_S8_S8_S8_S8_EEEEZZNS1_27merge_sort_block_merge_implIS3_NS6_6detail15normal_iteratorINS6_10device_ptrIjEEEENSD_INSE_IS9_EEEEjNS1_19radix_merge_compareILb0ELb0EjNS0_19identity_decomposerEEEEE10hipError_tT0_T1_T2_jT3_P12ihipStream_tbPNSt15iterator_traitsISN_E10value_typeEPNST_ISO_E10value_typeEPSP_NS1_7vsmem_tEENKUlT_SN_SO_SP_E_clISG_PjSI_PS9_EESM_S12_SN_SO_SP_EUlS12_E0_NS1_11comp_targetILNS1_3genE0ELNS1_11target_archE4294967295ELNS1_3gpuE0ELNS1_3repE0EEENS1_38merge_mergepath_config_static_selectorELNS0_4arch9wavefront6targetE0EEEvSO_,@function
_ZN7rocprim17ROCPRIM_400000_NS6detail17trampoline_kernelINS0_14default_configENS1_38merge_sort_block_merge_config_selectorIjN6thrust23THRUST_200600_302600_NS5tupleIffNS6_9null_typeES8_S8_S8_S8_S8_S8_S8_EEEEZZNS1_27merge_sort_block_merge_implIS3_NS6_6detail15normal_iteratorINS6_10device_ptrIjEEEENSD_INSE_IS9_EEEEjNS1_19radix_merge_compareILb0ELb0EjNS0_19identity_decomposerEEEEE10hipError_tT0_T1_T2_jT3_P12ihipStream_tbPNSt15iterator_traitsISN_E10value_typeEPNST_ISO_E10value_typeEPSP_NS1_7vsmem_tEENKUlT_SN_SO_SP_E_clISG_PjSI_PS9_EESM_S12_SN_SO_SP_EUlS12_E0_NS1_11comp_targetILNS1_3genE0ELNS1_11target_archE4294967295ELNS1_3gpuE0ELNS1_3repE0EEENS1_38merge_mergepath_config_static_selectorELNS0_4arch9wavefront6targetE0EEEvSO_: ; @_ZN7rocprim17ROCPRIM_400000_NS6detail17trampoline_kernelINS0_14default_configENS1_38merge_sort_block_merge_config_selectorIjN6thrust23THRUST_200600_302600_NS5tupleIffNS6_9null_typeES8_S8_S8_S8_S8_S8_S8_EEEEZZNS1_27merge_sort_block_merge_implIS3_NS6_6detail15normal_iteratorINS6_10device_ptrIjEEEENSD_INSE_IS9_EEEEjNS1_19radix_merge_compareILb0ELb0EjNS0_19identity_decomposerEEEEE10hipError_tT0_T1_T2_jT3_P12ihipStream_tbPNSt15iterator_traitsISN_E10value_typeEPNST_ISO_E10value_typeEPSP_NS1_7vsmem_tEENKUlT_SN_SO_SP_E_clISG_PjSI_PS9_EESM_S12_SN_SO_SP_EUlS12_E0_NS1_11comp_targetILNS1_3genE0ELNS1_11target_archE4294967295ELNS1_3gpuE0ELNS1_3repE0EEENS1_38merge_mergepath_config_static_selectorELNS0_4arch9wavefront6targetE0EEEvSO_
; %bb.0:
	.section	.rodata,"a",@progbits
	.p2align	6, 0x0
	.amdhsa_kernel _ZN7rocprim17ROCPRIM_400000_NS6detail17trampoline_kernelINS0_14default_configENS1_38merge_sort_block_merge_config_selectorIjN6thrust23THRUST_200600_302600_NS5tupleIffNS6_9null_typeES8_S8_S8_S8_S8_S8_S8_EEEEZZNS1_27merge_sort_block_merge_implIS3_NS6_6detail15normal_iteratorINS6_10device_ptrIjEEEENSD_INSE_IS9_EEEEjNS1_19radix_merge_compareILb0ELb0EjNS0_19identity_decomposerEEEEE10hipError_tT0_T1_T2_jT3_P12ihipStream_tbPNSt15iterator_traitsISN_E10value_typeEPNST_ISO_E10value_typeEPSP_NS1_7vsmem_tEENKUlT_SN_SO_SP_E_clISG_PjSI_PS9_EESM_S12_SN_SO_SP_EUlS12_E0_NS1_11comp_targetILNS1_3genE0ELNS1_11target_archE4294967295ELNS1_3gpuE0ELNS1_3repE0EEENS1_38merge_mergepath_config_static_selectorELNS0_4arch9wavefront6targetE0EEEvSO_
		.amdhsa_group_segment_fixed_size 0
		.amdhsa_private_segment_fixed_size 0
		.amdhsa_kernarg_size 64
		.amdhsa_user_sgpr_count 2
		.amdhsa_user_sgpr_dispatch_ptr 0
		.amdhsa_user_sgpr_queue_ptr 0
		.amdhsa_user_sgpr_kernarg_segment_ptr 1
		.amdhsa_user_sgpr_dispatch_id 0
		.amdhsa_user_sgpr_private_segment_size 0
		.amdhsa_wavefront_size32 1
		.amdhsa_uses_dynamic_stack 0
		.amdhsa_enable_private_segment 0
		.amdhsa_system_sgpr_workgroup_id_x 1
		.amdhsa_system_sgpr_workgroup_id_y 0
		.amdhsa_system_sgpr_workgroup_id_z 0
		.amdhsa_system_sgpr_workgroup_info 0
		.amdhsa_system_vgpr_workitem_id 0
		.amdhsa_next_free_vgpr 1
		.amdhsa_next_free_sgpr 1
		.amdhsa_reserve_vcc 0
		.amdhsa_float_round_mode_32 0
		.amdhsa_float_round_mode_16_64 0
		.amdhsa_float_denorm_mode_32 3
		.amdhsa_float_denorm_mode_16_64 3
		.amdhsa_fp16_overflow 0
		.amdhsa_workgroup_processor_mode 1
		.amdhsa_memory_ordered 1
		.amdhsa_forward_progress 1
		.amdhsa_inst_pref_size 0
		.amdhsa_round_robin_scheduling 0
		.amdhsa_exception_fp_ieee_invalid_op 0
		.amdhsa_exception_fp_denorm_src 0
		.amdhsa_exception_fp_ieee_div_zero 0
		.amdhsa_exception_fp_ieee_overflow 0
		.amdhsa_exception_fp_ieee_underflow 0
		.amdhsa_exception_fp_ieee_inexact 0
		.amdhsa_exception_int_div_zero 0
	.end_amdhsa_kernel
	.section	.text._ZN7rocprim17ROCPRIM_400000_NS6detail17trampoline_kernelINS0_14default_configENS1_38merge_sort_block_merge_config_selectorIjN6thrust23THRUST_200600_302600_NS5tupleIffNS6_9null_typeES8_S8_S8_S8_S8_S8_S8_EEEEZZNS1_27merge_sort_block_merge_implIS3_NS6_6detail15normal_iteratorINS6_10device_ptrIjEEEENSD_INSE_IS9_EEEEjNS1_19radix_merge_compareILb0ELb0EjNS0_19identity_decomposerEEEEE10hipError_tT0_T1_T2_jT3_P12ihipStream_tbPNSt15iterator_traitsISN_E10value_typeEPNST_ISO_E10value_typeEPSP_NS1_7vsmem_tEENKUlT_SN_SO_SP_E_clISG_PjSI_PS9_EESM_S12_SN_SO_SP_EUlS12_E0_NS1_11comp_targetILNS1_3genE0ELNS1_11target_archE4294967295ELNS1_3gpuE0ELNS1_3repE0EEENS1_38merge_mergepath_config_static_selectorELNS0_4arch9wavefront6targetE0EEEvSO_,"axG",@progbits,_ZN7rocprim17ROCPRIM_400000_NS6detail17trampoline_kernelINS0_14default_configENS1_38merge_sort_block_merge_config_selectorIjN6thrust23THRUST_200600_302600_NS5tupleIffNS6_9null_typeES8_S8_S8_S8_S8_S8_S8_EEEEZZNS1_27merge_sort_block_merge_implIS3_NS6_6detail15normal_iteratorINS6_10device_ptrIjEEEENSD_INSE_IS9_EEEEjNS1_19radix_merge_compareILb0ELb0EjNS0_19identity_decomposerEEEEE10hipError_tT0_T1_T2_jT3_P12ihipStream_tbPNSt15iterator_traitsISN_E10value_typeEPNST_ISO_E10value_typeEPSP_NS1_7vsmem_tEENKUlT_SN_SO_SP_E_clISG_PjSI_PS9_EESM_S12_SN_SO_SP_EUlS12_E0_NS1_11comp_targetILNS1_3genE0ELNS1_11target_archE4294967295ELNS1_3gpuE0ELNS1_3repE0EEENS1_38merge_mergepath_config_static_selectorELNS0_4arch9wavefront6targetE0EEEvSO_,comdat
.Lfunc_end57:
	.size	_ZN7rocprim17ROCPRIM_400000_NS6detail17trampoline_kernelINS0_14default_configENS1_38merge_sort_block_merge_config_selectorIjN6thrust23THRUST_200600_302600_NS5tupleIffNS6_9null_typeES8_S8_S8_S8_S8_S8_S8_EEEEZZNS1_27merge_sort_block_merge_implIS3_NS6_6detail15normal_iteratorINS6_10device_ptrIjEEEENSD_INSE_IS9_EEEEjNS1_19radix_merge_compareILb0ELb0EjNS0_19identity_decomposerEEEEE10hipError_tT0_T1_T2_jT3_P12ihipStream_tbPNSt15iterator_traitsISN_E10value_typeEPNST_ISO_E10value_typeEPSP_NS1_7vsmem_tEENKUlT_SN_SO_SP_E_clISG_PjSI_PS9_EESM_S12_SN_SO_SP_EUlS12_E0_NS1_11comp_targetILNS1_3genE0ELNS1_11target_archE4294967295ELNS1_3gpuE0ELNS1_3repE0EEENS1_38merge_mergepath_config_static_selectorELNS0_4arch9wavefront6targetE0EEEvSO_, .Lfunc_end57-_ZN7rocprim17ROCPRIM_400000_NS6detail17trampoline_kernelINS0_14default_configENS1_38merge_sort_block_merge_config_selectorIjN6thrust23THRUST_200600_302600_NS5tupleIffNS6_9null_typeES8_S8_S8_S8_S8_S8_S8_EEEEZZNS1_27merge_sort_block_merge_implIS3_NS6_6detail15normal_iteratorINS6_10device_ptrIjEEEENSD_INSE_IS9_EEEEjNS1_19radix_merge_compareILb0ELb0EjNS0_19identity_decomposerEEEEE10hipError_tT0_T1_T2_jT3_P12ihipStream_tbPNSt15iterator_traitsISN_E10value_typeEPNST_ISO_E10value_typeEPSP_NS1_7vsmem_tEENKUlT_SN_SO_SP_E_clISG_PjSI_PS9_EESM_S12_SN_SO_SP_EUlS12_E0_NS1_11comp_targetILNS1_3genE0ELNS1_11target_archE4294967295ELNS1_3gpuE0ELNS1_3repE0EEENS1_38merge_mergepath_config_static_selectorELNS0_4arch9wavefront6targetE0EEEvSO_
                                        ; -- End function
	.set _ZN7rocprim17ROCPRIM_400000_NS6detail17trampoline_kernelINS0_14default_configENS1_38merge_sort_block_merge_config_selectorIjN6thrust23THRUST_200600_302600_NS5tupleIffNS6_9null_typeES8_S8_S8_S8_S8_S8_S8_EEEEZZNS1_27merge_sort_block_merge_implIS3_NS6_6detail15normal_iteratorINS6_10device_ptrIjEEEENSD_INSE_IS9_EEEEjNS1_19radix_merge_compareILb0ELb0EjNS0_19identity_decomposerEEEEE10hipError_tT0_T1_T2_jT3_P12ihipStream_tbPNSt15iterator_traitsISN_E10value_typeEPNST_ISO_E10value_typeEPSP_NS1_7vsmem_tEENKUlT_SN_SO_SP_E_clISG_PjSI_PS9_EESM_S12_SN_SO_SP_EUlS12_E0_NS1_11comp_targetILNS1_3genE0ELNS1_11target_archE4294967295ELNS1_3gpuE0ELNS1_3repE0EEENS1_38merge_mergepath_config_static_selectorELNS0_4arch9wavefront6targetE0EEEvSO_.num_vgpr, 0
	.set _ZN7rocprim17ROCPRIM_400000_NS6detail17trampoline_kernelINS0_14default_configENS1_38merge_sort_block_merge_config_selectorIjN6thrust23THRUST_200600_302600_NS5tupleIffNS6_9null_typeES8_S8_S8_S8_S8_S8_S8_EEEEZZNS1_27merge_sort_block_merge_implIS3_NS6_6detail15normal_iteratorINS6_10device_ptrIjEEEENSD_INSE_IS9_EEEEjNS1_19radix_merge_compareILb0ELb0EjNS0_19identity_decomposerEEEEE10hipError_tT0_T1_T2_jT3_P12ihipStream_tbPNSt15iterator_traitsISN_E10value_typeEPNST_ISO_E10value_typeEPSP_NS1_7vsmem_tEENKUlT_SN_SO_SP_E_clISG_PjSI_PS9_EESM_S12_SN_SO_SP_EUlS12_E0_NS1_11comp_targetILNS1_3genE0ELNS1_11target_archE4294967295ELNS1_3gpuE0ELNS1_3repE0EEENS1_38merge_mergepath_config_static_selectorELNS0_4arch9wavefront6targetE0EEEvSO_.num_agpr, 0
	.set _ZN7rocprim17ROCPRIM_400000_NS6detail17trampoline_kernelINS0_14default_configENS1_38merge_sort_block_merge_config_selectorIjN6thrust23THRUST_200600_302600_NS5tupleIffNS6_9null_typeES8_S8_S8_S8_S8_S8_S8_EEEEZZNS1_27merge_sort_block_merge_implIS3_NS6_6detail15normal_iteratorINS6_10device_ptrIjEEEENSD_INSE_IS9_EEEEjNS1_19radix_merge_compareILb0ELb0EjNS0_19identity_decomposerEEEEE10hipError_tT0_T1_T2_jT3_P12ihipStream_tbPNSt15iterator_traitsISN_E10value_typeEPNST_ISO_E10value_typeEPSP_NS1_7vsmem_tEENKUlT_SN_SO_SP_E_clISG_PjSI_PS9_EESM_S12_SN_SO_SP_EUlS12_E0_NS1_11comp_targetILNS1_3genE0ELNS1_11target_archE4294967295ELNS1_3gpuE0ELNS1_3repE0EEENS1_38merge_mergepath_config_static_selectorELNS0_4arch9wavefront6targetE0EEEvSO_.numbered_sgpr, 0
	.set _ZN7rocprim17ROCPRIM_400000_NS6detail17trampoline_kernelINS0_14default_configENS1_38merge_sort_block_merge_config_selectorIjN6thrust23THRUST_200600_302600_NS5tupleIffNS6_9null_typeES8_S8_S8_S8_S8_S8_S8_EEEEZZNS1_27merge_sort_block_merge_implIS3_NS6_6detail15normal_iteratorINS6_10device_ptrIjEEEENSD_INSE_IS9_EEEEjNS1_19radix_merge_compareILb0ELb0EjNS0_19identity_decomposerEEEEE10hipError_tT0_T1_T2_jT3_P12ihipStream_tbPNSt15iterator_traitsISN_E10value_typeEPNST_ISO_E10value_typeEPSP_NS1_7vsmem_tEENKUlT_SN_SO_SP_E_clISG_PjSI_PS9_EESM_S12_SN_SO_SP_EUlS12_E0_NS1_11comp_targetILNS1_3genE0ELNS1_11target_archE4294967295ELNS1_3gpuE0ELNS1_3repE0EEENS1_38merge_mergepath_config_static_selectorELNS0_4arch9wavefront6targetE0EEEvSO_.num_named_barrier, 0
	.set _ZN7rocprim17ROCPRIM_400000_NS6detail17trampoline_kernelINS0_14default_configENS1_38merge_sort_block_merge_config_selectorIjN6thrust23THRUST_200600_302600_NS5tupleIffNS6_9null_typeES8_S8_S8_S8_S8_S8_S8_EEEEZZNS1_27merge_sort_block_merge_implIS3_NS6_6detail15normal_iteratorINS6_10device_ptrIjEEEENSD_INSE_IS9_EEEEjNS1_19radix_merge_compareILb0ELb0EjNS0_19identity_decomposerEEEEE10hipError_tT0_T1_T2_jT3_P12ihipStream_tbPNSt15iterator_traitsISN_E10value_typeEPNST_ISO_E10value_typeEPSP_NS1_7vsmem_tEENKUlT_SN_SO_SP_E_clISG_PjSI_PS9_EESM_S12_SN_SO_SP_EUlS12_E0_NS1_11comp_targetILNS1_3genE0ELNS1_11target_archE4294967295ELNS1_3gpuE0ELNS1_3repE0EEENS1_38merge_mergepath_config_static_selectorELNS0_4arch9wavefront6targetE0EEEvSO_.private_seg_size, 0
	.set _ZN7rocprim17ROCPRIM_400000_NS6detail17trampoline_kernelINS0_14default_configENS1_38merge_sort_block_merge_config_selectorIjN6thrust23THRUST_200600_302600_NS5tupleIffNS6_9null_typeES8_S8_S8_S8_S8_S8_S8_EEEEZZNS1_27merge_sort_block_merge_implIS3_NS6_6detail15normal_iteratorINS6_10device_ptrIjEEEENSD_INSE_IS9_EEEEjNS1_19radix_merge_compareILb0ELb0EjNS0_19identity_decomposerEEEEE10hipError_tT0_T1_T2_jT3_P12ihipStream_tbPNSt15iterator_traitsISN_E10value_typeEPNST_ISO_E10value_typeEPSP_NS1_7vsmem_tEENKUlT_SN_SO_SP_E_clISG_PjSI_PS9_EESM_S12_SN_SO_SP_EUlS12_E0_NS1_11comp_targetILNS1_3genE0ELNS1_11target_archE4294967295ELNS1_3gpuE0ELNS1_3repE0EEENS1_38merge_mergepath_config_static_selectorELNS0_4arch9wavefront6targetE0EEEvSO_.uses_vcc, 0
	.set _ZN7rocprim17ROCPRIM_400000_NS6detail17trampoline_kernelINS0_14default_configENS1_38merge_sort_block_merge_config_selectorIjN6thrust23THRUST_200600_302600_NS5tupleIffNS6_9null_typeES8_S8_S8_S8_S8_S8_S8_EEEEZZNS1_27merge_sort_block_merge_implIS3_NS6_6detail15normal_iteratorINS6_10device_ptrIjEEEENSD_INSE_IS9_EEEEjNS1_19radix_merge_compareILb0ELb0EjNS0_19identity_decomposerEEEEE10hipError_tT0_T1_T2_jT3_P12ihipStream_tbPNSt15iterator_traitsISN_E10value_typeEPNST_ISO_E10value_typeEPSP_NS1_7vsmem_tEENKUlT_SN_SO_SP_E_clISG_PjSI_PS9_EESM_S12_SN_SO_SP_EUlS12_E0_NS1_11comp_targetILNS1_3genE0ELNS1_11target_archE4294967295ELNS1_3gpuE0ELNS1_3repE0EEENS1_38merge_mergepath_config_static_selectorELNS0_4arch9wavefront6targetE0EEEvSO_.uses_flat_scratch, 0
	.set _ZN7rocprim17ROCPRIM_400000_NS6detail17trampoline_kernelINS0_14default_configENS1_38merge_sort_block_merge_config_selectorIjN6thrust23THRUST_200600_302600_NS5tupleIffNS6_9null_typeES8_S8_S8_S8_S8_S8_S8_EEEEZZNS1_27merge_sort_block_merge_implIS3_NS6_6detail15normal_iteratorINS6_10device_ptrIjEEEENSD_INSE_IS9_EEEEjNS1_19radix_merge_compareILb0ELb0EjNS0_19identity_decomposerEEEEE10hipError_tT0_T1_T2_jT3_P12ihipStream_tbPNSt15iterator_traitsISN_E10value_typeEPNST_ISO_E10value_typeEPSP_NS1_7vsmem_tEENKUlT_SN_SO_SP_E_clISG_PjSI_PS9_EESM_S12_SN_SO_SP_EUlS12_E0_NS1_11comp_targetILNS1_3genE0ELNS1_11target_archE4294967295ELNS1_3gpuE0ELNS1_3repE0EEENS1_38merge_mergepath_config_static_selectorELNS0_4arch9wavefront6targetE0EEEvSO_.has_dyn_sized_stack, 0
	.set _ZN7rocprim17ROCPRIM_400000_NS6detail17trampoline_kernelINS0_14default_configENS1_38merge_sort_block_merge_config_selectorIjN6thrust23THRUST_200600_302600_NS5tupleIffNS6_9null_typeES8_S8_S8_S8_S8_S8_S8_EEEEZZNS1_27merge_sort_block_merge_implIS3_NS6_6detail15normal_iteratorINS6_10device_ptrIjEEEENSD_INSE_IS9_EEEEjNS1_19radix_merge_compareILb0ELb0EjNS0_19identity_decomposerEEEEE10hipError_tT0_T1_T2_jT3_P12ihipStream_tbPNSt15iterator_traitsISN_E10value_typeEPNST_ISO_E10value_typeEPSP_NS1_7vsmem_tEENKUlT_SN_SO_SP_E_clISG_PjSI_PS9_EESM_S12_SN_SO_SP_EUlS12_E0_NS1_11comp_targetILNS1_3genE0ELNS1_11target_archE4294967295ELNS1_3gpuE0ELNS1_3repE0EEENS1_38merge_mergepath_config_static_selectorELNS0_4arch9wavefront6targetE0EEEvSO_.has_recursion, 0
	.set _ZN7rocprim17ROCPRIM_400000_NS6detail17trampoline_kernelINS0_14default_configENS1_38merge_sort_block_merge_config_selectorIjN6thrust23THRUST_200600_302600_NS5tupleIffNS6_9null_typeES8_S8_S8_S8_S8_S8_S8_EEEEZZNS1_27merge_sort_block_merge_implIS3_NS6_6detail15normal_iteratorINS6_10device_ptrIjEEEENSD_INSE_IS9_EEEEjNS1_19radix_merge_compareILb0ELb0EjNS0_19identity_decomposerEEEEE10hipError_tT0_T1_T2_jT3_P12ihipStream_tbPNSt15iterator_traitsISN_E10value_typeEPNST_ISO_E10value_typeEPSP_NS1_7vsmem_tEENKUlT_SN_SO_SP_E_clISG_PjSI_PS9_EESM_S12_SN_SO_SP_EUlS12_E0_NS1_11comp_targetILNS1_3genE0ELNS1_11target_archE4294967295ELNS1_3gpuE0ELNS1_3repE0EEENS1_38merge_mergepath_config_static_selectorELNS0_4arch9wavefront6targetE0EEEvSO_.has_indirect_call, 0
	.section	.AMDGPU.csdata,"",@progbits
; Kernel info:
; codeLenInByte = 0
; TotalNumSgprs: 0
; NumVgprs: 0
; ScratchSize: 0
; MemoryBound: 0
; FloatMode: 240
; IeeeMode: 1
; LDSByteSize: 0 bytes/workgroup (compile time only)
; SGPRBlocks: 0
; VGPRBlocks: 0
; NumSGPRsForWavesPerEU: 1
; NumVGPRsForWavesPerEU: 1
; Occupancy: 16
; WaveLimiterHint : 0
; COMPUTE_PGM_RSRC2:SCRATCH_EN: 0
; COMPUTE_PGM_RSRC2:USER_SGPR: 2
; COMPUTE_PGM_RSRC2:TRAP_HANDLER: 0
; COMPUTE_PGM_RSRC2:TGID_X_EN: 1
; COMPUTE_PGM_RSRC2:TGID_Y_EN: 0
; COMPUTE_PGM_RSRC2:TGID_Z_EN: 0
; COMPUTE_PGM_RSRC2:TIDIG_COMP_CNT: 0
	.section	.text._ZN7rocprim17ROCPRIM_400000_NS6detail17trampoline_kernelINS0_14default_configENS1_38merge_sort_block_merge_config_selectorIjN6thrust23THRUST_200600_302600_NS5tupleIffNS6_9null_typeES8_S8_S8_S8_S8_S8_S8_EEEEZZNS1_27merge_sort_block_merge_implIS3_NS6_6detail15normal_iteratorINS6_10device_ptrIjEEEENSD_INSE_IS9_EEEEjNS1_19radix_merge_compareILb0ELb0EjNS0_19identity_decomposerEEEEE10hipError_tT0_T1_T2_jT3_P12ihipStream_tbPNSt15iterator_traitsISN_E10value_typeEPNST_ISO_E10value_typeEPSP_NS1_7vsmem_tEENKUlT_SN_SO_SP_E_clISG_PjSI_PS9_EESM_S12_SN_SO_SP_EUlS12_E0_NS1_11comp_targetILNS1_3genE10ELNS1_11target_archE1201ELNS1_3gpuE5ELNS1_3repE0EEENS1_38merge_mergepath_config_static_selectorELNS0_4arch9wavefront6targetE0EEEvSO_,"axG",@progbits,_ZN7rocprim17ROCPRIM_400000_NS6detail17trampoline_kernelINS0_14default_configENS1_38merge_sort_block_merge_config_selectorIjN6thrust23THRUST_200600_302600_NS5tupleIffNS6_9null_typeES8_S8_S8_S8_S8_S8_S8_EEEEZZNS1_27merge_sort_block_merge_implIS3_NS6_6detail15normal_iteratorINS6_10device_ptrIjEEEENSD_INSE_IS9_EEEEjNS1_19radix_merge_compareILb0ELb0EjNS0_19identity_decomposerEEEEE10hipError_tT0_T1_T2_jT3_P12ihipStream_tbPNSt15iterator_traitsISN_E10value_typeEPNST_ISO_E10value_typeEPSP_NS1_7vsmem_tEENKUlT_SN_SO_SP_E_clISG_PjSI_PS9_EESM_S12_SN_SO_SP_EUlS12_E0_NS1_11comp_targetILNS1_3genE10ELNS1_11target_archE1201ELNS1_3gpuE5ELNS1_3repE0EEENS1_38merge_mergepath_config_static_selectorELNS0_4arch9wavefront6targetE0EEEvSO_,comdat
	.protected	_ZN7rocprim17ROCPRIM_400000_NS6detail17trampoline_kernelINS0_14default_configENS1_38merge_sort_block_merge_config_selectorIjN6thrust23THRUST_200600_302600_NS5tupleIffNS6_9null_typeES8_S8_S8_S8_S8_S8_S8_EEEEZZNS1_27merge_sort_block_merge_implIS3_NS6_6detail15normal_iteratorINS6_10device_ptrIjEEEENSD_INSE_IS9_EEEEjNS1_19radix_merge_compareILb0ELb0EjNS0_19identity_decomposerEEEEE10hipError_tT0_T1_T2_jT3_P12ihipStream_tbPNSt15iterator_traitsISN_E10value_typeEPNST_ISO_E10value_typeEPSP_NS1_7vsmem_tEENKUlT_SN_SO_SP_E_clISG_PjSI_PS9_EESM_S12_SN_SO_SP_EUlS12_E0_NS1_11comp_targetILNS1_3genE10ELNS1_11target_archE1201ELNS1_3gpuE5ELNS1_3repE0EEENS1_38merge_mergepath_config_static_selectorELNS0_4arch9wavefront6targetE0EEEvSO_ ; -- Begin function _ZN7rocprim17ROCPRIM_400000_NS6detail17trampoline_kernelINS0_14default_configENS1_38merge_sort_block_merge_config_selectorIjN6thrust23THRUST_200600_302600_NS5tupleIffNS6_9null_typeES8_S8_S8_S8_S8_S8_S8_EEEEZZNS1_27merge_sort_block_merge_implIS3_NS6_6detail15normal_iteratorINS6_10device_ptrIjEEEENSD_INSE_IS9_EEEEjNS1_19radix_merge_compareILb0ELb0EjNS0_19identity_decomposerEEEEE10hipError_tT0_T1_T2_jT3_P12ihipStream_tbPNSt15iterator_traitsISN_E10value_typeEPNST_ISO_E10value_typeEPSP_NS1_7vsmem_tEENKUlT_SN_SO_SP_E_clISG_PjSI_PS9_EESM_S12_SN_SO_SP_EUlS12_E0_NS1_11comp_targetILNS1_3genE10ELNS1_11target_archE1201ELNS1_3gpuE5ELNS1_3repE0EEENS1_38merge_mergepath_config_static_selectorELNS0_4arch9wavefront6targetE0EEEvSO_
	.globl	_ZN7rocprim17ROCPRIM_400000_NS6detail17trampoline_kernelINS0_14default_configENS1_38merge_sort_block_merge_config_selectorIjN6thrust23THRUST_200600_302600_NS5tupleIffNS6_9null_typeES8_S8_S8_S8_S8_S8_S8_EEEEZZNS1_27merge_sort_block_merge_implIS3_NS6_6detail15normal_iteratorINS6_10device_ptrIjEEEENSD_INSE_IS9_EEEEjNS1_19radix_merge_compareILb0ELb0EjNS0_19identity_decomposerEEEEE10hipError_tT0_T1_T2_jT3_P12ihipStream_tbPNSt15iterator_traitsISN_E10value_typeEPNST_ISO_E10value_typeEPSP_NS1_7vsmem_tEENKUlT_SN_SO_SP_E_clISG_PjSI_PS9_EESM_S12_SN_SO_SP_EUlS12_E0_NS1_11comp_targetILNS1_3genE10ELNS1_11target_archE1201ELNS1_3gpuE5ELNS1_3repE0EEENS1_38merge_mergepath_config_static_selectorELNS0_4arch9wavefront6targetE0EEEvSO_
	.p2align	8
	.type	_ZN7rocprim17ROCPRIM_400000_NS6detail17trampoline_kernelINS0_14default_configENS1_38merge_sort_block_merge_config_selectorIjN6thrust23THRUST_200600_302600_NS5tupleIffNS6_9null_typeES8_S8_S8_S8_S8_S8_S8_EEEEZZNS1_27merge_sort_block_merge_implIS3_NS6_6detail15normal_iteratorINS6_10device_ptrIjEEEENSD_INSE_IS9_EEEEjNS1_19radix_merge_compareILb0ELb0EjNS0_19identity_decomposerEEEEE10hipError_tT0_T1_T2_jT3_P12ihipStream_tbPNSt15iterator_traitsISN_E10value_typeEPNST_ISO_E10value_typeEPSP_NS1_7vsmem_tEENKUlT_SN_SO_SP_E_clISG_PjSI_PS9_EESM_S12_SN_SO_SP_EUlS12_E0_NS1_11comp_targetILNS1_3genE10ELNS1_11target_archE1201ELNS1_3gpuE5ELNS1_3repE0EEENS1_38merge_mergepath_config_static_selectorELNS0_4arch9wavefront6targetE0EEEvSO_,@function
_ZN7rocprim17ROCPRIM_400000_NS6detail17trampoline_kernelINS0_14default_configENS1_38merge_sort_block_merge_config_selectorIjN6thrust23THRUST_200600_302600_NS5tupleIffNS6_9null_typeES8_S8_S8_S8_S8_S8_S8_EEEEZZNS1_27merge_sort_block_merge_implIS3_NS6_6detail15normal_iteratorINS6_10device_ptrIjEEEENSD_INSE_IS9_EEEEjNS1_19radix_merge_compareILb0ELb0EjNS0_19identity_decomposerEEEEE10hipError_tT0_T1_T2_jT3_P12ihipStream_tbPNSt15iterator_traitsISN_E10value_typeEPNST_ISO_E10value_typeEPSP_NS1_7vsmem_tEENKUlT_SN_SO_SP_E_clISG_PjSI_PS9_EESM_S12_SN_SO_SP_EUlS12_E0_NS1_11comp_targetILNS1_3genE10ELNS1_11target_archE1201ELNS1_3gpuE5ELNS1_3repE0EEENS1_38merge_mergepath_config_static_selectorELNS0_4arch9wavefront6targetE0EEEvSO_: ; @_ZN7rocprim17ROCPRIM_400000_NS6detail17trampoline_kernelINS0_14default_configENS1_38merge_sort_block_merge_config_selectorIjN6thrust23THRUST_200600_302600_NS5tupleIffNS6_9null_typeES8_S8_S8_S8_S8_S8_S8_EEEEZZNS1_27merge_sort_block_merge_implIS3_NS6_6detail15normal_iteratorINS6_10device_ptrIjEEEENSD_INSE_IS9_EEEEjNS1_19radix_merge_compareILb0ELb0EjNS0_19identity_decomposerEEEEE10hipError_tT0_T1_T2_jT3_P12ihipStream_tbPNSt15iterator_traitsISN_E10value_typeEPNST_ISO_E10value_typeEPSP_NS1_7vsmem_tEENKUlT_SN_SO_SP_E_clISG_PjSI_PS9_EESM_S12_SN_SO_SP_EUlS12_E0_NS1_11comp_targetILNS1_3genE10ELNS1_11target_archE1201ELNS1_3gpuE5ELNS1_3repE0EEENS1_38merge_mergepath_config_static_selectorELNS0_4arch9wavefront6targetE0EEEvSO_
; %bb.0:
	s_clause 0x1
	s_load_b64 s[18:19], s[0:1], 0x40
	s_load_b32 s2, s[0:1], 0x30
	s_lshr_b32 s3, ttmp7, 16
	s_and_b32 s4, ttmp7, 0xffff
	s_wait_kmcnt 0x0
	s_mul_i32 s3, s19, s3
	s_delay_alu instid0(SALU_CYCLE_1) | instskip(NEXT) | instid1(SALU_CYCLE_1)
	s_add_co_i32 s3, s3, s4
	s_mul_i32 s3, s3, s18
	s_delay_alu instid0(SALU_CYCLE_1) | instskip(NEXT) | instid1(SALU_CYCLE_1)
	s_add_co_i32 s16, s3, ttmp9
	s_cmp_ge_u32 s16, s2
	s_cbranch_scc1 .LBB58_38
; %bb.1:
	v_mov_b32_e32 v2, 0
	s_add_nc_u64 s[20:21], s[0:1], 64
	s_mov_b32 s17, 0
	v_lshlrev_b32_e32 v7, 2, v0
                                        ; implicit-def: $vgpr9
	global_load_b32 v1, v2, s[20:21] offset:14
	s_clause 0x1
	s_load_b256 s[4:11], s[0:1], 0x10
	s_load_b64 s[2:3], s[0:1], 0x38
	s_wait_kmcnt 0x0
	s_lshr_b32 s23, s10, 10
	s_delay_alu instid0(SALU_CYCLE_1) | instskip(SKIP_2) | instid1(SALU_CYCLE_1)
	s_cmp_lg_u32 s16, s23
	s_cselect_b32 s22, -1, 0
	s_lshl_b64 s[12:13], s[16:17], 2
	s_add_nc_u64 s[2:3], s[2:3], s[12:13]
	s_lshr_b32 s12, s11, 9
	s_load_b64 s[2:3], s[2:3], 0x0
	s_and_b32 s12, s12, 0x7ffffe
	s_delay_alu instid0(SALU_CYCLE_1)
	s_sub_co_i32 s13, 0, s12
	s_lshl_b32 s12, s16, 10
	s_and_b32 s14, s16, s13
	s_or_b32 s13, s16, s13
	s_lshl_b32 s15, s14, 11
	s_lshl_b32 s14, s14, 10
	s_add_co_i32 s15, s15, s11
	s_sub_co_i32 s19, s12, s14
	s_sub_co_i32 s14, s15, s14
	s_add_co_i32 s15, s15, s19
	s_min_u32 s19, s10, s14
	s_add_co_i32 s11, s14, s11
	s_wait_kmcnt 0x0
	s_sub_co_i32 s14, s15, s2
	s_sub_co_i32 s15, s15, s3
	s_min_u32 s14, s10, s14
	s_add_co_i32 s24, s15, 0x400
	s_cmp_eq_u32 s13, -1
	s_mov_b32 s15, s17
	s_cselect_b32 s11, s11, s24
	s_cselect_b32 s19, s19, s3
	s_mov_b32 s3, s17
	s_lshl_b64 s[24:25], s[14:15], 2
	s_min_u32 s13, s11, s10
	s_sub_co_i32 s11, s19, s2
	s_lshl_b64 s[26:27], s[2:3], 2
	s_cmp_lt_u32 ttmp9, s18
	s_mov_b32 s19, s17
	s_cselect_b32 s18, 12, 18
	s_cmp_eq_u32 s16, s23
	s_add_nc_u64 s[18:19], s[20:21], s[18:19]
	s_load_u16 s20, s[18:19], 0x0
	s_load_b64 s[18:19], s[0:1], 0x8
	s_mov_b32 s0, -1
	s_wait_loadcnt 0x0
	v_lshrrev_b32_e32 v3, 16, v1
	v_and_b32_e32 v1, 0xffff, v1
	s_delay_alu instid0(VALU_DEP_1) | instskip(SKIP_1) | instid1(VALU_DEP_1)
	v_mul_lo_u32 v1, v1, v3
	s_wait_kmcnt 0x0
	v_mul_lo_u32 v4, v1, s20
	s_add_nc_u64 s[20:21], s[18:19], s[26:27]
	s_add_nc_u64 s[18:19], s[18:19], s[24:25]
                                        ; implicit-def: $vgpr1
	s_delay_alu instid0(VALU_DEP_1)
	v_add_nc_u32_e32 v3, v4, v0
	s_cbranch_scc0 .LBB58_7
; %bb.2:
	s_and_not1_b32 vcc_lo, exec_lo, s0
	s_sub_co_i32 s1, s13, s14
	s_cbranch_vccz .LBB58_8
.LBB58_3:
	v_mov_b32_e32 v10, 0
	s_and_saveexec_b32 s13, s17
	s_cbranch_execz .LBB58_5
.LBB58_4:
	v_mov_b32_e32 v6, 0
	s_delay_alu instid0(VALU_DEP_1) | instskip(NEXT) | instid1(VALU_DEP_1)
	v_mov_b32_e32 v2, v6
	v_lshlrev_b64_e32 v[10:11], 2, v[1:2]
	s_wait_alu 0xfffe
	s_delay_alu instid0(VALU_DEP_1) | instskip(SKIP_1) | instid1(VALU_DEP_2)
	v_add_co_u32 v8, vcc_lo, s20, v10
	s_wait_alu 0xfffd
	v_add_co_ci_u32_e64 v10, null, s21, v11, vcc_lo
	v_sub_co_u32 v5, vcc_lo, v1, s11
	s_delay_alu instid0(VALU_DEP_1) | instskip(NEXT) | instid1(VALU_DEP_1)
	v_lshlrev_b64_e32 v[1:2], 2, v[5:6]
	v_add_co_u32 v1, s0, s18, v1
	s_wait_alu 0xf1ff
	s_delay_alu instid0(VALU_DEP_2) | instskip(SKIP_1) | instid1(VALU_DEP_1)
	v_add_co_ci_u32_e64 v2, null, s19, v2, s0
	s_wait_alu 0xfffd
	v_dual_cndmask_b32 v1, v1, v8 :: v_dual_cndmask_b32 v2, v2, v10
	global_load_b32 v10, v[1:2], off
.LBB58_5:
	s_wait_alu 0xfffe
	s_or_b32 exec_lo, exec_lo, s13
	v_lshlrev_b32_e32 v8, 3, v0
	s_lshl_b64 s[2:3], s[2:3], 3
	s_lshl_b64 s[14:15], s[14:15], 3
	s_add_nc_u64 s[2:3], s[6:7], s[2:3]
	s_and_not1_b32 vcc_lo, exec_lo, s22
	s_add_nc_u64 s[6:7], s[6:7], s[14:15]
	s_wait_loadcnt 0x0
	ds_store_2addr_stride64_b32 v7, v9, v10 offset1:8
	s_wait_alu 0xfffe
	s_cbranch_vccnz .LBB58_11
; %bb.6:
	v_add_co_u32 v5, s0, s2, v8
	v_sub_co_u32 v1, vcc_lo, v0, s11
	v_mov_b32_e32 v2, 0
	s_wait_alu 0xf1ff
	v_add_co_ci_u32_e64 v6, null, s3, 0, s0
	s_delay_alu instid0(VALU_DEP_2) | instskip(NEXT) | instid1(VALU_DEP_1)
	v_lshlrev_b64_e32 v[1:2], 3, v[1:2]
	v_add_co_u32 v1, s0, s6, v1
	s_wait_alu 0xf1ff
	s_delay_alu instid0(VALU_DEP_2)
	v_add_co_ci_u32_e64 v2, null, s7, v2, s0
	s_add_co_i32 s0, s1, s11
	s_wait_alu 0xfffd
	v_cndmask_b32_e32 v1, v1, v5, vcc_lo
	v_dual_cndmask_b32 v2, v2, v6 :: v_dual_add_nc_u32 v5, v4, v0
	s_wait_alu 0xfffe
	v_mov_b32_e32 v11, s0
	s_mov_b32 s0, -1
	global_load_b64 v[1:2], v[1:2], off
	s_cbranch_execz .LBB58_12
	s_branch .LBB58_15
.LBB58_7:
	v_sub_co_u32 v1, vcc_lo, v0, s11
	s_wait_alu 0xfffe
	v_add_co_u32 v5, s0, s20, v7
	s_delay_alu instid0(VALU_DEP_1) | instskip(NEXT) | instid1(VALU_DEP_3)
	v_add_co_ci_u32_e64 v6, null, s21, 0, s0
	v_lshlrev_b64_e32 v[1:2], 2, v[1:2]
	s_mov_b32 s17, -1
	s_delay_alu instid0(VALU_DEP_1) | instskip(SKIP_1) | instid1(VALU_DEP_2)
	v_add_co_u32 v1, s0, s18, v1
	s_wait_alu 0xf1ff
	v_add_co_ci_u32_e64 v2, null, s19, v2, s0
	s_delay_alu instid0(VALU_DEP_1)
	v_dual_cndmask_b32 v1, v1, v5 :: v_dual_cndmask_b32 v2, v2, v6
	global_load_b32 v9, v[1:2], off
	v_add_nc_u32_e32 v1, v4, v0
	s_sub_co_i32 s1, s13, s14
	s_cbranch_execnz .LBB58_3
.LBB58_8:
	s_wait_loadcnt 0x0
	v_mov_b32_e32 v9, 0
	s_wait_alu 0xfffe
	s_add_co_i32 s13, s1, s11
	s_mov_b32 s16, exec_lo
	v_cmpx_gt_u32_e64 s13, v0
	s_cbranch_execz .LBB58_10
; %bb.9:
	v_add_co_u32 v5, s0, s20, v7
	v_sub_co_u32 v1, vcc_lo, v0, s11
	v_mov_b32_e32 v2, 0
	s_wait_alu 0xf1ff
	v_add_co_ci_u32_e64 v6, null, s21, 0, s0
	s_delay_alu instid0(VALU_DEP_2) | instskip(NEXT) | instid1(VALU_DEP_1)
	v_lshlrev_b64_e32 v[1:2], 2, v[1:2]
	v_add_co_u32 v1, s0, s18, v1
	s_wait_alu 0xf1ff
	s_delay_alu instid0(VALU_DEP_2) | instskip(SKIP_1) | instid1(VALU_DEP_1)
	v_add_co_ci_u32_e64 v2, null, s19, v2, s0
	s_wait_alu 0xfffd
	v_dual_cndmask_b32 v1, v1, v5 :: v_dual_cndmask_b32 v2, v2, v6
	global_load_b32 v9, v[1:2], off
.LBB58_10:
	s_or_b32 exec_lo, exec_lo, s16
	v_add_nc_u32_e32 v1, v4, v0
	s_delay_alu instid0(VALU_DEP_1)
	v_cmp_gt_u32_e64 s17, s13, v1
	v_mov_b32_e32 v10, 0
	s_and_saveexec_b32 s13, s17
	s_cbranch_execnz .LBB58_4
	s_branch .LBB58_5
.LBB58_11:
	s_mov_b32 s0, 0
                                        ; implicit-def: $vgpr5
                                        ; implicit-def: $vgpr1
                                        ; implicit-def: $vgpr11
.LBB58_12:
	s_wait_loadcnt 0x0
	v_dual_mov_b32 v2, 0 :: v_dual_mov_b32 v1, 0
	s_add_co_i32 s13, s1, s11
	s_mov_b32 s14, exec_lo
	s_wait_alu 0xfffe
	v_cmpx_gt_u32_e64 s13, v0
	s_cbranch_execz .LBB58_14
; %bb.13:
	v_add_co_u32 v4, s0, s2, v8
	v_sub_co_u32 v1, vcc_lo, v0, s11
	v_mov_b32_e32 v2, 0
	s_wait_alu 0xf1ff
	v_add_co_ci_u32_e64 v5, null, s3, 0, s0
	s_delay_alu instid0(VALU_DEP_2) | instskip(NEXT) | instid1(VALU_DEP_1)
	v_lshlrev_b64_e32 v[1:2], 3, v[1:2]
	v_add_co_u32 v1, s0, s6, v1
	s_wait_alu 0xf1ff
	s_delay_alu instid0(VALU_DEP_2) | instskip(SKIP_1) | instid1(VALU_DEP_1)
	v_add_co_ci_u32_e64 v2, null, s7, v2, s0
	s_wait_alu 0xfffd
	v_dual_cndmask_b32 v1, v1, v4 :: v_dual_cndmask_b32 v2, v2, v5
	global_load_b64 v[1:2], v[1:2], off
.LBB58_14:
	s_or_b32 exec_lo, exec_lo, s14
	v_cmp_gt_u32_e64 s0, s13, v3
	v_mov_b32_e32 v11, s13
	v_mov_b32_e32 v5, v3
.LBB58_15:
	v_dual_mov_b32 v4, 0 :: v_dual_mov_b32 v3, 0
	s_wait_alu 0xfffe
	s_and_saveexec_b32 s13, s0
	s_cbranch_execz .LBB58_17
; %bb.16:
	v_mov_b32_e32 v4, 0
	s_delay_alu instid0(VALU_DEP_1) | instskip(NEXT) | instid1(VALU_DEP_1)
	v_mov_b32_e32 v6, v4
	v_lshlrev_b64_e32 v[12:13], 3, v[5:6]
	s_delay_alu instid0(VALU_DEP_1) | instskip(SKIP_1) | instid1(VALU_DEP_2)
	v_add_co_u32 v6, vcc_lo, s2, v12
	s_wait_alu 0xfffd
	v_add_co_ci_u32_e64 v12, null, s3, v13, vcc_lo
	v_sub_co_u32 v3, vcc_lo, v5, s11
	s_delay_alu instid0(VALU_DEP_1) | instskip(NEXT) | instid1(VALU_DEP_1)
	v_lshlrev_b64_e32 v[3:4], 3, v[3:4]
	v_add_co_u32 v3, s0, s6, v3
	s_wait_alu 0xf1ff
	s_delay_alu instid0(VALU_DEP_2) | instskip(SKIP_1) | instid1(VALU_DEP_1)
	v_add_co_ci_u32_e64 v4, null, s7, v4, s0
	s_wait_alu 0xfffd
	v_dual_cndmask_b32 v3, v3, v6 :: v_dual_cndmask_b32 v4, v4, v12
	global_load_b64 v[3:4], v[3:4], off
.LBB58_17:
	s_wait_alu 0xfffe
	s_or_b32 exec_lo, exec_lo, s13
	v_lshlrev_b32_e32 v5, 1, v0
	s_mov_b32 s0, exec_lo
	s_wait_loadcnt_dscnt 0x0
	s_barrier_signal -1
	s_barrier_wait -1
	v_min_u32_e32 v12, v11, v5
	global_inv scope:SCOPE_SE
	v_sub_nc_u32_e64 v6, v12, s1 clamp
	v_min_u32_e32 v13, s11, v12
	s_delay_alu instid0(VALU_DEP_1)
	v_cmpx_lt_u32_e64 v6, v13
	s_cbranch_execz .LBB58_21
; %bb.18:
	v_lshlrev_b32_e32 v14, 2, v12
	s_mov_b32 s1, 0
	s_delay_alu instid0(VALU_DEP_1)
	v_lshl_add_u32 v14, s11, 2, v14
.LBB58_19:                              ; =>This Inner Loop Header: Depth=1
	v_add_nc_u32_e32 v15, v13, v6
	s_delay_alu instid0(VALU_DEP_1) | instskip(NEXT) | instid1(VALU_DEP_1)
	v_lshrrev_b32_e32 v15, 1, v15
	v_not_b32_e32 v16, v15
	v_add_nc_u32_e32 v18, 1, v15
	v_lshlrev_b32_e32 v17, 2, v15
	s_delay_alu instid0(VALU_DEP_3)
	v_lshl_add_u32 v16, v16, 2, v14
	ds_load_b32 v17, v17
	ds_load_b32 v16, v16
	s_wait_dscnt 0x0
	v_cmp_gt_u32_e32 vcc_lo, v17, v16
	s_wait_alu 0xfffd
	v_dual_cndmask_b32 v13, v13, v15 :: v_dual_cndmask_b32 v6, v18, v6
	s_delay_alu instid0(VALU_DEP_1)
	v_cmp_ge_u32_e32 vcc_lo, v6, v13
	s_wait_alu 0xfffe
	s_or_b32 s1, vcc_lo, s1
	s_wait_alu 0xfffe
	s_and_not1_b32 exec_lo, exec_lo, s1
	s_cbranch_execnz .LBB58_19
; %bb.20:
	s_or_b32 exec_lo, exec_lo, s1
.LBB58_21:
	s_wait_alu 0xfffe
	s_or_b32 exec_lo, exec_lo, s0
	v_sub_nc_u32_e32 v12, v12, v6
	v_cmp_ge_u32_e32 vcc_lo, s11, v6
	s_delay_alu instid0(VALU_DEP_2) | instskip(SKIP_1) | instid1(VALU_DEP_2)
	v_dual_mov_b32 v14, 0 :: v_dual_add_nc_u32 v13, s11, v12
	v_mov_b32_e32 v12, 0
	v_cmp_le_u32_e64 s0, v13, v11
	s_or_b32 s0, vcc_lo, s0
	s_wait_alu 0xfffe
	s_and_saveexec_b32 s3, s0
	s_cbranch_execz .LBB58_27
; %bb.22:
	v_cmp_gt_u32_e32 vcc_lo, s11, v6
                                        ; implicit-def: $vgpr9
	s_and_saveexec_b32 s0, vcc_lo
; %bb.23:
	v_lshlrev_b32_e32 v9, 2, v6
	ds_load_b32 v9, v9
; %bb.24:
	s_wait_alu 0xfffe
	s_or_b32 exec_lo, exec_lo, s0
	v_cmp_ge_u32_e64 s0, v13, v11
	s_mov_b32 s2, exec_lo
                                        ; implicit-def: $vgpr10
	v_cmpx_lt_u32_e64 v13, v11
; %bb.25:
	v_lshlrev_b32_e32 v10, 2, v13
	ds_load_b32 v10, v10
; %bb.26:
	s_wait_alu 0xfffe
	s_or_b32 exec_lo, exec_lo, s2
	s_wait_dscnt 0x0
	v_cmp_le_u32_e64 s1, v9, v10
	s_and_b32 s1, vcc_lo, s1
	s_wait_alu 0xfffe
	s_or_b32 vcc_lo, s0, s1
	s_wait_alu 0xfffe
	v_cndmask_b32_e32 v12, v13, v6, vcc_lo
	v_cndmask_b32_e64 v14, v11, s11, vcc_lo
	s_delay_alu instid0(VALU_DEP_2) | instskip(NEXT) | instid1(VALU_DEP_2)
	v_add_nc_u32_e32 v15, 1, v12
	v_add_nc_u32_e32 v14, -1, v14
	s_delay_alu instid0(VALU_DEP_1) | instskip(NEXT) | instid1(VALU_DEP_1)
	v_min_u32_e32 v14, v15, v14
	v_lshlrev_b32_e32 v14, 2, v14
	ds_load_b32 v14, v14
	s_wait_dscnt 0x0
	v_cndmask_b32_e32 v16, v14, v10, vcc_lo
	v_dual_cndmask_b32 v6, v6, v15 :: v_dual_cndmask_b32 v17, v9, v14
	v_cndmask_b32_e32 v13, v15, v13, vcc_lo
	v_cndmask_b32_e32 v9, v10, v9, vcc_lo
	s_delay_alu instid0(VALU_DEP_3) | instskip(NEXT) | instid1(VALU_DEP_4)
	v_cmp_gt_u32_e64 s0, s11, v6
	v_cmp_le_u32_e64 s1, v17, v16
	s_delay_alu instid0(VALU_DEP_4)
	v_cmp_ge_u32_e64 s2, v13, v11
	s_and_b32 s0, s0, s1
	s_wait_alu 0xfffe
	s_or_b32 vcc_lo, s2, s0
	s_wait_alu 0xfffe
	v_cndmask_b32_e32 v14, v13, v6, vcc_lo
	v_cndmask_b32_e32 v10, v16, v17, vcc_lo
.LBB58_27:
	s_wait_alu 0xfffe
	s_or_b32 exec_lo, exec_lo, s3
	v_lshl_add_u32 v15, v0, 2, v7
	s_wait_loadcnt 0x0
	s_barrier_signal -1
	s_barrier_wait -1
	global_inv scope:SCOPE_SE
	ds_store_2addr_stride64_b64 v15, v[1:2], v[3:4] offset1:8
	v_lshlrev_b32_e32 v1, 3, v12
	v_lshlrev_b32_e32 v3, 3, v14
	s_wait_loadcnt_dscnt 0x0
	s_barrier_signal -1
	s_barrier_wait -1
	global_inv scope:SCOPE_SE
	ds_load_b64 v[1:2], v1
	ds_load_b64 v[3:4], v3
	v_lshrrev_b32_e32 v6, 4, v0
	v_or_b32_e32 v12, 0x200, v0
	s_mov_b32 s13, 0
	v_lshrrev_b32_e32 v13, 5, v0
	s_wait_alu 0xfffe
	s_lshl_b64 s[0:1], s[12:13], 2
	v_lshl_add_u32 v11, v6, 2, v15
	v_add_nc_u32_e32 v14, v6, v5
	v_lshrrev_b32_e32 v16, 5, v12
	s_wait_alu 0xfffe
	s_add_nc_u64 s[0:1], s[4:5], s[0:1]
	s_wait_loadcnt_dscnt 0x0
	s_wait_alu 0xfffe
	v_add_co_u32 v5, s0, s0, v7
	s_barrier_signal -1
	s_barrier_wait -1
	global_inv scope:SCOPE_SE
	s_wait_loadcnt 0x0
	s_barrier_signal -1
	s_barrier_wait -1
	global_inv scope:SCOPE_SE
	ds_store_2addr_b32 v11, v9, v10 offset1:1
	v_add_nc_u32_e32 v9, v13, v0
	v_lshl_add_u32 v10, v13, 2, v7
	v_lshl_add_u32 v13, v16, 2, v7
	s_wait_alu 0xf1ff
	v_add_co_ci_u32_e64 v6, null, s1, 0, s0
	v_lshl_add_u32 v11, v14, 2, v11
	v_lshl_add_u32 v7, v16, 3, v15
	s_and_b32 vcc_lo, exec_lo, s22
	s_mov_b32 s0, -1
	s_wait_loadcnt_dscnt 0x0
	s_wait_alu 0xfffe
	s_cbranch_vccz .LBB58_29
; %bb.28:
	s_barrier_signal -1
	s_barrier_wait -1
	global_inv scope:SCOPE_SE
	ds_load_b32 v14, v10
	ds_load_b32 v15, v13 offset:2048
	v_lshl_add_u32 v16, v9, 2, v10
	s_lshl_b64 s[0:1], s[12:13], 3
	s_wait_dscnt 0x1
	global_store_b32 v[5:6], v14, off
	s_wait_dscnt 0x0
	global_store_b32 v[5:6], v15, off offset:2048
	s_wait_loadcnt 0x0
	s_wait_storecnt 0x0
	s_barrier_signal -1
	s_barrier_wait -1
	global_inv scope:SCOPE_SE
	ds_store_2addr_b64 v11, v[1:2], v[3:4] offset1:1
	s_wait_loadcnt_dscnt 0x0
	s_barrier_signal -1
	s_barrier_wait -1
	global_inv scope:SCOPE_SE
	ds_load_b64 v[14:15], v16
	ds_load_b64 v[16:17], v7 offset:4096
	s_wait_alu 0xfffe
	s_add_nc_u64 s[2:3], s[8:9], s[0:1]
	s_mov_b32 s0, s13
	s_wait_dscnt 0x1
	global_store_b64 v8, v[14:15], s[2:3]
	s_wait_dscnt 0x0
	global_store_b64 v8, v[16:17], s[2:3] offset:4096
.LBB58_29:
	s_wait_alu 0xfffe
	s_and_not1_b32 vcc_lo, exec_lo, s0
	s_wait_alu 0xfffe
	s_cbranch_vccnz .LBB58_38
; %bb.30:
	s_barrier_signal -1
	s_barrier_wait -1
	s_wait_loadcnt 0x0
	s_wait_storecnt 0x0
	global_inv scope:SCOPE_SE
	ds_load_b32 v13, v13 offset:2048
	s_sub_co_i32 s0, s10, s12
	s_wait_alu 0xfffe
	v_cmp_gt_u32_e32 vcc_lo, s0, v0
	s_and_saveexec_b32 s1, vcc_lo
	s_cbranch_execz .LBB58_32
; %bb.31:
	ds_load_b32 v0, v10
	s_wait_dscnt 0x0
	global_store_b32 v[5:6], v0, off
.LBB58_32:
	s_wait_alu 0xfffe
	s_or_b32 exec_lo, exec_lo, s1
	v_cmp_gt_u32_e64 s0, s0, v12
	s_and_saveexec_b32 s1, s0
	s_cbranch_execz .LBB58_34
; %bb.33:
	s_wait_dscnt 0x0
	global_store_b32 v[5:6], v13, off offset:2048
.LBB58_34:
	s_wait_alu 0xfffe
	s_or_b32 exec_lo, exec_lo, s1
	s_wait_storecnt 0x0
	s_wait_loadcnt_dscnt 0x0
	s_barrier_signal -1
	s_barrier_wait -1
	global_inv scope:SCOPE_SE
	ds_store_2addr_b64 v11, v[1:2], v[3:4] offset1:1
	s_wait_loadcnt_dscnt 0x0
	s_barrier_signal -1
	s_barrier_wait -1
	global_inv scope:SCOPE_SE
	ds_load_b64 v[0:1], v7 offset:4096
	s_lshl_b64 s[2:3], s[12:13], 3
	s_wait_alu 0xfffe
	s_add_nc_u64 s[2:3], s[8:9], s[2:3]
	s_wait_alu 0xfffe
	v_add_co_u32 v2, s1, s2, v8
	s_wait_alu 0xf1ff
	v_add_co_ci_u32_e64 v3, null, s3, 0, s1
	s_and_saveexec_b32 s1, vcc_lo
	s_cbranch_execz .LBB58_36
; %bb.35:
	v_lshl_add_u32 v4, v9, 2, v10
	ds_load_b64 v[4:5], v4
	s_wait_dscnt 0x0
	global_store_b64 v[2:3], v[4:5], off
.LBB58_36:
	s_wait_alu 0xfffe
	s_or_b32 exec_lo, exec_lo, s1
	s_and_saveexec_b32 s1, s0
	s_cbranch_execz .LBB58_38
; %bb.37:
	s_wait_dscnt 0x0
	global_store_b64 v[2:3], v[0:1], off offset:4096
.LBB58_38:
	s_endpgm
	.section	.rodata,"a",@progbits
	.p2align	6, 0x0
	.amdhsa_kernel _ZN7rocprim17ROCPRIM_400000_NS6detail17trampoline_kernelINS0_14default_configENS1_38merge_sort_block_merge_config_selectorIjN6thrust23THRUST_200600_302600_NS5tupleIffNS6_9null_typeES8_S8_S8_S8_S8_S8_S8_EEEEZZNS1_27merge_sort_block_merge_implIS3_NS6_6detail15normal_iteratorINS6_10device_ptrIjEEEENSD_INSE_IS9_EEEEjNS1_19radix_merge_compareILb0ELb0EjNS0_19identity_decomposerEEEEE10hipError_tT0_T1_T2_jT3_P12ihipStream_tbPNSt15iterator_traitsISN_E10value_typeEPNST_ISO_E10value_typeEPSP_NS1_7vsmem_tEENKUlT_SN_SO_SP_E_clISG_PjSI_PS9_EESM_S12_SN_SO_SP_EUlS12_E0_NS1_11comp_targetILNS1_3genE10ELNS1_11target_archE1201ELNS1_3gpuE5ELNS1_3repE0EEENS1_38merge_mergepath_config_static_selectorELNS0_4arch9wavefront6targetE0EEEvSO_
		.amdhsa_group_segment_fixed_size 8448
		.amdhsa_private_segment_fixed_size 0
		.amdhsa_kernarg_size 320
		.amdhsa_user_sgpr_count 2
		.amdhsa_user_sgpr_dispatch_ptr 0
		.amdhsa_user_sgpr_queue_ptr 0
		.amdhsa_user_sgpr_kernarg_segment_ptr 1
		.amdhsa_user_sgpr_dispatch_id 0
		.amdhsa_user_sgpr_private_segment_size 0
		.amdhsa_wavefront_size32 1
		.amdhsa_uses_dynamic_stack 0
		.amdhsa_enable_private_segment 0
		.amdhsa_system_sgpr_workgroup_id_x 1
		.amdhsa_system_sgpr_workgroup_id_y 1
		.amdhsa_system_sgpr_workgroup_id_z 1
		.amdhsa_system_sgpr_workgroup_info 0
		.amdhsa_system_vgpr_workitem_id 0
		.amdhsa_next_free_vgpr 19
		.amdhsa_next_free_sgpr 28
		.amdhsa_reserve_vcc 1
		.amdhsa_float_round_mode_32 0
		.amdhsa_float_round_mode_16_64 0
		.amdhsa_float_denorm_mode_32 3
		.amdhsa_float_denorm_mode_16_64 3
		.amdhsa_fp16_overflow 0
		.amdhsa_workgroup_processor_mode 1
		.amdhsa_memory_ordered 1
		.amdhsa_forward_progress 1
		.amdhsa_inst_pref_size 20
		.amdhsa_round_robin_scheduling 0
		.amdhsa_exception_fp_ieee_invalid_op 0
		.amdhsa_exception_fp_denorm_src 0
		.amdhsa_exception_fp_ieee_div_zero 0
		.amdhsa_exception_fp_ieee_overflow 0
		.amdhsa_exception_fp_ieee_underflow 0
		.amdhsa_exception_fp_ieee_inexact 0
		.amdhsa_exception_int_div_zero 0
	.end_amdhsa_kernel
	.section	.text._ZN7rocprim17ROCPRIM_400000_NS6detail17trampoline_kernelINS0_14default_configENS1_38merge_sort_block_merge_config_selectorIjN6thrust23THRUST_200600_302600_NS5tupleIffNS6_9null_typeES8_S8_S8_S8_S8_S8_S8_EEEEZZNS1_27merge_sort_block_merge_implIS3_NS6_6detail15normal_iteratorINS6_10device_ptrIjEEEENSD_INSE_IS9_EEEEjNS1_19radix_merge_compareILb0ELb0EjNS0_19identity_decomposerEEEEE10hipError_tT0_T1_T2_jT3_P12ihipStream_tbPNSt15iterator_traitsISN_E10value_typeEPNST_ISO_E10value_typeEPSP_NS1_7vsmem_tEENKUlT_SN_SO_SP_E_clISG_PjSI_PS9_EESM_S12_SN_SO_SP_EUlS12_E0_NS1_11comp_targetILNS1_3genE10ELNS1_11target_archE1201ELNS1_3gpuE5ELNS1_3repE0EEENS1_38merge_mergepath_config_static_selectorELNS0_4arch9wavefront6targetE0EEEvSO_,"axG",@progbits,_ZN7rocprim17ROCPRIM_400000_NS6detail17trampoline_kernelINS0_14default_configENS1_38merge_sort_block_merge_config_selectorIjN6thrust23THRUST_200600_302600_NS5tupleIffNS6_9null_typeES8_S8_S8_S8_S8_S8_S8_EEEEZZNS1_27merge_sort_block_merge_implIS3_NS6_6detail15normal_iteratorINS6_10device_ptrIjEEEENSD_INSE_IS9_EEEEjNS1_19radix_merge_compareILb0ELb0EjNS0_19identity_decomposerEEEEE10hipError_tT0_T1_T2_jT3_P12ihipStream_tbPNSt15iterator_traitsISN_E10value_typeEPNST_ISO_E10value_typeEPSP_NS1_7vsmem_tEENKUlT_SN_SO_SP_E_clISG_PjSI_PS9_EESM_S12_SN_SO_SP_EUlS12_E0_NS1_11comp_targetILNS1_3genE10ELNS1_11target_archE1201ELNS1_3gpuE5ELNS1_3repE0EEENS1_38merge_mergepath_config_static_selectorELNS0_4arch9wavefront6targetE0EEEvSO_,comdat
.Lfunc_end58:
	.size	_ZN7rocprim17ROCPRIM_400000_NS6detail17trampoline_kernelINS0_14default_configENS1_38merge_sort_block_merge_config_selectorIjN6thrust23THRUST_200600_302600_NS5tupleIffNS6_9null_typeES8_S8_S8_S8_S8_S8_S8_EEEEZZNS1_27merge_sort_block_merge_implIS3_NS6_6detail15normal_iteratorINS6_10device_ptrIjEEEENSD_INSE_IS9_EEEEjNS1_19radix_merge_compareILb0ELb0EjNS0_19identity_decomposerEEEEE10hipError_tT0_T1_T2_jT3_P12ihipStream_tbPNSt15iterator_traitsISN_E10value_typeEPNST_ISO_E10value_typeEPSP_NS1_7vsmem_tEENKUlT_SN_SO_SP_E_clISG_PjSI_PS9_EESM_S12_SN_SO_SP_EUlS12_E0_NS1_11comp_targetILNS1_3genE10ELNS1_11target_archE1201ELNS1_3gpuE5ELNS1_3repE0EEENS1_38merge_mergepath_config_static_selectorELNS0_4arch9wavefront6targetE0EEEvSO_, .Lfunc_end58-_ZN7rocprim17ROCPRIM_400000_NS6detail17trampoline_kernelINS0_14default_configENS1_38merge_sort_block_merge_config_selectorIjN6thrust23THRUST_200600_302600_NS5tupleIffNS6_9null_typeES8_S8_S8_S8_S8_S8_S8_EEEEZZNS1_27merge_sort_block_merge_implIS3_NS6_6detail15normal_iteratorINS6_10device_ptrIjEEEENSD_INSE_IS9_EEEEjNS1_19radix_merge_compareILb0ELb0EjNS0_19identity_decomposerEEEEE10hipError_tT0_T1_T2_jT3_P12ihipStream_tbPNSt15iterator_traitsISN_E10value_typeEPNST_ISO_E10value_typeEPSP_NS1_7vsmem_tEENKUlT_SN_SO_SP_E_clISG_PjSI_PS9_EESM_S12_SN_SO_SP_EUlS12_E0_NS1_11comp_targetILNS1_3genE10ELNS1_11target_archE1201ELNS1_3gpuE5ELNS1_3repE0EEENS1_38merge_mergepath_config_static_selectorELNS0_4arch9wavefront6targetE0EEEvSO_
                                        ; -- End function
	.set _ZN7rocprim17ROCPRIM_400000_NS6detail17trampoline_kernelINS0_14default_configENS1_38merge_sort_block_merge_config_selectorIjN6thrust23THRUST_200600_302600_NS5tupleIffNS6_9null_typeES8_S8_S8_S8_S8_S8_S8_EEEEZZNS1_27merge_sort_block_merge_implIS3_NS6_6detail15normal_iteratorINS6_10device_ptrIjEEEENSD_INSE_IS9_EEEEjNS1_19radix_merge_compareILb0ELb0EjNS0_19identity_decomposerEEEEE10hipError_tT0_T1_T2_jT3_P12ihipStream_tbPNSt15iterator_traitsISN_E10value_typeEPNST_ISO_E10value_typeEPSP_NS1_7vsmem_tEENKUlT_SN_SO_SP_E_clISG_PjSI_PS9_EESM_S12_SN_SO_SP_EUlS12_E0_NS1_11comp_targetILNS1_3genE10ELNS1_11target_archE1201ELNS1_3gpuE5ELNS1_3repE0EEENS1_38merge_mergepath_config_static_selectorELNS0_4arch9wavefront6targetE0EEEvSO_.num_vgpr, 19
	.set _ZN7rocprim17ROCPRIM_400000_NS6detail17trampoline_kernelINS0_14default_configENS1_38merge_sort_block_merge_config_selectorIjN6thrust23THRUST_200600_302600_NS5tupleIffNS6_9null_typeES8_S8_S8_S8_S8_S8_S8_EEEEZZNS1_27merge_sort_block_merge_implIS3_NS6_6detail15normal_iteratorINS6_10device_ptrIjEEEENSD_INSE_IS9_EEEEjNS1_19radix_merge_compareILb0ELb0EjNS0_19identity_decomposerEEEEE10hipError_tT0_T1_T2_jT3_P12ihipStream_tbPNSt15iterator_traitsISN_E10value_typeEPNST_ISO_E10value_typeEPSP_NS1_7vsmem_tEENKUlT_SN_SO_SP_E_clISG_PjSI_PS9_EESM_S12_SN_SO_SP_EUlS12_E0_NS1_11comp_targetILNS1_3genE10ELNS1_11target_archE1201ELNS1_3gpuE5ELNS1_3repE0EEENS1_38merge_mergepath_config_static_selectorELNS0_4arch9wavefront6targetE0EEEvSO_.num_agpr, 0
	.set _ZN7rocprim17ROCPRIM_400000_NS6detail17trampoline_kernelINS0_14default_configENS1_38merge_sort_block_merge_config_selectorIjN6thrust23THRUST_200600_302600_NS5tupleIffNS6_9null_typeES8_S8_S8_S8_S8_S8_S8_EEEEZZNS1_27merge_sort_block_merge_implIS3_NS6_6detail15normal_iteratorINS6_10device_ptrIjEEEENSD_INSE_IS9_EEEEjNS1_19radix_merge_compareILb0ELb0EjNS0_19identity_decomposerEEEEE10hipError_tT0_T1_T2_jT3_P12ihipStream_tbPNSt15iterator_traitsISN_E10value_typeEPNST_ISO_E10value_typeEPSP_NS1_7vsmem_tEENKUlT_SN_SO_SP_E_clISG_PjSI_PS9_EESM_S12_SN_SO_SP_EUlS12_E0_NS1_11comp_targetILNS1_3genE10ELNS1_11target_archE1201ELNS1_3gpuE5ELNS1_3repE0EEENS1_38merge_mergepath_config_static_selectorELNS0_4arch9wavefront6targetE0EEEvSO_.numbered_sgpr, 28
	.set _ZN7rocprim17ROCPRIM_400000_NS6detail17trampoline_kernelINS0_14default_configENS1_38merge_sort_block_merge_config_selectorIjN6thrust23THRUST_200600_302600_NS5tupleIffNS6_9null_typeES8_S8_S8_S8_S8_S8_S8_EEEEZZNS1_27merge_sort_block_merge_implIS3_NS6_6detail15normal_iteratorINS6_10device_ptrIjEEEENSD_INSE_IS9_EEEEjNS1_19radix_merge_compareILb0ELb0EjNS0_19identity_decomposerEEEEE10hipError_tT0_T1_T2_jT3_P12ihipStream_tbPNSt15iterator_traitsISN_E10value_typeEPNST_ISO_E10value_typeEPSP_NS1_7vsmem_tEENKUlT_SN_SO_SP_E_clISG_PjSI_PS9_EESM_S12_SN_SO_SP_EUlS12_E0_NS1_11comp_targetILNS1_3genE10ELNS1_11target_archE1201ELNS1_3gpuE5ELNS1_3repE0EEENS1_38merge_mergepath_config_static_selectorELNS0_4arch9wavefront6targetE0EEEvSO_.num_named_barrier, 0
	.set _ZN7rocprim17ROCPRIM_400000_NS6detail17trampoline_kernelINS0_14default_configENS1_38merge_sort_block_merge_config_selectorIjN6thrust23THRUST_200600_302600_NS5tupleIffNS6_9null_typeES8_S8_S8_S8_S8_S8_S8_EEEEZZNS1_27merge_sort_block_merge_implIS3_NS6_6detail15normal_iteratorINS6_10device_ptrIjEEEENSD_INSE_IS9_EEEEjNS1_19radix_merge_compareILb0ELb0EjNS0_19identity_decomposerEEEEE10hipError_tT0_T1_T2_jT3_P12ihipStream_tbPNSt15iterator_traitsISN_E10value_typeEPNST_ISO_E10value_typeEPSP_NS1_7vsmem_tEENKUlT_SN_SO_SP_E_clISG_PjSI_PS9_EESM_S12_SN_SO_SP_EUlS12_E0_NS1_11comp_targetILNS1_3genE10ELNS1_11target_archE1201ELNS1_3gpuE5ELNS1_3repE0EEENS1_38merge_mergepath_config_static_selectorELNS0_4arch9wavefront6targetE0EEEvSO_.private_seg_size, 0
	.set _ZN7rocprim17ROCPRIM_400000_NS6detail17trampoline_kernelINS0_14default_configENS1_38merge_sort_block_merge_config_selectorIjN6thrust23THRUST_200600_302600_NS5tupleIffNS6_9null_typeES8_S8_S8_S8_S8_S8_S8_EEEEZZNS1_27merge_sort_block_merge_implIS3_NS6_6detail15normal_iteratorINS6_10device_ptrIjEEEENSD_INSE_IS9_EEEEjNS1_19radix_merge_compareILb0ELb0EjNS0_19identity_decomposerEEEEE10hipError_tT0_T1_T2_jT3_P12ihipStream_tbPNSt15iterator_traitsISN_E10value_typeEPNST_ISO_E10value_typeEPSP_NS1_7vsmem_tEENKUlT_SN_SO_SP_E_clISG_PjSI_PS9_EESM_S12_SN_SO_SP_EUlS12_E0_NS1_11comp_targetILNS1_3genE10ELNS1_11target_archE1201ELNS1_3gpuE5ELNS1_3repE0EEENS1_38merge_mergepath_config_static_selectorELNS0_4arch9wavefront6targetE0EEEvSO_.uses_vcc, 1
	.set _ZN7rocprim17ROCPRIM_400000_NS6detail17trampoline_kernelINS0_14default_configENS1_38merge_sort_block_merge_config_selectorIjN6thrust23THRUST_200600_302600_NS5tupleIffNS6_9null_typeES8_S8_S8_S8_S8_S8_S8_EEEEZZNS1_27merge_sort_block_merge_implIS3_NS6_6detail15normal_iteratorINS6_10device_ptrIjEEEENSD_INSE_IS9_EEEEjNS1_19radix_merge_compareILb0ELb0EjNS0_19identity_decomposerEEEEE10hipError_tT0_T1_T2_jT3_P12ihipStream_tbPNSt15iterator_traitsISN_E10value_typeEPNST_ISO_E10value_typeEPSP_NS1_7vsmem_tEENKUlT_SN_SO_SP_E_clISG_PjSI_PS9_EESM_S12_SN_SO_SP_EUlS12_E0_NS1_11comp_targetILNS1_3genE10ELNS1_11target_archE1201ELNS1_3gpuE5ELNS1_3repE0EEENS1_38merge_mergepath_config_static_selectorELNS0_4arch9wavefront6targetE0EEEvSO_.uses_flat_scratch, 0
	.set _ZN7rocprim17ROCPRIM_400000_NS6detail17trampoline_kernelINS0_14default_configENS1_38merge_sort_block_merge_config_selectorIjN6thrust23THRUST_200600_302600_NS5tupleIffNS6_9null_typeES8_S8_S8_S8_S8_S8_S8_EEEEZZNS1_27merge_sort_block_merge_implIS3_NS6_6detail15normal_iteratorINS6_10device_ptrIjEEEENSD_INSE_IS9_EEEEjNS1_19radix_merge_compareILb0ELb0EjNS0_19identity_decomposerEEEEE10hipError_tT0_T1_T2_jT3_P12ihipStream_tbPNSt15iterator_traitsISN_E10value_typeEPNST_ISO_E10value_typeEPSP_NS1_7vsmem_tEENKUlT_SN_SO_SP_E_clISG_PjSI_PS9_EESM_S12_SN_SO_SP_EUlS12_E0_NS1_11comp_targetILNS1_3genE10ELNS1_11target_archE1201ELNS1_3gpuE5ELNS1_3repE0EEENS1_38merge_mergepath_config_static_selectorELNS0_4arch9wavefront6targetE0EEEvSO_.has_dyn_sized_stack, 0
	.set _ZN7rocprim17ROCPRIM_400000_NS6detail17trampoline_kernelINS0_14default_configENS1_38merge_sort_block_merge_config_selectorIjN6thrust23THRUST_200600_302600_NS5tupleIffNS6_9null_typeES8_S8_S8_S8_S8_S8_S8_EEEEZZNS1_27merge_sort_block_merge_implIS3_NS6_6detail15normal_iteratorINS6_10device_ptrIjEEEENSD_INSE_IS9_EEEEjNS1_19radix_merge_compareILb0ELb0EjNS0_19identity_decomposerEEEEE10hipError_tT0_T1_T2_jT3_P12ihipStream_tbPNSt15iterator_traitsISN_E10value_typeEPNST_ISO_E10value_typeEPSP_NS1_7vsmem_tEENKUlT_SN_SO_SP_E_clISG_PjSI_PS9_EESM_S12_SN_SO_SP_EUlS12_E0_NS1_11comp_targetILNS1_3genE10ELNS1_11target_archE1201ELNS1_3gpuE5ELNS1_3repE0EEENS1_38merge_mergepath_config_static_selectorELNS0_4arch9wavefront6targetE0EEEvSO_.has_recursion, 0
	.set _ZN7rocprim17ROCPRIM_400000_NS6detail17trampoline_kernelINS0_14default_configENS1_38merge_sort_block_merge_config_selectorIjN6thrust23THRUST_200600_302600_NS5tupleIffNS6_9null_typeES8_S8_S8_S8_S8_S8_S8_EEEEZZNS1_27merge_sort_block_merge_implIS3_NS6_6detail15normal_iteratorINS6_10device_ptrIjEEEENSD_INSE_IS9_EEEEjNS1_19radix_merge_compareILb0ELb0EjNS0_19identity_decomposerEEEEE10hipError_tT0_T1_T2_jT3_P12ihipStream_tbPNSt15iterator_traitsISN_E10value_typeEPNST_ISO_E10value_typeEPSP_NS1_7vsmem_tEENKUlT_SN_SO_SP_E_clISG_PjSI_PS9_EESM_S12_SN_SO_SP_EUlS12_E0_NS1_11comp_targetILNS1_3genE10ELNS1_11target_archE1201ELNS1_3gpuE5ELNS1_3repE0EEENS1_38merge_mergepath_config_static_selectorELNS0_4arch9wavefront6targetE0EEEvSO_.has_indirect_call, 0
	.section	.AMDGPU.csdata,"",@progbits
; Kernel info:
; codeLenInByte = 2484
; TotalNumSgprs: 30
; NumVgprs: 19
; ScratchSize: 0
; MemoryBound: 0
; FloatMode: 240
; IeeeMode: 1
; LDSByteSize: 8448 bytes/workgroup (compile time only)
; SGPRBlocks: 0
; VGPRBlocks: 2
; NumSGPRsForWavesPerEU: 30
; NumVGPRsForWavesPerEU: 19
; Occupancy: 16
; WaveLimiterHint : 1
; COMPUTE_PGM_RSRC2:SCRATCH_EN: 0
; COMPUTE_PGM_RSRC2:USER_SGPR: 2
; COMPUTE_PGM_RSRC2:TRAP_HANDLER: 0
; COMPUTE_PGM_RSRC2:TGID_X_EN: 1
; COMPUTE_PGM_RSRC2:TGID_Y_EN: 1
; COMPUTE_PGM_RSRC2:TGID_Z_EN: 1
; COMPUTE_PGM_RSRC2:TIDIG_COMP_CNT: 0
	.section	.text._ZN7rocprim17ROCPRIM_400000_NS6detail17trampoline_kernelINS0_14default_configENS1_38merge_sort_block_merge_config_selectorIjN6thrust23THRUST_200600_302600_NS5tupleIffNS6_9null_typeES8_S8_S8_S8_S8_S8_S8_EEEEZZNS1_27merge_sort_block_merge_implIS3_NS6_6detail15normal_iteratorINS6_10device_ptrIjEEEENSD_INSE_IS9_EEEEjNS1_19radix_merge_compareILb0ELb0EjNS0_19identity_decomposerEEEEE10hipError_tT0_T1_T2_jT3_P12ihipStream_tbPNSt15iterator_traitsISN_E10value_typeEPNST_ISO_E10value_typeEPSP_NS1_7vsmem_tEENKUlT_SN_SO_SP_E_clISG_PjSI_PS9_EESM_S12_SN_SO_SP_EUlS12_E0_NS1_11comp_targetILNS1_3genE5ELNS1_11target_archE942ELNS1_3gpuE9ELNS1_3repE0EEENS1_38merge_mergepath_config_static_selectorELNS0_4arch9wavefront6targetE0EEEvSO_,"axG",@progbits,_ZN7rocprim17ROCPRIM_400000_NS6detail17trampoline_kernelINS0_14default_configENS1_38merge_sort_block_merge_config_selectorIjN6thrust23THRUST_200600_302600_NS5tupleIffNS6_9null_typeES8_S8_S8_S8_S8_S8_S8_EEEEZZNS1_27merge_sort_block_merge_implIS3_NS6_6detail15normal_iteratorINS6_10device_ptrIjEEEENSD_INSE_IS9_EEEEjNS1_19radix_merge_compareILb0ELb0EjNS0_19identity_decomposerEEEEE10hipError_tT0_T1_T2_jT3_P12ihipStream_tbPNSt15iterator_traitsISN_E10value_typeEPNST_ISO_E10value_typeEPSP_NS1_7vsmem_tEENKUlT_SN_SO_SP_E_clISG_PjSI_PS9_EESM_S12_SN_SO_SP_EUlS12_E0_NS1_11comp_targetILNS1_3genE5ELNS1_11target_archE942ELNS1_3gpuE9ELNS1_3repE0EEENS1_38merge_mergepath_config_static_selectorELNS0_4arch9wavefront6targetE0EEEvSO_,comdat
	.protected	_ZN7rocprim17ROCPRIM_400000_NS6detail17trampoline_kernelINS0_14default_configENS1_38merge_sort_block_merge_config_selectorIjN6thrust23THRUST_200600_302600_NS5tupleIffNS6_9null_typeES8_S8_S8_S8_S8_S8_S8_EEEEZZNS1_27merge_sort_block_merge_implIS3_NS6_6detail15normal_iteratorINS6_10device_ptrIjEEEENSD_INSE_IS9_EEEEjNS1_19radix_merge_compareILb0ELb0EjNS0_19identity_decomposerEEEEE10hipError_tT0_T1_T2_jT3_P12ihipStream_tbPNSt15iterator_traitsISN_E10value_typeEPNST_ISO_E10value_typeEPSP_NS1_7vsmem_tEENKUlT_SN_SO_SP_E_clISG_PjSI_PS9_EESM_S12_SN_SO_SP_EUlS12_E0_NS1_11comp_targetILNS1_3genE5ELNS1_11target_archE942ELNS1_3gpuE9ELNS1_3repE0EEENS1_38merge_mergepath_config_static_selectorELNS0_4arch9wavefront6targetE0EEEvSO_ ; -- Begin function _ZN7rocprim17ROCPRIM_400000_NS6detail17trampoline_kernelINS0_14default_configENS1_38merge_sort_block_merge_config_selectorIjN6thrust23THRUST_200600_302600_NS5tupleIffNS6_9null_typeES8_S8_S8_S8_S8_S8_S8_EEEEZZNS1_27merge_sort_block_merge_implIS3_NS6_6detail15normal_iteratorINS6_10device_ptrIjEEEENSD_INSE_IS9_EEEEjNS1_19radix_merge_compareILb0ELb0EjNS0_19identity_decomposerEEEEE10hipError_tT0_T1_T2_jT3_P12ihipStream_tbPNSt15iterator_traitsISN_E10value_typeEPNST_ISO_E10value_typeEPSP_NS1_7vsmem_tEENKUlT_SN_SO_SP_E_clISG_PjSI_PS9_EESM_S12_SN_SO_SP_EUlS12_E0_NS1_11comp_targetILNS1_3genE5ELNS1_11target_archE942ELNS1_3gpuE9ELNS1_3repE0EEENS1_38merge_mergepath_config_static_selectorELNS0_4arch9wavefront6targetE0EEEvSO_
	.globl	_ZN7rocprim17ROCPRIM_400000_NS6detail17trampoline_kernelINS0_14default_configENS1_38merge_sort_block_merge_config_selectorIjN6thrust23THRUST_200600_302600_NS5tupleIffNS6_9null_typeES8_S8_S8_S8_S8_S8_S8_EEEEZZNS1_27merge_sort_block_merge_implIS3_NS6_6detail15normal_iteratorINS6_10device_ptrIjEEEENSD_INSE_IS9_EEEEjNS1_19radix_merge_compareILb0ELb0EjNS0_19identity_decomposerEEEEE10hipError_tT0_T1_T2_jT3_P12ihipStream_tbPNSt15iterator_traitsISN_E10value_typeEPNST_ISO_E10value_typeEPSP_NS1_7vsmem_tEENKUlT_SN_SO_SP_E_clISG_PjSI_PS9_EESM_S12_SN_SO_SP_EUlS12_E0_NS1_11comp_targetILNS1_3genE5ELNS1_11target_archE942ELNS1_3gpuE9ELNS1_3repE0EEENS1_38merge_mergepath_config_static_selectorELNS0_4arch9wavefront6targetE0EEEvSO_
	.p2align	8
	.type	_ZN7rocprim17ROCPRIM_400000_NS6detail17trampoline_kernelINS0_14default_configENS1_38merge_sort_block_merge_config_selectorIjN6thrust23THRUST_200600_302600_NS5tupleIffNS6_9null_typeES8_S8_S8_S8_S8_S8_S8_EEEEZZNS1_27merge_sort_block_merge_implIS3_NS6_6detail15normal_iteratorINS6_10device_ptrIjEEEENSD_INSE_IS9_EEEEjNS1_19radix_merge_compareILb0ELb0EjNS0_19identity_decomposerEEEEE10hipError_tT0_T1_T2_jT3_P12ihipStream_tbPNSt15iterator_traitsISN_E10value_typeEPNST_ISO_E10value_typeEPSP_NS1_7vsmem_tEENKUlT_SN_SO_SP_E_clISG_PjSI_PS9_EESM_S12_SN_SO_SP_EUlS12_E0_NS1_11comp_targetILNS1_3genE5ELNS1_11target_archE942ELNS1_3gpuE9ELNS1_3repE0EEENS1_38merge_mergepath_config_static_selectorELNS0_4arch9wavefront6targetE0EEEvSO_,@function
_ZN7rocprim17ROCPRIM_400000_NS6detail17trampoline_kernelINS0_14default_configENS1_38merge_sort_block_merge_config_selectorIjN6thrust23THRUST_200600_302600_NS5tupleIffNS6_9null_typeES8_S8_S8_S8_S8_S8_S8_EEEEZZNS1_27merge_sort_block_merge_implIS3_NS6_6detail15normal_iteratorINS6_10device_ptrIjEEEENSD_INSE_IS9_EEEEjNS1_19radix_merge_compareILb0ELb0EjNS0_19identity_decomposerEEEEE10hipError_tT0_T1_T2_jT3_P12ihipStream_tbPNSt15iterator_traitsISN_E10value_typeEPNST_ISO_E10value_typeEPSP_NS1_7vsmem_tEENKUlT_SN_SO_SP_E_clISG_PjSI_PS9_EESM_S12_SN_SO_SP_EUlS12_E0_NS1_11comp_targetILNS1_3genE5ELNS1_11target_archE942ELNS1_3gpuE9ELNS1_3repE0EEENS1_38merge_mergepath_config_static_selectorELNS0_4arch9wavefront6targetE0EEEvSO_: ; @_ZN7rocprim17ROCPRIM_400000_NS6detail17trampoline_kernelINS0_14default_configENS1_38merge_sort_block_merge_config_selectorIjN6thrust23THRUST_200600_302600_NS5tupleIffNS6_9null_typeES8_S8_S8_S8_S8_S8_S8_EEEEZZNS1_27merge_sort_block_merge_implIS3_NS6_6detail15normal_iteratorINS6_10device_ptrIjEEEENSD_INSE_IS9_EEEEjNS1_19radix_merge_compareILb0ELb0EjNS0_19identity_decomposerEEEEE10hipError_tT0_T1_T2_jT3_P12ihipStream_tbPNSt15iterator_traitsISN_E10value_typeEPNST_ISO_E10value_typeEPSP_NS1_7vsmem_tEENKUlT_SN_SO_SP_E_clISG_PjSI_PS9_EESM_S12_SN_SO_SP_EUlS12_E0_NS1_11comp_targetILNS1_3genE5ELNS1_11target_archE942ELNS1_3gpuE9ELNS1_3repE0EEENS1_38merge_mergepath_config_static_selectorELNS0_4arch9wavefront6targetE0EEEvSO_
; %bb.0:
	.section	.rodata,"a",@progbits
	.p2align	6, 0x0
	.amdhsa_kernel _ZN7rocprim17ROCPRIM_400000_NS6detail17trampoline_kernelINS0_14default_configENS1_38merge_sort_block_merge_config_selectorIjN6thrust23THRUST_200600_302600_NS5tupleIffNS6_9null_typeES8_S8_S8_S8_S8_S8_S8_EEEEZZNS1_27merge_sort_block_merge_implIS3_NS6_6detail15normal_iteratorINS6_10device_ptrIjEEEENSD_INSE_IS9_EEEEjNS1_19radix_merge_compareILb0ELb0EjNS0_19identity_decomposerEEEEE10hipError_tT0_T1_T2_jT3_P12ihipStream_tbPNSt15iterator_traitsISN_E10value_typeEPNST_ISO_E10value_typeEPSP_NS1_7vsmem_tEENKUlT_SN_SO_SP_E_clISG_PjSI_PS9_EESM_S12_SN_SO_SP_EUlS12_E0_NS1_11comp_targetILNS1_3genE5ELNS1_11target_archE942ELNS1_3gpuE9ELNS1_3repE0EEENS1_38merge_mergepath_config_static_selectorELNS0_4arch9wavefront6targetE0EEEvSO_
		.amdhsa_group_segment_fixed_size 0
		.amdhsa_private_segment_fixed_size 0
		.amdhsa_kernarg_size 64
		.amdhsa_user_sgpr_count 2
		.amdhsa_user_sgpr_dispatch_ptr 0
		.amdhsa_user_sgpr_queue_ptr 0
		.amdhsa_user_sgpr_kernarg_segment_ptr 1
		.amdhsa_user_sgpr_dispatch_id 0
		.amdhsa_user_sgpr_private_segment_size 0
		.amdhsa_wavefront_size32 1
		.amdhsa_uses_dynamic_stack 0
		.amdhsa_enable_private_segment 0
		.amdhsa_system_sgpr_workgroup_id_x 1
		.amdhsa_system_sgpr_workgroup_id_y 0
		.amdhsa_system_sgpr_workgroup_id_z 0
		.amdhsa_system_sgpr_workgroup_info 0
		.amdhsa_system_vgpr_workitem_id 0
		.amdhsa_next_free_vgpr 1
		.amdhsa_next_free_sgpr 1
		.amdhsa_reserve_vcc 0
		.amdhsa_float_round_mode_32 0
		.amdhsa_float_round_mode_16_64 0
		.amdhsa_float_denorm_mode_32 3
		.amdhsa_float_denorm_mode_16_64 3
		.amdhsa_fp16_overflow 0
		.amdhsa_workgroup_processor_mode 1
		.amdhsa_memory_ordered 1
		.amdhsa_forward_progress 1
		.amdhsa_inst_pref_size 0
		.amdhsa_round_robin_scheduling 0
		.amdhsa_exception_fp_ieee_invalid_op 0
		.amdhsa_exception_fp_denorm_src 0
		.amdhsa_exception_fp_ieee_div_zero 0
		.amdhsa_exception_fp_ieee_overflow 0
		.amdhsa_exception_fp_ieee_underflow 0
		.amdhsa_exception_fp_ieee_inexact 0
		.amdhsa_exception_int_div_zero 0
	.end_amdhsa_kernel
	.section	.text._ZN7rocprim17ROCPRIM_400000_NS6detail17trampoline_kernelINS0_14default_configENS1_38merge_sort_block_merge_config_selectorIjN6thrust23THRUST_200600_302600_NS5tupleIffNS6_9null_typeES8_S8_S8_S8_S8_S8_S8_EEEEZZNS1_27merge_sort_block_merge_implIS3_NS6_6detail15normal_iteratorINS6_10device_ptrIjEEEENSD_INSE_IS9_EEEEjNS1_19radix_merge_compareILb0ELb0EjNS0_19identity_decomposerEEEEE10hipError_tT0_T1_T2_jT3_P12ihipStream_tbPNSt15iterator_traitsISN_E10value_typeEPNST_ISO_E10value_typeEPSP_NS1_7vsmem_tEENKUlT_SN_SO_SP_E_clISG_PjSI_PS9_EESM_S12_SN_SO_SP_EUlS12_E0_NS1_11comp_targetILNS1_3genE5ELNS1_11target_archE942ELNS1_3gpuE9ELNS1_3repE0EEENS1_38merge_mergepath_config_static_selectorELNS0_4arch9wavefront6targetE0EEEvSO_,"axG",@progbits,_ZN7rocprim17ROCPRIM_400000_NS6detail17trampoline_kernelINS0_14default_configENS1_38merge_sort_block_merge_config_selectorIjN6thrust23THRUST_200600_302600_NS5tupleIffNS6_9null_typeES8_S8_S8_S8_S8_S8_S8_EEEEZZNS1_27merge_sort_block_merge_implIS3_NS6_6detail15normal_iteratorINS6_10device_ptrIjEEEENSD_INSE_IS9_EEEEjNS1_19radix_merge_compareILb0ELb0EjNS0_19identity_decomposerEEEEE10hipError_tT0_T1_T2_jT3_P12ihipStream_tbPNSt15iterator_traitsISN_E10value_typeEPNST_ISO_E10value_typeEPSP_NS1_7vsmem_tEENKUlT_SN_SO_SP_E_clISG_PjSI_PS9_EESM_S12_SN_SO_SP_EUlS12_E0_NS1_11comp_targetILNS1_3genE5ELNS1_11target_archE942ELNS1_3gpuE9ELNS1_3repE0EEENS1_38merge_mergepath_config_static_selectorELNS0_4arch9wavefront6targetE0EEEvSO_,comdat
.Lfunc_end59:
	.size	_ZN7rocprim17ROCPRIM_400000_NS6detail17trampoline_kernelINS0_14default_configENS1_38merge_sort_block_merge_config_selectorIjN6thrust23THRUST_200600_302600_NS5tupleIffNS6_9null_typeES8_S8_S8_S8_S8_S8_S8_EEEEZZNS1_27merge_sort_block_merge_implIS3_NS6_6detail15normal_iteratorINS6_10device_ptrIjEEEENSD_INSE_IS9_EEEEjNS1_19radix_merge_compareILb0ELb0EjNS0_19identity_decomposerEEEEE10hipError_tT0_T1_T2_jT3_P12ihipStream_tbPNSt15iterator_traitsISN_E10value_typeEPNST_ISO_E10value_typeEPSP_NS1_7vsmem_tEENKUlT_SN_SO_SP_E_clISG_PjSI_PS9_EESM_S12_SN_SO_SP_EUlS12_E0_NS1_11comp_targetILNS1_3genE5ELNS1_11target_archE942ELNS1_3gpuE9ELNS1_3repE0EEENS1_38merge_mergepath_config_static_selectorELNS0_4arch9wavefront6targetE0EEEvSO_, .Lfunc_end59-_ZN7rocprim17ROCPRIM_400000_NS6detail17trampoline_kernelINS0_14default_configENS1_38merge_sort_block_merge_config_selectorIjN6thrust23THRUST_200600_302600_NS5tupleIffNS6_9null_typeES8_S8_S8_S8_S8_S8_S8_EEEEZZNS1_27merge_sort_block_merge_implIS3_NS6_6detail15normal_iteratorINS6_10device_ptrIjEEEENSD_INSE_IS9_EEEEjNS1_19radix_merge_compareILb0ELb0EjNS0_19identity_decomposerEEEEE10hipError_tT0_T1_T2_jT3_P12ihipStream_tbPNSt15iterator_traitsISN_E10value_typeEPNST_ISO_E10value_typeEPSP_NS1_7vsmem_tEENKUlT_SN_SO_SP_E_clISG_PjSI_PS9_EESM_S12_SN_SO_SP_EUlS12_E0_NS1_11comp_targetILNS1_3genE5ELNS1_11target_archE942ELNS1_3gpuE9ELNS1_3repE0EEENS1_38merge_mergepath_config_static_selectorELNS0_4arch9wavefront6targetE0EEEvSO_
                                        ; -- End function
	.set _ZN7rocprim17ROCPRIM_400000_NS6detail17trampoline_kernelINS0_14default_configENS1_38merge_sort_block_merge_config_selectorIjN6thrust23THRUST_200600_302600_NS5tupleIffNS6_9null_typeES8_S8_S8_S8_S8_S8_S8_EEEEZZNS1_27merge_sort_block_merge_implIS3_NS6_6detail15normal_iteratorINS6_10device_ptrIjEEEENSD_INSE_IS9_EEEEjNS1_19radix_merge_compareILb0ELb0EjNS0_19identity_decomposerEEEEE10hipError_tT0_T1_T2_jT3_P12ihipStream_tbPNSt15iterator_traitsISN_E10value_typeEPNST_ISO_E10value_typeEPSP_NS1_7vsmem_tEENKUlT_SN_SO_SP_E_clISG_PjSI_PS9_EESM_S12_SN_SO_SP_EUlS12_E0_NS1_11comp_targetILNS1_3genE5ELNS1_11target_archE942ELNS1_3gpuE9ELNS1_3repE0EEENS1_38merge_mergepath_config_static_selectorELNS0_4arch9wavefront6targetE0EEEvSO_.num_vgpr, 0
	.set _ZN7rocprim17ROCPRIM_400000_NS6detail17trampoline_kernelINS0_14default_configENS1_38merge_sort_block_merge_config_selectorIjN6thrust23THRUST_200600_302600_NS5tupleIffNS6_9null_typeES8_S8_S8_S8_S8_S8_S8_EEEEZZNS1_27merge_sort_block_merge_implIS3_NS6_6detail15normal_iteratorINS6_10device_ptrIjEEEENSD_INSE_IS9_EEEEjNS1_19radix_merge_compareILb0ELb0EjNS0_19identity_decomposerEEEEE10hipError_tT0_T1_T2_jT3_P12ihipStream_tbPNSt15iterator_traitsISN_E10value_typeEPNST_ISO_E10value_typeEPSP_NS1_7vsmem_tEENKUlT_SN_SO_SP_E_clISG_PjSI_PS9_EESM_S12_SN_SO_SP_EUlS12_E0_NS1_11comp_targetILNS1_3genE5ELNS1_11target_archE942ELNS1_3gpuE9ELNS1_3repE0EEENS1_38merge_mergepath_config_static_selectorELNS0_4arch9wavefront6targetE0EEEvSO_.num_agpr, 0
	.set _ZN7rocprim17ROCPRIM_400000_NS6detail17trampoline_kernelINS0_14default_configENS1_38merge_sort_block_merge_config_selectorIjN6thrust23THRUST_200600_302600_NS5tupleIffNS6_9null_typeES8_S8_S8_S8_S8_S8_S8_EEEEZZNS1_27merge_sort_block_merge_implIS3_NS6_6detail15normal_iteratorINS6_10device_ptrIjEEEENSD_INSE_IS9_EEEEjNS1_19radix_merge_compareILb0ELb0EjNS0_19identity_decomposerEEEEE10hipError_tT0_T1_T2_jT3_P12ihipStream_tbPNSt15iterator_traitsISN_E10value_typeEPNST_ISO_E10value_typeEPSP_NS1_7vsmem_tEENKUlT_SN_SO_SP_E_clISG_PjSI_PS9_EESM_S12_SN_SO_SP_EUlS12_E0_NS1_11comp_targetILNS1_3genE5ELNS1_11target_archE942ELNS1_3gpuE9ELNS1_3repE0EEENS1_38merge_mergepath_config_static_selectorELNS0_4arch9wavefront6targetE0EEEvSO_.numbered_sgpr, 0
	.set _ZN7rocprim17ROCPRIM_400000_NS6detail17trampoline_kernelINS0_14default_configENS1_38merge_sort_block_merge_config_selectorIjN6thrust23THRUST_200600_302600_NS5tupleIffNS6_9null_typeES8_S8_S8_S8_S8_S8_S8_EEEEZZNS1_27merge_sort_block_merge_implIS3_NS6_6detail15normal_iteratorINS6_10device_ptrIjEEEENSD_INSE_IS9_EEEEjNS1_19radix_merge_compareILb0ELb0EjNS0_19identity_decomposerEEEEE10hipError_tT0_T1_T2_jT3_P12ihipStream_tbPNSt15iterator_traitsISN_E10value_typeEPNST_ISO_E10value_typeEPSP_NS1_7vsmem_tEENKUlT_SN_SO_SP_E_clISG_PjSI_PS9_EESM_S12_SN_SO_SP_EUlS12_E0_NS1_11comp_targetILNS1_3genE5ELNS1_11target_archE942ELNS1_3gpuE9ELNS1_3repE0EEENS1_38merge_mergepath_config_static_selectorELNS0_4arch9wavefront6targetE0EEEvSO_.num_named_barrier, 0
	.set _ZN7rocprim17ROCPRIM_400000_NS6detail17trampoline_kernelINS0_14default_configENS1_38merge_sort_block_merge_config_selectorIjN6thrust23THRUST_200600_302600_NS5tupleIffNS6_9null_typeES8_S8_S8_S8_S8_S8_S8_EEEEZZNS1_27merge_sort_block_merge_implIS3_NS6_6detail15normal_iteratorINS6_10device_ptrIjEEEENSD_INSE_IS9_EEEEjNS1_19radix_merge_compareILb0ELb0EjNS0_19identity_decomposerEEEEE10hipError_tT0_T1_T2_jT3_P12ihipStream_tbPNSt15iterator_traitsISN_E10value_typeEPNST_ISO_E10value_typeEPSP_NS1_7vsmem_tEENKUlT_SN_SO_SP_E_clISG_PjSI_PS9_EESM_S12_SN_SO_SP_EUlS12_E0_NS1_11comp_targetILNS1_3genE5ELNS1_11target_archE942ELNS1_3gpuE9ELNS1_3repE0EEENS1_38merge_mergepath_config_static_selectorELNS0_4arch9wavefront6targetE0EEEvSO_.private_seg_size, 0
	.set _ZN7rocprim17ROCPRIM_400000_NS6detail17trampoline_kernelINS0_14default_configENS1_38merge_sort_block_merge_config_selectorIjN6thrust23THRUST_200600_302600_NS5tupleIffNS6_9null_typeES8_S8_S8_S8_S8_S8_S8_EEEEZZNS1_27merge_sort_block_merge_implIS3_NS6_6detail15normal_iteratorINS6_10device_ptrIjEEEENSD_INSE_IS9_EEEEjNS1_19radix_merge_compareILb0ELb0EjNS0_19identity_decomposerEEEEE10hipError_tT0_T1_T2_jT3_P12ihipStream_tbPNSt15iterator_traitsISN_E10value_typeEPNST_ISO_E10value_typeEPSP_NS1_7vsmem_tEENKUlT_SN_SO_SP_E_clISG_PjSI_PS9_EESM_S12_SN_SO_SP_EUlS12_E0_NS1_11comp_targetILNS1_3genE5ELNS1_11target_archE942ELNS1_3gpuE9ELNS1_3repE0EEENS1_38merge_mergepath_config_static_selectorELNS0_4arch9wavefront6targetE0EEEvSO_.uses_vcc, 0
	.set _ZN7rocprim17ROCPRIM_400000_NS6detail17trampoline_kernelINS0_14default_configENS1_38merge_sort_block_merge_config_selectorIjN6thrust23THRUST_200600_302600_NS5tupleIffNS6_9null_typeES8_S8_S8_S8_S8_S8_S8_EEEEZZNS1_27merge_sort_block_merge_implIS3_NS6_6detail15normal_iteratorINS6_10device_ptrIjEEEENSD_INSE_IS9_EEEEjNS1_19radix_merge_compareILb0ELb0EjNS0_19identity_decomposerEEEEE10hipError_tT0_T1_T2_jT3_P12ihipStream_tbPNSt15iterator_traitsISN_E10value_typeEPNST_ISO_E10value_typeEPSP_NS1_7vsmem_tEENKUlT_SN_SO_SP_E_clISG_PjSI_PS9_EESM_S12_SN_SO_SP_EUlS12_E0_NS1_11comp_targetILNS1_3genE5ELNS1_11target_archE942ELNS1_3gpuE9ELNS1_3repE0EEENS1_38merge_mergepath_config_static_selectorELNS0_4arch9wavefront6targetE0EEEvSO_.uses_flat_scratch, 0
	.set _ZN7rocprim17ROCPRIM_400000_NS6detail17trampoline_kernelINS0_14default_configENS1_38merge_sort_block_merge_config_selectorIjN6thrust23THRUST_200600_302600_NS5tupleIffNS6_9null_typeES8_S8_S8_S8_S8_S8_S8_EEEEZZNS1_27merge_sort_block_merge_implIS3_NS6_6detail15normal_iteratorINS6_10device_ptrIjEEEENSD_INSE_IS9_EEEEjNS1_19radix_merge_compareILb0ELb0EjNS0_19identity_decomposerEEEEE10hipError_tT0_T1_T2_jT3_P12ihipStream_tbPNSt15iterator_traitsISN_E10value_typeEPNST_ISO_E10value_typeEPSP_NS1_7vsmem_tEENKUlT_SN_SO_SP_E_clISG_PjSI_PS9_EESM_S12_SN_SO_SP_EUlS12_E0_NS1_11comp_targetILNS1_3genE5ELNS1_11target_archE942ELNS1_3gpuE9ELNS1_3repE0EEENS1_38merge_mergepath_config_static_selectorELNS0_4arch9wavefront6targetE0EEEvSO_.has_dyn_sized_stack, 0
	.set _ZN7rocprim17ROCPRIM_400000_NS6detail17trampoline_kernelINS0_14default_configENS1_38merge_sort_block_merge_config_selectorIjN6thrust23THRUST_200600_302600_NS5tupleIffNS6_9null_typeES8_S8_S8_S8_S8_S8_S8_EEEEZZNS1_27merge_sort_block_merge_implIS3_NS6_6detail15normal_iteratorINS6_10device_ptrIjEEEENSD_INSE_IS9_EEEEjNS1_19radix_merge_compareILb0ELb0EjNS0_19identity_decomposerEEEEE10hipError_tT0_T1_T2_jT3_P12ihipStream_tbPNSt15iterator_traitsISN_E10value_typeEPNST_ISO_E10value_typeEPSP_NS1_7vsmem_tEENKUlT_SN_SO_SP_E_clISG_PjSI_PS9_EESM_S12_SN_SO_SP_EUlS12_E0_NS1_11comp_targetILNS1_3genE5ELNS1_11target_archE942ELNS1_3gpuE9ELNS1_3repE0EEENS1_38merge_mergepath_config_static_selectorELNS0_4arch9wavefront6targetE0EEEvSO_.has_recursion, 0
	.set _ZN7rocprim17ROCPRIM_400000_NS6detail17trampoline_kernelINS0_14default_configENS1_38merge_sort_block_merge_config_selectorIjN6thrust23THRUST_200600_302600_NS5tupleIffNS6_9null_typeES8_S8_S8_S8_S8_S8_S8_EEEEZZNS1_27merge_sort_block_merge_implIS3_NS6_6detail15normal_iteratorINS6_10device_ptrIjEEEENSD_INSE_IS9_EEEEjNS1_19radix_merge_compareILb0ELb0EjNS0_19identity_decomposerEEEEE10hipError_tT0_T1_T2_jT3_P12ihipStream_tbPNSt15iterator_traitsISN_E10value_typeEPNST_ISO_E10value_typeEPSP_NS1_7vsmem_tEENKUlT_SN_SO_SP_E_clISG_PjSI_PS9_EESM_S12_SN_SO_SP_EUlS12_E0_NS1_11comp_targetILNS1_3genE5ELNS1_11target_archE942ELNS1_3gpuE9ELNS1_3repE0EEENS1_38merge_mergepath_config_static_selectorELNS0_4arch9wavefront6targetE0EEEvSO_.has_indirect_call, 0
	.section	.AMDGPU.csdata,"",@progbits
; Kernel info:
; codeLenInByte = 0
; TotalNumSgprs: 0
; NumVgprs: 0
; ScratchSize: 0
; MemoryBound: 0
; FloatMode: 240
; IeeeMode: 1
; LDSByteSize: 0 bytes/workgroup (compile time only)
; SGPRBlocks: 0
; VGPRBlocks: 0
; NumSGPRsForWavesPerEU: 1
; NumVGPRsForWavesPerEU: 1
; Occupancy: 16
; WaveLimiterHint : 0
; COMPUTE_PGM_RSRC2:SCRATCH_EN: 0
; COMPUTE_PGM_RSRC2:USER_SGPR: 2
; COMPUTE_PGM_RSRC2:TRAP_HANDLER: 0
; COMPUTE_PGM_RSRC2:TGID_X_EN: 1
; COMPUTE_PGM_RSRC2:TGID_Y_EN: 0
; COMPUTE_PGM_RSRC2:TGID_Z_EN: 0
; COMPUTE_PGM_RSRC2:TIDIG_COMP_CNT: 0
	.section	.text._ZN7rocprim17ROCPRIM_400000_NS6detail17trampoline_kernelINS0_14default_configENS1_38merge_sort_block_merge_config_selectorIjN6thrust23THRUST_200600_302600_NS5tupleIffNS6_9null_typeES8_S8_S8_S8_S8_S8_S8_EEEEZZNS1_27merge_sort_block_merge_implIS3_NS6_6detail15normal_iteratorINS6_10device_ptrIjEEEENSD_INSE_IS9_EEEEjNS1_19radix_merge_compareILb0ELb0EjNS0_19identity_decomposerEEEEE10hipError_tT0_T1_T2_jT3_P12ihipStream_tbPNSt15iterator_traitsISN_E10value_typeEPNST_ISO_E10value_typeEPSP_NS1_7vsmem_tEENKUlT_SN_SO_SP_E_clISG_PjSI_PS9_EESM_S12_SN_SO_SP_EUlS12_E0_NS1_11comp_targetILNS1_3genE4ELNS1_11target_archE910ELNS1_3gpuE8ELNS1_3repE0EEENS1_38merge_mergepath_config_static_selectorELNS0_4arch9wavefront6targetE0EEEvSO_,"axG",@progbits,_ZN7rocprim17ROCPRIM_400000_NS6detail17trampoline_kernelINS0_14default_configENS1_38merge_sort_block_merge_config_selectorIjN6thrust23THRUST_200600_302600_NS5tupleIffNS6_9null_typeES8_S8_S8_S8_S8_S8_S8_EEEEZZNS1_27merge_sort_block_merge_implIS3_NS6_6detail15normal_iteratorINS6_10device_ptrIjEEEENSD_INSE_IS9_EEEEjNS1_19radix_merge_compareILb0ELb0EjNS0_19identity_decomposerEEEEE10hipError_tT0_T1_T2_jT3_P12ihipStream_tbPNSt15iterator_traitsISN_E10value_typeEPNST_ISO_E10value_typeEPSP_NS1_7vsmem_tEENKUlT_SN_SO_SP_E_clISG_PjSI_PS9_EESM_S12_SN_SO_SP_EUlS12_E0_NS1_11comp_targetILNS1_3genE4ELNS1_11target_archE910ELNS1_3gpuE8ELNS1_3repE0EEENS1_38merge_mergepath_config_static_selectorELNS0_4arch9wavefront6targetE0EEEvSO_,comdat
	.protected	_ZN7rocprim17ROCPRIM_400000_NS6detail17trampoline_kernelINS0_14default_configENS1_38merge_sort_block_merge_config_selectorIjN6thrust23THRUST_200600_302600_NS5tupleIffNS6_9null_typeES8_S8_S8_S8_S8_S8_S8_EEEEZZNS1_27merge_sort_block_merge_implIS3_NS6_6detail15normal_iteratorINS6_10device_ptrIjEEEENSD_INSE_IS9_EEEEjNS1_19radix_merge_compareILb0ELb0EjNS0_19identity_decomposerEEEEE10hipError_tT0_T1_T2_jT3_P12ihipStream_tbPNSt15iterator_traitsISN_E10value_typeEPNST_ISO_E10value_typeEPSP_NS1_7vsmem_tEENKUlT_SN_SO_SP_E_clISG_PjSI_PS9_EESM_S12_SN_SO_SP_EUlS12_E0_NS1_11comp_targetILNS1_3genE4ELNS1_11target_archE910ELNS1_3gpuE8ELNS1_3repE0EEENS1_38merge_mergepath_config_static_selectorELNS0_4arch9wavefront6targetE0EEEvSO_ ; -- Begin function _ZN7rocprim17ROCPRIM_400000_NS6detail17trampoline_kernelINS0_14default_configENS1_38merge_sort_block_merge_config_selectorIjN6thrust23THRUST_200600_302600_NS5tupleIffNS6_9null_typeES8_S8_S8_S8_S8_S8_S8_EEEEZZNS1_27merge_sort_block_merge_implIS3_NS6_6detail15normal_iteratorINS6_10device_ptrIjEEEENSD_INSE_IS9_EEEEjNS1_19radix_merge_compareILb0ELb0EjNS0_19identity_decomposerEEEEE10hipError_tT0_T1_T2_jT3_P12ihipStream_tbPNSt15iterator_traitsISN_E10value_typeEPNST_ISO_E10value_typeEPSP_NS1_7vsmem_tEENKUlT_SN_SO_SP_E_clISG_PjSI_PS9_EESM_S12_SN_SO_SP_EUlS12_E0_NS1_11comp_targetILNS1_3genE4ELNS1_11target_archE910ELNS1_3gpuE8ELNS1_3repE0EEENS1_38merge_mergepath_config_static_selectorELNS0_4arch9wavefront6targetE0EEEvSO_
	.globl	_ZN7rocprim17ROCPRIM_400000_NS6detail17trampoline_kernelINS0_14default_configENS1_38merge_sort_block_merge_config_selectorIjN6thrust23THRUST_200600_302600_NS5tupleIffNS6_9null_typeES8_S8_S8_S8_S8_S8_S8_EEEEZZNS1_27merge_sort_block_merge_implIS3_NS6_6detail15normal_iteratorINS6_10device_ptrIjEEEENSD_INSE_IS9_EEEEjNS1_19radix_merge_compareILb0ELb0EjNS0_19identity_decomposerEEEEE10hipError_tT0_T1_T2_jT3_P12ihipStream_tbPNSt15iterator_traitsISN_E10value_typeEPNST_ISO_E10value_typeEPSP_NS1_7vsmem_tEENKUlT_SN_SO_SP_E_clISG_PjSI_PS9_EESM_S12_SN_SO_SP_EUlS12_E0_NS1_11comp_targetILNS1_3genE4ELNS1_11target_archE910ELNS1_3gpuE8ELNS1_3repE0EEENS1_38merge_mergepath_config_static_selectorELNS0_4arch9wavefront6targetE0EEEvSO_
	.p2align	8
	.type	_ZN7rocprim17ROCPRIM_400000_NS6detail17trampoline_kernelINS0_14default_configENS1_38merge_sort_block_merge_config_selectorIjN6thrust23THRUST_200600_302600_NS5tupleIffNS6_9null_typeES8_S8_S8_S8_S8_S8_S8_EEEEZZNS1_27merge_sort_block_merge_implIS3_NS6_6detail15normal_iteratorINS6_10device_ptrIjEEEENSD_INSE_IS9_EEEEjNS1_19radix_merge_compareILb0ELb0EjNS0_19identity_decomposerEEEEE10hipError_tT0_T1_T2_jT3_P12ihipStream_tbPNSt15iterator_traitsISN_E10value_typeEPNST_ISO_E10value_typeEPSP_NS1_7vsmem_tEENKUlT_SN_SO_SP_E_clISG_PjSI_PS9_EESM_S12_SN_SO_SP_EUlS12_E0_NS1_11comp_targetILNS1_3genE4ELNS1_11target_archE910ELNS1_3gpuE8ELNS1_3repE0EEENS1_38merge_mergepath_config_static_selectorELNS0_4arch9wavefront6targetE0EEEvSO_,@function
_ZN7rocprim17ROCPRIM_400000_NS6detail17trampoline_kernelINS0_14default_configENS1_38merge_sort_block_merge_config_selectorIjN6thrust23THRUST_200600_302600_NS5tupleIffNS6_9null_typeES8_S8_S8_S8_S8_S8_S8_EEEEZZNS1_27merge_sort_block_merge_implIS3_NS6_6detail15normal_iteratorINS6_10device_ptrIjEEEENSD_INSE_IS9_EEEEjNS1_19radix_merge_compareILb0ELb0EjNS0_19identity_decomposerEEEEE10hipError_tT0_T1_T2_jT3_P12ihipStream_tbPNSt15iterator_traitsISN_E10value_typeEPNST_ISO_E10value_typeEPSP_NS1_7vsmem_tEENKUlT_SN_SO_SP_E_clISG_PjSI_PS9_EESM_S12_SN_SO_SP_EUlS12_E0_NS1_11comp_targetILNS1_3genE4ELNS1_11target_archE910ELNS1_3gpuE8ELNS1_3repE0EEENS1_38merge_mergepath_config_static_selectorELNS0_4arch9wavefront6targetE0EEEvSO_: ; @_ZN7rocprim17ROCPRIM_400000_NS6detail17trampoline_kernelINS0_14default_configENS1_38merge_sort_block_merge_config_selectorIjN6thrust23THRUST_200600_302600_NS5tupleIffNS6_9null_typeES8_S8_S8_S8_S8_S8_S8_EEEEZZNS1_27merge_sort_block_merge_implIS3_NS6_6detail15normal_iteratorINS6_10device_ptrIjEEEENSD_INSE_IS9_EEEEjNS1_19radix_merge_compareILb0ELb0EjNS0_19identity_decomposerEEEEE10hipError_tT0_T1_T2_jT3_P12ihipStream_tbPNSt15iterator_traitsISN_E10value_typeEPNST_ISO_E10value_typeEPSP_NS1_7vsmem_tEENKUlT_SN_SO_SP_E_clISG_PjSI_PS9_EESM_S12_SN_SO_SP_EUlS12_E0_NS1_11comp_targetILNS1_3genE4ELNS1_11target_archE910ELNS1_3gpuE8ELNS1_3repE0EEENS1_38merge_mergepath_config_static_selectorELNS0_4arch9wavefront6targetE0EEEvSO_
; %bb.0:
	.section	.rodata,"a",@progbits
	.p2align	6, 0x0
	.amdhsa_kernel _ZN7rocprim17ROCPRIM_400000_NS6detail17trampoline_kernelINS0_14default_configENS1_38merge_sort_block_merge_config_selectorIjN6thrust23THRUST_200600_302600_NS5tupleIffNS6_9null_typeES8_S8_S8_S8_S8_S8_S8_EEEEZZNS1_27merge_sort_block_merge_implIS3_NS6_6detail15normal_iteratorINS6_10device_ptrIjEEEENSD_INSE_IS9_EEEEjNS1_19radix_merge_compareILb0ELb0EjNS0_19identity_decomposerEEEEE10hipError_tT0_T1_T2_jT3_P12ihipStream_tbPNSt15iterator_traitsISN_E10value_typeEPNST_ISO_E10value_typeEPSP_NS1_7vsmem_tEENKUlT_SN_SO_SP_E_clISG_PjSI_PS9_EESM_S12_SN_SO_SP_EUlS12_E0_NS1_11comp_targetILNS1_3genE4ELNS1_11target_archE910ELNS1_3gpuE8ELNS1_3repE0EEENS1_38merge_mergepath_config_static_selectorELNS0_4arch9wavefront6targetE0EEEvSO_
		.amdhsa_group_segment_fixed_size 0
		.amdhsa_private_segment_fixed_size 0
		.amdhsa_kernarg_size 64
		.amdhsa_user_sgpr_count 2
		.amdhsa_user_sgpr_dispatch_ptr 0
		.amdhsa_user_sgpr_queue_ptr 0
		.amdhsa_user_sgpr_kernarg_segment_ptr 1
		.amdhsa_user_sgpr_dispatch_id 0
		.amdhsa_user_sgpr_private_segment_size 0
		.amdhsa_wavefront_size32 1
		.amdhsa_uses_dynamic_stack 0
		.amdhsa_enable_private_segment 0
		.amdhsa_system_sgpr_workgroup_id_x 1
		.amdhsa_system_sgpr_workgroup_id_y 0
		.amdhsa_system_sgpr_workgroup_id_z 0
		.amdhsa_system_sgpr_workgroup_info 0
		.amdhsa_system_vgpr_workitem_id 0
		.amdhsa_next_free_vgpr 1
		.amdhsa_next_free_sgpr 1
		.amdhsa_reserve_vcc 0
		.amdhsa_float_round_mode_32 0
		.amdhsa_float_round_mode_16_64 0
		.amdhsa_float_denorm_mode_32 3
		.amdhsa_float_denorm_mode_16_64 3
		.amdhsa_fp16_overflow 0
		.amdhsa_workgroup_processor_mode 1
		.amdhsa_memory_ordered 1
		.amdhsa_forward_progress 1
		.amdhsa_inst_pref_size 0
		.amdhsa_round_robin_scheduling 0
		.amdhsa_exception_fp_ieee_invalid_op 0
		.amdhsa_exception_fp_denorm_src 0
		.amdhsa_exception_fp_ieee_div_zero 0
		.amdhsa_exception_fp_ieee_overflow 0
		.amdhsa_exception_fp_ieee_underflow 0
		.amdhsa_exception_fp_ieee_inexact 0
		.amdhsa_exception_int_div_zero 0
	.end_amdhsa_kernel
	.section	.text._ZN7rocprim17ROCPRIM_400000_NS6detail17trampoline_kernelINS0_14default_configENS1_38merge_sort_block_merge_config_selectorIjN6thrust23THRUST_200600_302600_NS5tupleIffNS6_9null_typeES8_S8_S8_S8_S8_S8_S8_EEEEZZNS1_27merge_sort_block_merge_implIS3_NS6_6detail15normal_iteratorINS6_10device_ptrIjEEEENSD_INSE_IS9_EEEEjNS1_19radix_merge_compareILb0ELb0EjNS0_19identity_decomposerEEEEE10hipError_tT0_T1_T2_jT3_P12ihipStream_tbPNSt15iterator_traitsISN_E10value_typeEPNST_ISO_E10value_typeEPSP_NS1_7vsmem_tEENKUlT_SN_SO_SP_E_clISG_PjSI_PS9_EESM_S12_SN_SO_SP_EUlS12_E0_NS1_11comp_targetILNS1_3genE4ELNS1_11target_archE910ELNS1_3gpuE8ELNS1_3repE0EEENS1_38merge_mergepath_config_static_selectorELNS0_4arch9wavefront6targetE0EEEvSO_,"axG",@progbits,_ZN7rocprim17ROCPRIM_400000_NS6detail17trampoline_kernelINS0_14default_configENS1_38merge_sort_block_merge_config_selectorIjN6thrust23THRUST_200600_302600_NS5tupleIffNS6_9null_typeES8_S8_S8_S8_S8_S8_S8_EEEEZZNS1_27merge_sort_block_merge_implIS3_NS6_6detail15normal_iteratorINS6_10device_ptrIjEEEENSD_INSE_IS9_EEEEjNS1_19radix_merge_compareILb0ELb0EjNS0_19identity_decomposerEEEEE10hipError_tT0_T1_T2_jT3_P12ihipStream_tbPNSt15iterator_traitsISN_E10value_typeEPNST_ISO_E10value_typeEPSP_NS1_7vsmem_tEENKUlT_SN_SO_SP_E_clISG_PjSI_PS9_EESM_S12_SN_SO_SP_EUlS12_E0_NS1_11comp_targetILNS1_3genE4ELNS1_11target_archE910ELNS1_3gpuE8ELNS1_3repE0EEENS1_38merge_mergepath_config_static_selectorELNS0_4arch9wavefront6targetE0EEEvSO_,comdat
.Lfunc_end60:
	.size	_ZN7rocprim17ROCPRIM_400000_NS6detail17trampoline_kernelINS0_14default_configENS1_38merge_sort_block_merge_config_selectorIjN6thrust23THRUST_200600_302600_NS5tupleIffNS6_9null_typeES8_S8_S8_S8_S8_S8_S8_EEEEZZNS1_27merge_sort_block_merge_implIS3_NS6_6detail15normal_iteratorINS6_10device_ptrIjEEEENSD_INSE_IS9_EEEEjNS1_19radix_merge_compareILb0ELb0EjNS0_19identity_decomposerEEEEE10hipError_tT0_T1_T2_jT3_P12ihipStream_tbPNSt15iterator_traitsISN_E10value_typeEPNST_ISO_E10value_typeEPSP_NS1_7vsmem_tEENKUlT_SN_SO_SP_E_clISG_PjSI_PS9_EESM_S12_SN_SO_SP_EUlS12_E0_NS1_11comp_targetILNS1_3genE4ELNS1_11target_archE910ELNS1_3gpuE8ELNS1_3repE0EEENS1_38merge_mergepath_config_static_selectorELNS0_4arch9wavefront6targetE0EEEvSO_, .Lfunc_end60-_ZN7rocprim17ROCPRIM_400000_NS6detail17trampoline_kernelINS0_14default_configENS1_38merge_sort_block_merge_config_selectorIjN6thrust23THRUST_200600_302600_NS5tupleIffNS6_9null_typeES8_S8_S8_S8_S8_S8_S8_EEEEZZNS1_27merge_sort_block_merge_implIS3_NS6_6detail15normal_iteratorINS6_10device_ptrIjEEEENSD_INSE_IS9_EEEEjNS1_19radix_merge_compareILb0ELb0EjNS0_19identity_decomposerEEEEE10hipError_tT0_T1_T2_jT3_P12ihipStream_tbPNSt15iterator_traitsISN_E10value_typeEPNST_ISO_E10value_typeEPSP_NS1_7vsmem_tEENKUlT_SN_SO_SP_E_clISG_PjSI_PS9_EESM_S12_SN_SO_SP_EUlS12_E0_NS1_11comp_targetILNS1_3genE4ELNS1_11target_archE910ELNS1_3gpuE8ELNS1_3repE0EEENS1_38merge_mergepath_config_static_selectorELNS0_4arch9wavefront6targetE0EEEvSO_
                                        ; -- End function
	.set _ZN7rocprim17ROCPRIM_400000_NS6detail17trampoline_kernelINS0_14default_configENS1_38merge_sort_block_merge_config_selectorIjN6thrust23THRUST_200600_302600_NS5tupleIffNS6_9null_typeES8_S8_S8_S8_S8_S8_S8_EEEEZZNS1_27merge_sort_block_merge_implIS3_NS6_6detail15normal_iteratorINS6_10device_ptrIjEEEENSD_INSE_IS9_EEEEjNS1_19radix_merge_compareILb0ELb0EjNS0_19identity_decomposerEEEEE10hipError_tT0_T1_T2_jT3_P12ihipStream_tbPNSt15iterator_traitsISN_E10value_typeEPNST_ISO_E10value_typeEPSP_NS1_7vsmem_tEENKUlT_SN_SO_SP_E_clISG_PjSI_PS9_EESM_S12_SN_SO_SP_EUlS12_E0_NS1_11comp_targetILNS1_3genE4ELNS1_11target_archE910ELNS1_3gpuE8ELNS1_3repE0EEENS1_38merge_mergepath_config_static_selectorELNS0_4arch9wavefront6targetE0EEEvSO_.num_vgpr, 0
	.set _ZN7rocprim17ROCPRIM_400000_NS6detail17trampoline_kernelINS0_14default_configENS1_38merge_sort_block_merge_config_selectorIjN6thrust23THRUST_200600_302600_NS5tupleIffNS6_9null_typeES8_S8_S8_S8_S8_S8_S8_EEEEZZNS1_27merge_sort_block_merge_implIS3_NS6_6detail15normal_iteratorINS6_10device_ptrIjEEEENSD_INSE_IS9_EEEEjNS1_19radix_merge_compareILb0ELb0EjNS0_19identity_decomposerEEEEE10hipError_tT0_T1_T2_jT3_P12ihipStream_tbPNSt15iterator_traitsISN_E10value_typeEPNST_ISO_E10value_typeEPSP_NS1_7vsmem_tEENKUlT_SN_SO_SP_E_clISG_PjSI_PS9_EESM_S12_SN_SO_SP_EUlS12_E0_NS1_11comp_targetILNS1_3genE4ELNS1_11target_archE910ELNS1_3gpuE8ELNS1_3repE0EEENS1_38merge_mergepath_config_static_selectorELNS0_4arch9wavefront6targetE0EEEvSO_.num_agpr, 0
	.set _ZN7rocprim17ROCPRIM_400000_NS6detail17trampoline_kernelINS0_14default_configENS1_38merge_sort_block_merge_config_selectorIjN6thrust23THRUST_200600_302600_NS5tupleIffNS6_9null_typeES8_S8_S8_S8_S8_S8_S8_EEEEZZNS1_27merge_sort_block_merge_implIS3_NS6_6detail15normal_iteratorINS6_10device_ptrIjEEEENSD_INSE_IS9_EEEEjNS1_19radix_merge_compareILb0ELb0EjNS0_19identity_decomposerEEEEE10hipError_tT0_T1_T2_jT3_P12ihipStream_tbPNSt15iterator_traitsISN_E10value_typeEPNST_ISO_E10value_typeEPSP_NS1_7vsmem_tEENKUlT_SN_SO_SP_E_clISG_PjSI_PS9_EESM_S12_SN_SO_SP_EUlS12_E0_NS1_11comp_targetILNS1_3genE4ELNS1_11target_archE910ELNS1_3gpuE8ELNS1_3repE0EEENS1_38merge_mergepath_config_static_selectorELNS0_4arch9wavefront6targetE0EEEvSO_.numbered_sgpr, 0
	.set _ZN7rocprim17ROCPRIM_400000_NS6detail17trampoline_kernelINS0_14default_configENS1_38merge_sort_block_merge_config_selectorIjN6thrust23THRUST_200600_302600_NS5tupleIffNS6_9null_typeES8_S8_S8_S8_S8_S8_S8_EEEEZZNS1_27merge_sort_block_merge_implIS3_NS6_6detail15normal_iteratorINS6_10device_ptrIjEEEENSD_INSE_IS9_EEEEjNS1_19radix_merge_compareILb0ELb0EjNS0_19identity_decomposerEEEEE10hipError_tT0_T1_T2_jT3_P12ihipStream_tbPNSt15iterator_traitsISN_E10value_typeEPNST_ISO_E10value_typeEPSP_NS1_7vsmem_tEENKUlT_SN_SO_SP_E_clISG_PjSI_PS9_EESM_S12_SN_SO_SP_EUlS12_E0_NS1_11comp_targetILNS1_3genE4ELNS1_11target_archE910ELNS1_3gpuE8ELNS1_3repE0EEENS1_38merge_mergepath_config_static_selectorELNS0_4arch9wavefront6targetE0EEEvSO_.num_named_barrier, 0
	.set _ZN7rocprim17ROCPRIM_400000_NS6detail17trampoline_kernelINS0_14default_configENS1_38merge_sort_block_merge_config_selectorIjN6thrust23THRUST_200600_302600_NS5tupleIffNS6_9null_typeES8_S8_S8_S8_S8_S8_S8_EEEEZZNS1_27merge_sort_block_merge_implIS3_NS6_6detail15normal_iteratorINS6_10device_ptrIjEEEENSD_INSE_IS9_EEEEjNS1_19radix_merge_compareILb0ELb0EjNS0_19identity_decomposerEEEEE10hipError_tT0_T1_T2_jT3_P12ihipStream_tbPNSt15iterator_traitsISN_E10value_typeEPNST_ISO_E10value_typeEPSP_NS1_7vsmem_tEENKUlT_SN_SO_SP_E_clISG_PjSI_PS9_EESM_S12_SN_SO_SP_EUlS12_E0_NS1_11comp_targetILNS1_3genE4ELNS1_11target_archE910ELNS1_3gpuE8ELNS1_3repE0EEENS1_38merge_mergepath_config_static_selectorELNS0_4arch9wavefront6targetE0EEEvSO_.private_seg_size, 0
	.set _ZN7rocprim17ROCPRIM_400000_NS6detail17trampoline_kernelINS0_14default_configENS1_38merge_sort_block_merge_config_selectorIjN6thrust23THRUST_200600_302600_NS5tupleIffNS6_9null_typeES8_S8_S8_S8_S8_S8_S8_EEEEZZNS1_27merge_sort_block_merge_implIS3_NS6_6detail15normal_iteratorINS6_10device_ptrIjEEEENSD_INSE_IS9_EEEEjNS1_19radix_merge_compareILb0ELb0EjNS0_19identity_decomposerEEEEE10hipError_tT0_T1_T2_jT3_P12ihipStream_tbPNSt15iterator_traitsISN_E10value_typeEPNST_ISO_E10value_typeEPSP_NS1_7vsmem_tEENKUlT_SN_SO_SP_E_clISG_PjSI_PS9_EESM_S12_SN_SO_SP_EUlS12_E0_NS1_11comp_targetILNS1_3genE4ELNS1_11target_archE910ELNS1_3gpuE8ELNS1_3repE0EEENS1_38merge_mergepath_config_static_selectorELNS0_4arch9wavefront6targetE0EEEvSO_.uses_vcc, 0
	.set _ZN7rocprim17ROCPRIM_400000_NS6detail17trampoline_kernelINS0_14default_configENS1_38merge_sort_block_merge_config_selectorIjN6thrust23THRUST_200600_302600_NS5tupleIffNS6_9null_typeES8_S8_S8_S8_S8_S8_S8_EEEEZZNS1_27merge_sort_block_merge_implIS3_NS6_6detail15normal_iteratorINS6_10device_ptrIjEEEENSD_INSE_IS9_EEEEjNS1_19radix_merge_compareILb0ELb0EjNS0_19identity_decomposerEEEEE10hipError_tT0_T1_T2_jT3_P12ihipStream_tbPNSt15iterator_traitsISN_E10value_typeEPNST_ISO_E10value_typeEPSP_NS1_7vsmem_tEENKUlT_SN_SO_SP_E_clISG_PjSI_PS9_EESM_S12_SN_SO_SP_EUlS12_E0_NS1_11comp_targetILNS1_3genE4ELNS1_11target_archE910ELNS1_3gpuE8ELNS1_3repE0EEENS1_38merge_mergepath_config_static_selectorELNS0_4arch9wavefront6targetE0EEEvSO_.uses_flat_scratch, 0
	.set _ZN7rocprim17ROCPRIM_400000_NS6detail17trampoline_kernelINS0_14default_configENS1_38merge_sort_block_merge_config_selectorIjN6thrust23THRUST_200600_302600_NS5tupleIffNS6_9null_typeES8_S8_S8_S8_S8_S8_S8_EEEEZZNS1_27merge_sort_block_merge_implIS3_NS6_6detail15normal_iteratorINS6_10device_ptrIjEEEENSD_INSE_IS9_EEEEjNS1_19radix_merge_compareILb0ELb0EjNS0_19identity_decomposerEEEEE10hipError_tT0_T1_T2_jT3_P12ihipStream_tbPNSt15iterator_traitsISN_E10value_typeEPNST_ISO_E10value_typeEPSP_NS1_7vsmem_tEENKUlT_SN_SO_SP_E_clISG_PjSI_PS9_EESM_S12_SN_SO_SP_EUlS12_E0_NS1_11comp_targetILNS1_3genE4ELNS1_11target_archE910ELNS1_3gpuE8ELNS1_3repE0EEENS1_38merge_mergepath_config_static_selectorELNS0_4arch9wavefront6targetE0EEEvSO_.has_dyn_sized_stack, 0
	.set _ZN7rocprim17ROCPRIM_400000_NS6detail17trampoline_kernelINS0_14default_configENS1_38merge_sort_block_merge_config_selectorIjN6thrust23THRUST_200600_302600_NS5tupleIffNS6_9null_typeES8_S8_S8_S8_S8_S8_S8_EEEEZZNS1_27merge_sort_block_merge_implIS3_NS6_6detail15normal_iteratorINS6_10device_ptrIjEEEENSD_INSE_IS9_EEEEjNS1_19radix_merge_compareILb0ELb0EjNS0_19identity_decomposerEEEEE10hipError_tT0_T1_T2_jT3_P12ihipStream_tbPNSt15iterator_traitsISN_E10value_typeEPNST_ISO_E10value_typeEPSP_NS1_7vsmem_tEENKUlT_SN_SO_SP_E_clISG_PjSI_PS9_EESM_S12_SN_SO_SP_EUlS12_E0_NS1_11comp_targetILNS1_3genE4ELNS1_11target_archE910ELNS1_3gpuE8ELNS1_3repE0EEENS1_38merge_mergepath_config_static_selectorELNS0_4arch9wavefront6targetE0EEEvSO_.has_recursion, 0
	.set _ZN7rocprim17ROCPRIM_400000_NS6detail17trampoline_kernelINS0_14default_configENS1_38merge_sort_block_merge_config_selectorIjN6thrust23THRUST_200600_302600_NS5tupleIffNS6_9null_typeES8_S8_S8_S8_S8_S8_S8_EEEEZZNS1_27merge_sort_block_merge_implIS3_NS6_6detail15normal_iteratorINS6_10device_ptrIjEEEENSD_INSE_IS9_EEEEjNS1_19radix_merge_compareILb0ELb0EjNS0_19identity_decomposerEEEEE10hipError_tT0_T1_T2_jT3_P12ihipStream_tbPNSt15iterator_traitsISN_E10value_typeEPNST_ISO_E10value_typeEPSP_NS1_7vsmem_tEENKUlT_SN_SO_SP_E_clISG_PjSI_PS9_EESM_S12_SN_SO_SP_EUlS12_E0_NS1_11comp_targetILNS1_3genE4ELNS1_11target_archE910ELNS1_3gpuE8ELNS1_3repE0EEENS1_38merge_mergepath_config_static_selectorELNS0_4arch9wavefront6targetE0EEEvSO_.has_indirect_call, 0
	.section	.AMDGPU.csdata,"",@progbits
; Kernel info:
; codeLenInByte = 0
; TotalNumSgprs: 0
; NumVgprs: 0
; ScratchSize: 0
; MemoryBound: 0
; FloatMode: 240
; IeeeMode: 1
; LDSByteSize: 0 bytes/workgroup (compile time only)
; SGPRBlocks: 0
; VGPRBlocks: 0
; NumSGPRsForWavesPerEU: 1
; NumVGPRsForWavesPerEU: 1
; Occupancy: 16
; WaveLimiterHint : 0
; COMPUTE_PGM_RSRC2:SCRATCH_EN: 0
; COMPUTE_PGM_RSRC2:USER_SGPR: 2
; COMPUTE_PGM_RSRC2:TRAP_HANDLER: 0
; COMPUTE_PGM_RSRC2:TGID_X_EN: 1
; COMPUTE_PGM_RSRC2:TGID_Y_EN: 0
; COMPUTE_PGM_RSRC2:TGID_Z_EN: 0
; COMPUTE_PGM_RSRC2:TIDIG_COMP_CNT: 0
	.section	.text._ZN7rocprim17ROCPRIM_400000_NS6detail17trampoline_kernelINS0_14default_configENS1_38merge_sort_block_merge_config_selectorIjN6thrust23THRUST_200600_302600_NS5tupleIffNS6_9null_typeES8_S8_S8_S8_S8_S8_S8_EEEEZZNS1_27merge_sort_block_merge_implIS3_NS6_6detail15normal_iteratorINS6_10device_ptrIjEEEENSD_INSE_IS9_EEEEjNS1_19radix_merge_compareILb0ELb0EjNS0_19identity_decomposerEEEEE10hipError_tT0_T1_T2_jT3_P12ihipStream_tbPNSt15iterator_traitsISN_E10value_typeEPNST_ISO_E10value_typeEPSP_NS1_7vsmem_tEENKUlT_SN_SO_SP_E_clISG_PjSI_PS9_EESM_S12_SN_SO_SP_EUlS12_E0_NS1_11comp_targetILNS1_3genE3ELNS1_11target_archE908ELNS1_3gpuE7ELNS1_3repE0EEENS1_38merge_mergepath_config_static_selectorELNS0_4arch9wavefront6targetE0EEEvSO_,"axG",@progbits,_ZN7rocprim17ROCPRIM_400000_NS6detail17trampoline_kernelINS0_14default_configENS1_38merge_sort_block_merge_config_selectorIjN6thrust23THRUST_200600_302600_NS5tupleIffNS6_9null_typeES8_S8_S8_S8_S8_S8_S8_EEEEZZNS1_27merge_sort_block_merge_implIS3_NS6_6detail15normal_iteratorINS6_10device_ptrIjEEEENSD_INSE_IS9_EEEEjNS1_19radix_merge_compareILb0ELb0EjNS0_19identity_decomposerEEEEE10hipError_tT0_T1_T2_jT3_P12ihipStream_tbPNSt15iterator_traitsISN_E10value_typeEPNST_ISO_E10value_typeEPSP_NS1_7vsmem_tEENKUlT_SN_SO_SP_E_clISG_PjSI_PS9_EESM_S12_SN_SO_SP_EUlS12_E0_NS1_11comp_targetILNS1_3genE3ELNS1_11target_archE908ELNS1_3gpuE7ELNS1_3repE0EEENS1_38merge_mergepath_config_static_selectorELNS0_4arch9wavefront6targetE0EEEvSO_,comdat
	.protected	_ZN7rocprim17ROCPRIM_400000_NS6detail17trampoline_kernelINS0_14default_configENS1_38merge_sort_block_merge_config_selectorIjN6thrust23THRUST_200600_302600_NS5tupleIffNS6_9null_typeES8_S8_S8_S8_S8_S8_S8_EEEEZZNS1_27merge_sort_block_merge_implIS3_NS6_6detail15normal_iteratorINS6_10device_ptrIjEEEENSD_INSE_IS9_EEEEjNS1_19radix_merge_compareILb0ELb0EjNS0_19identity_decomposerEEEEE10hipError_tT0_T1_T2_jT3_P12ihipStream_tbPNSt15iterator_traitsISN_E10value_typeEPNST_ISO_E10value_typeEPSP_NS1_7vsmem_tEENKUlT_SN_SO_SP_E_clISG_PjSI_PS9_EESM_S12_SN_SO_SP_EUlS12_E0_NS1_11comp_targetILNS1_3genE3ELNS1_11target_archE908ELNS1_3gpuE7ELNS1_3repE0EEENS1_38merge_mergepath_config_static_selectorELNS0_4arch9wavefront6targetE0EEEvSO_ ; -- Begin function _ZN7rocprim17ROCPRIM_400000_NS6detail17trampoline_kernelINS0_14default_configENS1_38merge_sort_block_merge_config_selectorIjN6thrust23THRUST_200600_302600_NS5tupleIffNS6_9null_typeES8_S8_S8_S8_S8_S8_S8_EEEEZZNS1_27merge_sort_block_merge_implIS3_NS6_6detail15normal_iteratorINS6_10device_ptrIjEEEENSD_INSE_IS9_EEEEjNS1_19radix_merge_compareILb0ELb0EjNS0_19identity_decomposerEEEEE10hipError_tT0_T1_T2_jT3_P12ihipStream_tbPNSt15iterator_traitsISN_E10value_typeEPNST_ISO_E10value_typeEPSP_NS1_7vsmem_tEENKUlT_SN_SO_SP_E_clISG_PjSI_PS9_EESM_S12_SN_SO_SP_EUlS12_E0_NS1_11comp_targetILNS1_3genE3ELNS1_11target_archE908ELNS1_3gpuE7ELNS1_3repE0EEENS1_38merge_mergepath_config_static_selectorELNS0_4arch9wavefront6targetE0EEEvSO_
	.globl	_ZN7rocprim17ROCPRIM_400000_NS6detail17trampoline_kernelINS0_14default_configENS1_38merge_sort_block_merge_config_selectorIjN6thrust23THRUST_200600_302600_NS5tupleIffNS6_9null_typeES8_S8_S8_S8_S8_S8_S8_EEEEZZNS1_27merge_sort_block_merge_implIS3_NS6_6detail15normal_iteratorINS6_10device_ptrIjEEEENSD_INSE_IS9_EEEEjNS1_19radix_merge_compareILb0ELb0EjNS0_19identity_decomposerEEEEE10hipError_tT0_T1_T2_jT3_P12ihipStream_tbPNSt15iterator_traitsISN_E10value_typeEPNST_ISO_E10value_typeEPSP_NS1_7vsmem_tEENKUlT_SN_SO_SP_E_clISG_PjSI_PS9_EESM_S12_SN_SO_SP_EUlS12_E0_NS1_11comp_targetILNS1_3genE3ELNS1_11target_archE908ELNS1_3gpuE7ELNS1_3repE0EEENS1_38merge_mergepath_config_static_selectorELNS0_4arch9wavefront6targetE0EEEvSO_
	.p2align	8
	.type	_ZN7rocprim17ROCPRIM_400000_NS6detail17trampoline_kernelINS0_14default_configENS1_38merge_sort_block_merge_config_selectorIjN6thrust23THRUST_200600_302600_NS5tupleIffNS6_9null_typeES8_S8_S8_S8_S8_S8_S8_EEEEZZNS1_27merge_sort_block_merge_implIS3_NS6_6detail15normal_iteratorINS6_10device_ptrIjEEEENSD_INSE_IS9_EEEEjNS1_19radix_merge_compareILb0ELb0EjNS0_19identity_decomposerEEEEE10hipError_tT0_T1_T2_jT3_P12ihipStream_tbPNSt15iterator_traitsISN_E10value_typeEPNST_ISO_E10value_typeEPSP_NS1_7vsmem_tEENKUlT_SN_SO_SP_E_clISG_PjSI_PS9_EESM_S12_SN_SO_SP_EUlS12_E0_NS1_11comp_targetILNS1_3genE3ELNS1_11target_archE908ELNS1_3gpuE7ELNS1_3repE0EEENS1_38merge_mergepath_config_static_selectorELNS0_4arch9wavefront6targetE0EEEvSO_,@function
_ZN7rocprim17ROCPRIM_400000_NS6detail17trampoline_kernelINS0_14default_configENS1_38merge_sort_block_merge_config_selectorIjN6thrust23THRUST_200600_302600_NS5tupleIffNS6_9null_typeES8_S8_S8_S8_S8_S8_S8_EEEEZZNS1_27merge_sort_block_merge_implIS3_NS6_6detail15normal_iteratorINS6_10device_ptrIjEEEENSD_INSE_IS9_EEEEjNS1_19radix_merge_compareILb0ELb0EjNS0_19identity_decomposerEEEEE10hipError_tT0_T1_T2_jT3_P12ihipStream_tbPNSt15iterator_traitsISN_E10value_typeEPNST_ISO_E10value_typeEPSP_NS1_7vsmem_tEENKUlT_SN_SO_SP_E_clISG_PjSI_PS9_EESM_S12_SN_SO_SP_EUlS12_E0_NS1_11comp_targetILNS1_3genE3ELNS1_11target_archE908ELNS1_3gpuE7ELNS1_3repE0EEENS1_38merge_mergepath_config_static_selectorELNS0_4arch9wavefront6targetE0EEEvSO_: ; @_ZN7rocprim17ROCPRIM_400000_NS6detail17trampoline_kernelINS0_14default_configENS1_38merge_sort_block_merge_config_selectorIjN6thrust23THRUST_200600_302600_NS5tupleIffNS6_9null_typeES8_S8_S8_S8_S8_S8_S8_EEEEZZNS1_27merge_sort_block_merge_implIS3_NS6_6detail15normal_iteratorINS6_10device_ptrIjEEEENSD_INSE_IS9_EEEEjNS1_19radix_merge_compareILb0ELb0EjNS0_19identity_decomposerEEEEE10hipError_tT0_T1_T2_jT3_P12ihipStream_tbPNSt15iterator_traitsISN_E10value_typeEPNST_ISO_E10value_typeEPSP_NS1_7vsmem_tEENKUlT_SN_SO_SP_E_clISG_PjSI_PS9_EESM_S12_SN_SO_SP_EUlS12_E0_NS1_11comp_targetILNS1_3genE3ELNS1_11target_archE908ELNS1_3gpuE7ELNS1_3repE0EEENS1_38merge_mergepath_config_static_selectorELNS0_4arch9wavefront6targetE0EEEvSO_
; %bb.0:
	.section	.rodata,"a",@progbits
	.p2align	6, 0x0
	.amdhsa_kernel _ZN7rocprim17ROCPRIM_400000_NS6detail17trampoline_kernelINS0_14default_configENS1_38merge_sort_block_merge_config_selectorIjN6thrust23THRUST_200600_302600_NS5tupleIffNS6_9null_typeES8_S8_S8_S8_S8_S8_S8_EEEEZZNS1_27merge_sort_block_merge_implIS3_NS6_6detail15normal_iteratorINS6_10device_ptrIjEEEENSD_INSE_IS9_EEEEjNS1_19radix_merge_compareILb0ELb0EjNS0_19identity_decomposerEEEEE10hipError_tT0_T1_T2_jT3_P12ihipStream_tbPNSt15iterator_traitsISN_E10value_typeEPNST_ISO_E10value_typeEPSP_NS1_7vsmem_tEENKUlT_SN_SO_SP_E_clISG_PjSI_PS9_EESM_S12_SN_SO_SP_EUlS12_E0_NS1_11comp_targetILNS1_3genE3ELNS1_11target_archE908ELNS1_3gpuE7ELNS1_3repE0EEENS1_38merge_mergepath_config_static_selectorELNS0_4arch9wavefront6targetE0EEEvSO_
		.amdhsa_group_segment_fixed_size 0
		.amdhsa_private_segment_fixed_size 0
		.amdhsa_kernarg_size 64
		.amdhsa_user_sgpr_count 2
		.amdhsa_user_sgpr_dispatch_ptr 0
		.amdhsa_user_sgpr_queue_ptr 0
		.amdhsa_user_sgpr_kernarg_segment_ptr 1
		.amdhsa_user_sgpr_dispatch_id 0
		.amdhsa_user_sgpr_private_segment_size 0
		.amdhsa_wavefront_size32 1
		.amdhsa_uses_dynamic_stack 0
		.amdhsa_enable_private_segment 0
		.amdhsa_system_sgpr_workgroup_id_x 1
		.amdhsa_system_sgpr_workgroup_id_y 0
		.amdhsa_system_sgpr_workgroup_id_z 0
		.amdhsa_system_sgpr_workgroup_info 0
		.amdhsa_system_vgpr_workitem_id 0
		.amdhsa_next_free_vgpr 1
		.amdhsa_next_free_sgpr 1
		.amdhsa_reserve_vcc 0
		.amdhsa_float_round_mode_32 0
		.amdhsa_float_round_mode_16_64 0
		.amdhsa_float_denorm_mode_32 3
		.amdhsa_float_denorm_mode_16_64 3
		.amdhsa_fp16_overflow 0
		.amdhsa_workgroup_processor_mode 1
		.amdhsa_memory_ordered 1
		.amdhsa_forward_progress 1
		.amdhsa_inst_pref_size 0
		.amdhsa_round_robin_scheduling 0
		.amdhsa_exception_fp_ieee_invalid_op 0
		.amdhsa_exception_fp_denorm_src 0
		.amdhsa_exception_fp_ieee_div_zero 0
		.amdhsa_exception_fp_ieee_overflow 0
		.amdhsa_exception_fp_ieee_underflow 0
		.amdhsa_exception_fp_ieee_inexact 0
		.amdhsa_exception_int_div_zero 0
	.end_amdhsa_kernel
	.section	.text._ZN7rocprim17ROCPRIM_400000_NS6detail17trampoline_kernelINS0_14default_configENS1_38merge_sort_block_merge_config_selectorIjN6thrust23THRUST_200600_302600_NS5tupleIffNS6_9null_typeES8_S8_S8_S8_S8_S8_S8_EEEEZZNS1_27merge_sort_block_merge_implIS3_NS6_6detail15normal_iteratorINS6_10device_ptrIjEEEENSD_INSE_IS9_EEEEjNS1_19radix_merge_compareILb0ELb0EjNS0_19identity_decomposerEEEEE10hipError_tT0_T1_T2_jT3_P12ihipStream_tbPNSt15iterator_traitsISN_E10value_typeEPNST_ISO_E10value_typeEPSP_NS1_7vsmem_tEENKUlT_SN_SO_SP_E_clISG_PjSI_PS9_EESM_S12_SN_SO_SP_EUlS12_E0_NS1_11comp_targetILNS1_3genE3ELNS1_11target_archE908ELNS1_3gpuE7ELNS1_3repE0EEENS1_38merge_mergepath_config_static_selectorELNS0_4arch9wavefront6targetE0EEEvSO_,"axG",@progbits,_ZN7rocprim17ROCPRIM_400000_NS6detail17trampoline_kernelINS0_14default_configENS1_38merge_sort_block_merge_config_selectorIjN6thrust23THRUST_200600_302600_NS5tupleIffNS6_9null_typeES8_S8_S8_S8_S8_S8_S8_EEEEZZNS1_27merge_sort_block_merge_implIS3_NS6_6detail15normal_iteratorINS6_10device_ptrIjEEEENSD_INSE_IS9_EEEEjNS1_19radix_merge_compareILb0ELb0EjNS0_19identity_decomposerEEEEE10hipError_tT0_T1_T2_jT3_P12ihipStream_tbPNSt15iterator_traitsISN_E10value_typeEPNST_ISO_E10value_typeEPSP_NS1_7vsmem_tEENKUlT_SN_SO_SP_E_clISG_PjSI_PS9_EESM_S12_SN_SO_SP_EUlS12_E0_NS1_11comp_targetILNS1_3genE3ELNS1_11target_archE908ELNS1_3gpuE7ELNS1_3repE0EEENS1_38merge_mergepath_config_static_selectorELNS0_4arch9wavefront6targetE0EEEvSO_,comdat
.Lfunc_end61:
	.size	_ZN7rocprim17ROCPRIM_400000_NS6detail17trampoline_kernelINS0_14default_configENS1_38merge_sort_block_merge_config_selectorIjN6thrust23THRUST_200600_302600_NS5tupleIffNS6_9null_typeES8_S8_S8_S8_S8_S8_S8_EEEEZZNS1_27merge_sort_block_merge_implIS3_NS6_6detail15normal_iteratorINS6_10device_ptrIjEEEENSD_INSE_IS9_EEEEjNS1_19radix_merge_compareILb0ELb0EjNS0_19identity_decomposerEEEEE10hipError_tT0_T1_T2_jT3_P12ihipStream_tbPNSt15iterator_traitsISN_E10value_typeEPNST_ISO_E10value_typeEPSP_NS1_7vsmem_tEENKUlT_SN_SO_SP_E_clISG_PjSI_PS9_EESM_S12_SN_SO_SP_EUlS12_E0_NS1_11comp_targetILNS1_3genE3ELNS1_11target_archE908ELNS1_3gpuE7ELNS1_3repE0EEENS1_38merge_mergepath_config_static_selectorELNS0_4arch9wavefront6targetE0EEEvSO_, .Lfunc_end61-_ZN7rocprim17ROCPRIM_400000_NS6detail17trampoline_kernelINS0_14default_configENS1_38merge_sort_block_merge_config_selectorIjN6thrust23THRUST_200600_302600_NS5tupleIffNS6_9null_typeES8_S8_S8_S8_S8_S8_S8_EEEEZZNS1_27merge_sort_block_merge_implIS3_NS6_6detail15normal_iteratorINS6_10device_ptrIjEEEENSD_INSE_IS9_EEEEjNS1_19radix_merge_compareILb0ELb0EjNS0_19identity_decomposerEEEEE10hipError_tT0_T1_T2_jT3_P12ihipStream_tbPNSt15iterator_traitsISN_E10value_typeEPNST_ISO_E10value_typeEPSP_NS1_7vsmem_tEENKUlT_SN_SO_SP_E_clISG_PjSI_PS9_EESM_S12_SN_SO_SP_EUlS12_E0_NS1_11comp_targetILNS1_3genE3ELNS1_11target_archE908ELNS1_3gpuE7ELNS1_3repE0EEENS1_38merge_mergepath_config_static_selectorELNS0_4arch9wavefront6targetE0EEEvSO_
                                        ; -- End function
	.set _ZN7rocprim17ROCPRIM_400000_NS6detail17trampoline_kernelINS0_14default_configENS1_38merge_sort_block_merge_config_selectorIjN6thrust23THRUST_200600_302600_NS5tupleIffNS6_9null_typeES8_S8_S8_S8_S8_S8_S8_EEEEZZNS1_27merge_sort_block_merge_implIS3_NS6_6detail15normal_iteratorINS6_10device_ptrIjEEEENSD_INSE_IS9_EEEEjNS1_19radix_merge_compareILb0ELb0EjNS0_19identity_decomposerEEEEE10hipError_tT0_T1_T2_jT3_P12ihipStream_tbPNSt15iterator_traitsISN_E10value_typeEPNST_ISO_E10value_typeEPSP_NS1_7vsmem_tEENKUlT_SN_SO_SP_E_clISG_PjSI_PS9_EESM_S12_SN_SO_SP_EUlS12_E0_NS1_11comp_targetILNS1_3genE3ELNS1_11target_archE908ELNS1_3gpuE7ELNS1_3repE0EEENS1_38merge_mergepath_config_static_selectorELNS0_4arch9wavefront6targetE0EEEvSO_.num_vgpr, 0
	.set _ZN7rocprim17ROCPRIM_400000_NS6detail17trampoline_kernelINS0_14default_configENS1_38merge_sort_block_merge_config_selectorIjN6thrust23THRUST_200600_302600_NS5tupleIffNS6_9null_typeES8_S8_S8_S8_S8_S8_S8_EEEEZZNS1_27merge_sort_block_merge_implIS3_NS6_6detail15normal_iteratorINS6_10device_ptrIjEEEENSD_INSE_IS9_EEEEjNS1_19radix_merge_compareILb0ELb0EjNS0_19identity_decomposerEEEEE10hipError_tT0_T1_T2_jT3_P12ihipStream_tbPNSt15iterator_traitsISN_E10value_typeEPNST_ISO_E10value_typeEPSP_NS1_7vsmem_tEENKUlT_SN_SO_SP_E_clISG_PjSI_PS9_EESM_S12_SN_SO_SP_EUlS12_E0_NS1_11comp_targetILNS1_3genE3ELNS1_11target_archE908ELNS1_3gpuE7ELNS1_3repE0EEENS1_38merge_mergepath_config_static_selectorELNS0_4arch9wavefront6targetE0EEEvSO_.num_agpr, 0
	.set _ZN7rocprim17ROCPRIM_400000_NS6detail17trampoline_kernelINS0_14default_configENS1_38merge_sort_block_merge_config_selectorIjN6thrust23THRUST_200600_302600_NS5tupleIffNS6_9null_typeES8_S8_S8_S8_S8_S8_S8_EEEEZZNS1_27merge_sort_block_merge_implIS3_NS6_6detail15normal_iteratorINS6_10device_ptrIjEEEENSD_INSE_IS9_EEEEjNS1_19radix_merge_compareILb0ELb0EjNS0_19identity_decomposerEEEEE10hipError_tT0_T1_T2_jT3_P12ihipStream_tbPNSt15iterator_traitsISN_E10value_typeEPNST_ISO_E10value_typeEPSP_NS1_7vsmem_tEENKUlT_SN_SO_SP_E_clISG_PjSI_PS9_EESM_S12_SN_SO_SP_EUlS12_E0_NS1_11comp_targetILNS1_3genE3ELNS1_11target_archE908ELNS1_3gpuE7ELNS1_3repE0EEENS1_38merge_mergepath_config_static_selectorELNS0_4arch9wavefront6targetE0EEEvSO_.numbered_sgpr, 0
	.set _ZN7rocprim17ROCPRIM_400000_NS6detail17trampoline_kernelINS0_14default_configENS1_38merge_sort_block_merge_config_selectorIjN6thrust23THRUST_200600_302600_NS5tupleIffNS6_9null_typeES8_S8_S8_S8_S8_S8_S8_EEEEZZNS1_27merge_sort_block_merge_implIS3_NS6_6detail15normal_iteratorINS6_10device_ptrIjEEEENSD_INSE_IS9_EEEEjNS1_19radix_merge_compareILb0ELb0EjNS0_19identity_decomposerEEEEE10hipError_tT0_T1_T2_jT3_P12ihipStream_tbPNSt15iterator_traitsISN_E10value_typeEPNST_ISO_E10value_typeEPSP_NS1_7vsmem_tEENKUlT_SN_SO_SP_E_clISG_PjSI_PS9_EESM_S12_SN_SO_SP_EUlS12_E0_NS1_11comp_targetILNS1_3genE3ELNS1_11target_archE908ELNS1_3gpuE7ELNS1_3repE0EEENS1_38merge_mergepath_config_static_selectorELNS0_4arch9wavefront6targetE0EEEvSO_.num_named_barrier, 0
	.set _ZN7rocprim17ROCPRIM_400000_NS6detail17trampoline_kernelINS0_14default_configENS1_38merge_sort_block_merge_config_selectorIjN6thrust23THRUST_200600_302600_NS5tupleIffNS6_9null_typeES8_S8_S8_S8_S8_S8_S8_EEEEZZNS1_27merge_sort_block_merge_implIS3_NS6_6detail15normal_iteratorINS6_10device_ptrIjEEEENSD_INSE_IS9_EEEEjNS1_19radix_merge_compareILb0ELb0EjNS0_19identity_decomposerEEEEE10hipError_tT0_T1_T2_jT3_P12ihipStream_tbPNSt15iterator_traitsISN_E10value_typeEPNST_ISO_E10value_typeEPSP_NS1_7vsmem_tEENKUlT_SN_SO_SP_E_clISG_PjSI_PS9_EESM_S12_SN_SO_SP_EUlS12_E0_NS1_11comp_targetILNS1_3genE3ELNS1_11target_archE908ELNS1_3gpuE7ELNS1_3repE0EEENS1_38merge_mergepath_config_static_selectorELNS0_4arch9wavefront6targetE0EEEvSO_.private_seg_size, 0
	.set _ZN7rocprim17ROCPRIM_400000_NS6detail17trampoline_kernelINS0_14default_configENS1_38merge_sort_block_merge_config_selectorIjN6thrust23THRUST_200600_302600_NS5tupleIffNS6_9null_typeES8_S8_S8_S8_S8_S8_S8_EEEEZZNS1_27merge_sort_block_merge_implIS3_NS6_6detail15normal_iteratorINS6_10device_ptrIjEEEENSD_INSE_IS9_EEEEjNS1_19radix_merge_compareILb0ELb0EjNS0_19identity_decomposerEEEEE10hipError_tT0_T1_T2_jT3_P12ihipStream_tbPNSt15iterator_traitsISN_E10value_typeEPNST_ISO_E10value_typeEPSP_NS1_7vsmem_tEENKUlT_SN_SO_SP_E_clISG_PjSI_PS9_EESM_S12_SN_SO_SP_EUlS12_E0_NS1_11comp_targetILNS1_3genE3ELNS1_11target_archE908ELNS1_3gpuE7ELNS1_3repE0EEENS1_38merge_mergepath_config_static_selectorELNS0_4arch9wavefront6targetE0EEEvSO_.uses_vcc, 0
	.set _ZN7rocprim17ROCPRIM_400000_NS6detail17trampoline_kernelINS0_14default_configENS1_38merge_sort_block_merge_config_selectorIjN6thrust23THRUST_200600_302600_NS5tupleIffNS6_9null_typeES8_S8_S8_S8_S8_S8_S8_EEEEZZNS1_27merge_sort_block_merge_implIS3_NS6_6detail15normal_iteratorINS6_10device_ptrIjEEEENSD_INSE_IS9_EEEEjNS1_19radix_merge_compareILb0ELb0EjNS0_19identity_decomposerEEEEE10hipError_tT0_T1_T2_jT3_P12ihipStream_tbPNSt15iterator_traitsISN_E10value_typeEPNST_ISO_E10value_typeEPSP_NS1_7vsmem_tEENKUlT_SN_SO_SP_E_clISG_PjSI_PS9_EESM_S12_SN_SO_SP_EUlS12_E0_NS1_11comp_targetILNS1_3genE3ELNS1_11target_archE908ELNS1_3gpuE7ELNS1_3repE0EEENS1_38merge_mergepath_config_static_selectorELNS0_4arch9wavefront6targetE0EEEvSO_.uses_flat_scratch, 0
	.set _ZN7rocprim17ROCPRIM_400000_NS6detail17trampoline_kernelINS0_14default_configENS1_38merge_sort_block_merge_config_selectorIjN6thrust23THRUST_200600_302600_NS5tupleIffNS6_9null_typeES8_S8_S8_S8_S8_S8_S8_EEEEZZNS1_27merge_sort_block_merge_implIS3_NS6_6detail15normal_iteratorINS6_10device_ptrIjEEEENSD_INSE_IS9_EEEEjNS1_19radix_merge_compareILb0ELb0EjNS0_19identity_decomposerEEEEE10hipError_tT0_T1_T2_jT3_P12ihipStream_tbPNSt15iterator_traitsISN_E10value_typeEPNST_ISO_E10value_typeEPSP_NS1_7vsmem_tEENKUlT_SN_SO_SP_E_clISG_PjSI_PS9_EESM_S12_SN_SO_SP_EUlS12_E0_NS1_11comp_targetILNS1_3genE3ELNS1_11target_archE908ELNS1_3gpuE7ELNS1_3repE0EEENS1_38merge_mergepath_config_static_selectorELNS0_4arch9wavefront6targetE0EEEvSO_.has_dyn_sized_stack, 0
	.set _ZN7rocprim17ROCPRIM_400000_NS6detail17trampoline_kernelINS0_14default_configENS1_38merge_sort_block_merge_config_selectorIjN6thrust23THRUST_200600_302600_NS5tupleIffNS6_9null_typeES8_S8_S8_S8_S8_S8_S8_EEEEZZNS1_27merge_sort_block_merge_implIS3_NS6_6detail15normal_iteratorINS6_10device_ptrIjEEEENSD_INSE_IS9_EEEEjNS1_19radix_merge_compareILb0ELb0EjNS0_19identity_decomposerEEEEE10hipError_tT0_T1_T2_jT3_P12ihipStream_tbPNSt15iterator_traitsISN_E10value_typeEPNST_ISO_E10value_typeEPSP_NS1_7vsmem_tEENKUlT_SN_SO_SP_E_clISG_PjSI_PS9_EESM_S12_SN_SO_SP_EUlS12_E0_NS1_11comp_targetILNS1_3genE3ELNS1_11target_archE908ELNS1_3gpuE7ELNS1_3repE0EEENS1_38merge_mergepath_config_static_selectorELNS0_4arch9wavefront6targetE0EEEvSO_.has_recursion, 0
	.set _ZN7rocprim17ROCPRIM_400000_NS6detail17trampoline_kernelINS0_14default_configENS1_38merge_sort_block_merge_config_selectorIjN6thrust23THRUST_200600_302600_NS5tupleIffNS6_9null_typeES8_S8_S8_S8_S8_S8_S8_EEEEZZNS1_27merge_sort_block_merge_implIS3_NS6_6detail15normal_iteratorINS6_10device_ptrIjEEEENSD_INSE_IS9_EEEEjNS1_19radix_merge_compareILb0ELb0EjNS0_19identity_decomposerEEEEE10hipError_tT0_T1_T2_jT3_P12ihipStream_tbPNSt15iterator_traitsISN_E10value_typeEPNST_ISO_E10value_typeEPSP_NS1_7vsmem_tEENKUlT_SN_SO_SP_E_clISG_PjSI_PS9_EESM_S12_SN_SO_SP_EUlS12_E0_NS1_11comp_targetILNS1_3genE3ELNS1_11target_archE908ELNS1_3gpuE7ELNS1_3repE0EEENS1_38merge_mergepath_config_static_selectorELNS0_4arch9wavefront6targetE0EEEvSO_.has_indirect_call, 0
	.section	.AMDGPU.csdata,"",@progbits
; Kernel info:
; codeLenInByte = 0
; TotalNumSgprs: 0
; NumVgprs: 0
; ScratchSize: 0
; MemoryBound: 0
; FloatMode: 240
; IeeeMode: 1
; LDSByteSize: 0 bytes/workgroup (compile time only)
; SGPRBlocks: 0
; VGPRBlocks: 0
; NumSGPRsForWavesPerEU: 1
; NumVGPRsForWavesPerEU: 1
; Occupancy: 16
; WaveLimiterHint : 0
; COMPUTE_PGM_RSRC2:SCRATCH_EN: 0
; COMPUTE_PGM_RSRC2:USER_SGPR: 2
; COMPUTE_PGM_RSRC2:TRAP_HANDLER: 0
; COMPUTE_PGM_RSRC2:TGID_X_EN: 1
; COMPUTE_PGM_RSRC2:TGID_Y_EN: 0
; COMPUTE_PGM_RSRC2:TGID_Z_EN: 0
; COMPUTE_PGM_RSRC2:TIDIG_COMP_CNT: 0
	.section	.text._ZN7rocprim17ROCPRIM_400000_NS6detail17trampoline_kernelINS0_14default_configENS1_38merge_sort_block_merge_config_selectorIjN6thrust23THRUST_200600_302600_NS5tupleIffNS6_9null_typeES8_S8_S8_S8_S8_S8_S8_EEEEZZNS1_27merge_sort_block_merge_implIS3_NS6_6detail15normal_iteratorINS6_10device_ptrIjEEEENSD_INSE_IS9_EEEEjNS1_19radix_merge_compareILb0ELb0EjNS0_19identity_decomposerEEEEE10hipError_tT0_T1_T2_jT3_P12ihipStream_tbPNSt15iterator_traitsISN_E10value_typeEPNST_ISO_E10value_typeEPSP_NS1_7vsmem_tEENKUlT_SN_SO_SP_E_clISG_PjSI_PS9_EESM_S12_SN_SO_SP_EUlS12_E0_NS1_11comp_targetILNS1_3genE2ELNS1_11target_archE906ELNS1_3gpuE6ELNS1_3repE0EEENS1_38merge_mergepath_config_static_selectorELNS0_4arch9wavefront6targetE0EEEvSO_,"axG",@progbits,_ZN7rocprim17ROCPRIM_400000_NS6detail17trampoline_kernelINS0_14default_configENS1_38merge_sort_block_merge_config_selectorIjN6thrust23THRUST_200600_302600_NS5tupleIffNS6_9null_typeES8_S8_S8_S8_S8_S8_S8_EEEEZZNS1_27merge_sort_block_merge_implIS3_NS6_6detail15normal_iteratorINS6_10device_ptrIjEEEENSD_INSE_IS9_EEEEjNS1_19radix_merge_compareILb0ELb0EjNS0_19identity_decomposerEEEEE10hipError_tT0_T1_T2_jT3_P12ihipStream_tbPNSt15iterator_traitsISN_E10value_typeEPNST_ISO_E10value_typeEPSP_NS1_7vsmem_tEENKUlT_SN_SO_SP_E_clISG_PjSI_PS9_EESM_S12_SN_SO_SP_EUlS12_E0_NS1_11comp_targetILNS1_3genE2ELNS1_11target_archE906ELNS1_3gpuE6ELNS1_3repE0EEENS1_38merge_mergepath_config_static_selectorELNS0_4arch9wavefront6targetE0EEEvSO_,comdat
	.protected	_ZN7rocprim17ROCPRIM_400000_NS6detail17trampoline_kernelINS0_14default_configENS1_38merge_sort_block_merge_config_selectorIjN6thrust23THRUST_200600_302600_NS5tupleIffNS6_9null_typeES8_S8_S8_S8_S8_S8_S8_EEEEZZNS1_27merge_sort_block_merge_implIS3_NS6_6detail15normal_iteratorINS6_10device_ptrIjEEEENSD_INSE_IS9_EEEEjNS1_19radix_merge_compareILb0ELb0EjNS0_19identity_decomposerEEEEE10hipError_tT0_T1_T2_jT3_P12ihipStream_tbPNSt15iterator_traitsISN_E10value_typeEPNST_ISO_E10value_typeEPSP_NS1_7vsmem_tEENKUlT_SN_SO_SP_E_clISG_PjSI_PS9_EESM_S12_SN_SO_SP_EUlS12_E0_NS1_11comp_targetILNS1_3genE2ELNS1_11target_archE906ELNS1_3gpuE6ELNS1_3repE0EEENS1_38merge_mergepath_config_static_selectorELNS0_4arch9wavefront6targetE0EEEvSO_ ; -- Begin function _ZN7rocprim17ROCPRIM_400000_NS6detail17trampoline_kernelINS0_14default_configENS1_38merge_sort_block_merge_config_selectorIjN6thrust23THRUST_200600_302600_NS5tupleIffNS6_9null_typeES8_S8_S8_S8_S8_S8_S8_EEEEZZNS1_27merge_sort_block_merge_implIS3_NS6_6detail15normal_iteratorINS6_10device_ptrIjEEEENSD_INSE_IS9_EEEEjNS1_19radix_merge_compareILb0ELb0EjNS0_19identity_decomposerEEEEE10hipError_tT0_T1_T2_jT3_P12ihipStream_tbPNSt15iterator_traitsISN_E10value_typeEPNST_ISO_E10value_typeEPSP_NS1_7vsmem_tEENKUlT_SN_SO_SP_E_clISG_PjSI_PS9_EESM_S12_SN_SO_SP_EUlS12_E0_NS1_11comp_targetILNS1_3genE2ELNS1_11target_archE906ELNS1_3gpuE6ELNS1_3repE0EEENS1_38merge_mergepath_config_static_selectorELNS0_4arch9wavefront6targetE0EEEvSO_
	.globl	_ZN7rocprim17ROCPRIM_400000_NS6detail17trampoline_kernelINS0_14default_configENS1_38merge_sort_block_merge_config_selectorIjN6thrust23THRUST_200600_302600_NS5tupleIffNS6_9null_typeES8_S8_S8_S8_S8_S8_S8_EEEEZZNS1_27merge_sort_block_merge_implIS3_NS6_6detail15normal_iteratorINS6_10device_ptrIjEEEENSD_INSE_IS9_EEEEjNS1_19radix_merge_compareILb0ELb0EjNS0_19identity_decomposerEEEEE10hipError_tT0_T1_T2_jT3_P12ihipStream_tbPNSt15iterator_traitsISN_E10value_typeEPNST_ISO_E10value_typeEPSP_NS1_7vsmem_tEENKUlT_SN_SO_SP_E_clISG_PjSI_PS9_EESM_S12_SN_SO_SP_EUlS12_E0_NS1_11comp_targetILNS1_3genE2ELNS1_11target_archE906ELNS1_3gpuE6ELNS1_3repE0EEENS1_38merge_mergepath_config_static_selectorELNS0_4arch9wavefront6targetE0EEEvSO_
	.p2align	8
	.type	_ZN7rocprim17ROCPRIM_400000_NS6detail17trampoline_kernelINS0_14default_configENS1_38merge_sort_block_merge_config_selectorIjN6thrust23THRUST_200600_302600_NS5tupleIffNS6_9null_typeES8_S8_S8_S8_S8_S8_S8_EEEEZZNS1_27merge_sort_block_merge_implIS3_NS6_6detail15normal_iteratorINS6_10device_ptrIjEEEENSD_INSE_IS9_EEEEjNS1_19radix_merge_compareILb0ELb0EjNS0_19identity_decomposerEEEEE10hipError_tT0_T1_T2_jT3_P12ihipStream_tbPNSt15iterator_traitsISN_E10value_typeEPNST_ISO_E10value_typeEPSP_NS1_7vsmem_tEENKUlT_SN_SO_SP_E_clISG_PjSI_PS9_EESM_S12_SN_SO_SP_EUlS12_E0_NS1_11comp_targetILNS1_3genE2ELNS1_11target_archE906ELNS1_3gpuE6ELNS1_3repE0EEENS1_38merge_mergepath_config_static_selectorELNS0_4arch9wavefront6targetE0EEEvSO_,@function
_ZN7rocprim17ROCPRIM_400000_NS6detail17trampoline_kernelINS0_14default_configENS1_38merge_sort_block_merge_config_selectorIjN6thrust23THRUST_200600_302600_NS5tupleIffNS6_9null_typeES8_S8_S8_S8_S8_S8_S8_EEEEZZNS1_27merge_sort_block_merge_implIS3_NS6_6detail15normal_iteratorINS6_10device_ptrIjEEEENSD_INSE_IS9_EEEEjNS1_19radix_merge_compareILb0ELb0EjNS0_19identity_decomposerEEEEE10hipError_tT0_T1_T2_jT3_P12ihipStream_tbPNSt15iterator_traitsISN_E10value_typeEPNST_ISO_E10value_typeEPSP_NS1_7vsmem_tEENKUlT_SN_SO_SP_E_clISG_PjSI_PS9_EESM_S12_SN_SO_SP_EUlS12_E0_NS1_11comp_targetILNS1_3genE2ELNS1_11target_archE906ELNS1_3gpuE6ELNS1_3repE0EEENS1_38merge_mergepath_config_static_selectorELNS0_4arch9wavefront6targetE0EEEvSO_: ; @_ZN7rocprim17ROCPRIM_400000_NS6detail17trampoline_kernelINS0_14default_configENS1_38merge_sort_block_merge_config_selectorIjN6thrust23THRUST_200600_302600_NS5tupleIffNS6_9null_typeES8_S8_S8_S8_S8_S8_S8_EEEEZZNS1_27merge_sort_block_merge_implIS3_NS6_6detail15normal_iteratorINS6_10device_ptrIjEEEENSD_INSE_IS9_EEEEjNS1_19radix_merge_compareILb0ELb0EjNS0_19identity_decomposerEEEEE10hipError_tT0_T1_T2_jT3_P12ihipStream_tbPNSt15iterator_traitsISN_E10value_typeEPNST_ISO_E10value_typeEPSP_NS1_7vsmem_tEENKUlT_SN_SO_SP_E_clISG_PjSI_PS9_EESM_S12_SN_SO_SP_EUlS12_E0_NS1_11comp_targetILNS1_3genE2ELNS1_11target_archE906ELNS1_3gpuE6ELNS1_3repE0EEENS1_38merge_mergepath_config_static_selectorELNS0_4arch9wavefront6targetE0EEEvSO_
; %bb.0:
	.section	.rodata,"a",@progbits
	.p2align	6, 0x0
	.amdhsa_kernel _ZN7rocprim17ROCPRIM_400000_NS6detail17trampoline_kernelINS0_14default_configENS1_38merge_sort_block_merge_config_selectorIjN6thrust23THRUST_200600_302600_NS5tupleIffNS6_9null_typeES8_S8_S8_S8_S8_S8_S8_EEEEZZNS1_27merge_sort_block_merge_implIS3_NS6_6detail15normal_iteratorINS6_10device_ptrIjEEEENSD_INSE_IS9_EEEEjNS1_19radix_merge_compareILb0ELb0EjNS0_19identity_decomposerEEEEE10hipError_tT0_T1_T2_jT3_P12ihipStream_tbPNSt15iterator_traitsISN_E10value_typeEPNST_ISO_E10value_typeEPSP_NS1_7vsmem_tEENKUlT_SN_SO_SP_E_clISG_PjSI_PS9_EESM_S12_SN_SO_SP_EUlS12_E0_NS1_11comp_targetILNS1_3genE2ELNS1_11target_archE906ELNS1_3gpuE6ELNS1_3repE0EEENS1_38merge_mergepath_config_static_selectorELNS0_4arch9wavefront6targetE0EEEvSO_
		.amdhsa_group_segment_fixed_size 0
		.amdhsa_private_segment_fixed_size 0
		.amdhsa_kernarg_size 64
		.amdhsa_user_sgpr_count 2
		.amdhsa_user_sgpr_dispatch_ptr 0
		.amdhsa_user_sgpr_queue_ptr 0
		.amdhsa_user_sgpr_kernarg_segment_ptr 1
		.amdhsa_user_sgpr_dispatch_id 0
		.amdhsa_user_sgpr_private_segment_size 0
		.amdhsa_wavefront_size32 1
		.amdhsa_uses_dynamic_stack 0
		.amdhsa_enable_private_segment 0
		.amdhsa_system_sgpr_workgroup_id_x 1
		.amdhsa_system_sgpr_workgroup_id_y 0
		.amdhsa_system_sgpr_workgroup_id_z 0
		.amdhsa_system_sgpr_workgroup_info 0
		.amdhsa_system_vgpr_workitem_id 0
		.amdhsa_next_free_vgpr 1
		.amdhsa_next_free_sgpr 1
		.amdhsa_reserve_vcc 0
		.amdhsa_float_round_mode_32 0
		.amdhsa_float_round_mode_16_64 0
		.amdhsa_float_denorm_mode_32 3
		.amdhsa_float_denorm_mode_16_64 3
		.amdhsa_fp16_overflow 0
		.amdhsa_workgroup_processor_mode 1
		.amdhsa_memory_ordered 1
		.amdhsa_forward_progress 1
		.amdhsa_inst_pref_size 0
		.amdhsa_round_robin_scheduling 0
		.amdhsa_exception_fp_ieee_invalid_op 0
		.amdhsa_exception_fp_denorm_src 0
		.amdhsa_exception_fp_ieee_div_zero 0
		.amdhsa_exception_fp_ieee_overflow 0
		.amdhsa_exception_fp_ieee_underflow 0
		.amdhsa_exception_fp_ieee_inexact 0
		.amdhsa_exception_int_div_zero 0
	.end_amdhsa_kernel
	.section	.text._ZN7rocprim17ROCPRIM_400000_NS6detail17trampoline_kernelINS0_14default_configENS1_38merge_sort_block_merge_config_selectorIjN6thrust23THRUST_200600_302600_NS5tupleIffNS6_9null_typeES8_S8_S8_S8_S8_S8_S8_EEEEZZNS1_27merge_sort_block_merge_implIS3_NS6_6detail15normal_iteratorINS6_10device_ptrIjEEEENSD_INSE_IS9_EEEEjNS1_19radix_merge_compareILb0ELb0EjNS0_19identity_decomposerEEEEE10hipError_tT0_T1_T2_jT3_P12ihipStream_tbPNSt15iterator_traitsISN_E10value_typeEPNST_ISO_E10value_typeEPSP_NS1_7vsmem_tEENKUlT_SN_SO_SP_E_clISG_PjSI_PS9_EESM_S12_SN_SO_SP_EUlS12_E0_NS1_11comp_targetILNS1_3genE2ELNS1_11target_archE906ELNS1_3gpuE6ELNS1_3repE0EEENS1_38merge_mergepath_config_static_selectorELNS0_4arch9wavefront6targetE0EEEvSO_,"axG",@progbits,_ZN7rocprim17ROCPRIM_400000_NS6detail17trampoline_kernelINS0_14default_configENS1_38merge_sort_block_merge_config_selectorIjN6thrust23THRUST_200600_302600_NS5tupleIffNS6_9null_typeES8_S8_S8_S8_S8_S8_S8_EEEEZZNS1_27merge_sort_block_merge_implIS3_NS6_6detail15normal_iteratorINS6_10device_ptrIjEEEENSD_INSE_IS9_EEEEjNS1_19radix_merge_compareILb0ELb0EjNS0_19identity_decomposerEEEEE10hipError_tT0_T1_T2_jT3_P12ihipStream_tbPNSt15iterator_traitsISN_E10value_typeEPNST_ISO_E10value_typeEPSP_NS1_7vsmem_tEENKUlT_SN_SO_SP_E_clISG_PjSI_PS9_EESM_S12_SN_SO_SP_EUlS12_E0_NS1_11comp_targetILNS1_3genE2ELNS1_11target_archE906ELNS1_3gpuE6ELNS1_3repE0EEENS1_38merge_mergepath_config_static_selectorELNS0_4arch9wavefront6targetE0EEEvSO_,comdat
.Lfunc_end62:
	.size	_ZN7rocprim17ROCPRIM_400000_NS6detail17trampoline_kernelINS0_14default_configENS1_38merge_sort_block_merge_config_selectorIjN6thrust23THRUST_200600_302600_NS5tupleIffNS6_9null_typeES8_S8_S8_S8_S8_S8_S8_EEEEZZNS1_27merge_sort_block_merge_implIS3_NS6_6detail15normal_iteratorINS6_10device_ptrIjEEEENSD_INSE_IS9_EEEEjNS1_19radix_merge_compareILb0ELb0EjNS0_19identity_decomposerEEEEE10hipError_tT0_T1_T2_jT3_P12ihipStream_tbPNSt15iterator_traitsISN_E10value_typeEPNST_ISO_E10value_typeEPSP_NS1_7vsmem_tEENKUlT_SN_SO_SP_E_clISG_PjSI_PS9_EESM_S12_SN_SO_SP_EUlS12_E0_NS1_11comp_targetILNS1_3genE2ELNS1_11target_archE906ELNS1_3gpuE6ELNS1_3repE0EEENS1_38merge_mergepath_config_static_selectorELNS0_4arch9wavefront6targetE0EEEvSO_, .Lfunc_end62-_ZN7rocprim17ROCPRIM_400000_NS6detail17trampoline_kernelINS0_14default_configENS1_38merge_sort_block_merge_config_selectorIjN6thrust23THRUST_200600_302600_NS5tupleIffNS6_9null_typeES8_S8_S8_S8_S8_S8_S8_EEEEZZNS1_27merge_sort_block_merge_implIS3_NS6_6detail15normal_iteratorINS6_10device_ptrIjEEEENSD_INSE_IS9_EEEEjNS1_19radix_merge_compareILb0ELb0EjNS0_19identity_decomposerEEEEE10hipError_tT0_T1_T2_jT3_P12ihipStream_tbPNSt15iterator_traitsISN_E10value_typeEPNST_ISO_E10value_typeEPSP_NS1_7vsmem_tEENKUlT_SN_SO_SP_E_clISG_PjSI_PS9_EESM_S12_SN_SO_SP_EUlS12_E0_NS1_11comp_targetILNS1_3genE2ELNS1_11target_archE906ELNS1_3gpuE6ELNS1_3repE0EEENS1_38merge_mergepath_config_static_selectorELNS0_4arch9wavefront6targetE0EEEvSO_
                                        ; -- End function
	.set _ZN7rocprim17ROCPRIM_400000_NS6detail17trampoline_kernelINS0_14default_configENS1_38merge_sort_block_merge_config_selectorIjN6thrust23THRUST_200600_302600_NS5tupleIffNS6_9null_typeES8_S8_S8_S8_S8_S8_S8_EEEEZZNS1_27merge_sort_block_merge_implIS3_NS6_6detail15normal_iteratorINS6_10device_ptrIjEEEENSD_INSE_IS9_EEEEjNS1_19radix_merge_compareILb0ELb0EjNS0_19identity_decomposerEEEEE10hipError_tT0_T1_T2_jT3_P12ihipStream_tbPNSt15iterator_traitsISN_E10value_typeEPNST_ISO_E10value_typeEPSP_NS1_7vsmem_tEENKUlT_SN_SO_SP_E_clISG_PjSI_PS9_EESM_S12_SN_SO_SP_EUlS12_E0_NS1_11comp_targetILNS1_3genE2ELNS1_11target_archE906ELNS1_3gpuE6ELNS1_3repE0EEENS1_38merge_mergepath_config_static_selectorELNS0_4arch9wavefront6targetE0EEEvSO_.num_vgpr, 0
	.set _ZN7rocprim17ROCPRIM_400000_NS6detail17trampoline_kernelINS0_14default_configENS1_38merge_sort_block_merge_config_selectorIjN6thrust23THRUST_200600_302600_NS5tupleIffNS6_9null_typeES8_S8_S8_S8_S8_S8_S8_EEEEZZNS1_27merge_sort_block_merge_implIS3_NS6_6detail15normal_iteratorINS6_10device_ptrIjEEEENSD_INSE_IS9_EEEEjNS1_19radix_merge_compareILb0ELb0EjNS0_19identity_decomposerEEEEE10hipError_tT0_T1_T2_jT3_P12ihipStream_tbPNSt15iterator_traitsISN_E10value_typeEPNST_ISO_E10value_typeEPSP_NS1_7vsmem_tEENKUlT_SN_SO_SP_E_clISG_PjSI_PS9_EESM_S12_SN_SO_SP_EUlS12_E0_NS1_11comp_targetILNS1_3genE2ELNS1_11target_archE906ELNS1_3gpuE6ELNS1_3repE0EEENS1_38merge_mergepath_config_static_selectorELNS0_4arch9wavefront6targetE0EEEvSO_.num_agpr, 0
	.set _ZN7rocprim17ROCPRIM_400000_NS6detail17trampoline_kernelINS0_14default_configENS1_38merge_sort_block_merge_config_selectorIjN6thrust23THRUST_200600_302600_NS5tupleIffNS6_9null_typeES8_S8_S8_S8_S8_S8_S8_EEEEZZNS1_27merge_sort_block_merge_implIS3_NS6_6detail15normal_iteratorINS6_10device_ptrIjEEEENSD_INSE_IS9_EEEEjNS1_19radix_merge_compareILb0ELb0EjNS0_19identity_decomposerEEEEE10hipError_tT0_T1_T2_jT3_P12ihipStream_tbPNSt15iterator_traitsISN_E10value_typeEPNST_ISO_E10value_typeEPSP_NS1_7vsmem_tEENKUlT_SN_SO_SP_E_clISG_PjSI_PS9_EESM_S12_SN_SO_SP_EUlS12_E0_NS1_11comp_targetILNS1_3genE2ELNS1_11target_archE906ELNS1_3gpuE6ELNS1_3repE0EEENS1_38merge_mergepath_config_static_selectorELNS0_4arch9wavefront6targetE0EEEvSO_.numbered_sgpr, 0
	.set _ZN7rocprim17ROCPRIM_400000_NS6detail17trampoline_kernelINS0_14default_configENS1_38merge_sort_block_merge_config_selectorIjN6thrust23THRUST_200600_302600_NS5tupleIffNS6_9null_typeES8_S8_S8_S8_S8_S8_S8_EEEEZZNS1_27merge_sort_block_merge_implIS3_NS6_6detail15normal_iteratorINS6_10device_ptrIjEEEENSD_INSE_IS9_EEEEjNS1_19radix_merge_compareILb0ELb0EjNS0_19identity_decomposerEEEEE10hipError_tT0_T1_T2_jT3_P12ihipStream_tbPNSt15iterator_traitsISN_E10value_typeEPNST_ISO_E10value_typeEPSP_NS1_7vsmem_tEENKUlT_SN_SO_SP_E_clISG_PjSI_PS9_EESM_S12_SN_SO_SP_EUlS12_E0_NS1_11comp_targetILNS1_3genE2ELNS1_11target_archE906ELNS1_3gpuE6ELNS1_3repE0EEENS1_38merge_mergepath_config_static_selectorELNS0_4arch9wavefront6targetE0EEEvSO_.num_named_barrier, 0
	.set _ZN7rocprim17ROCPRIM_400000_NS6detail17trampoline_kernelINS0_14default_configENS1_38merge_sort_block_merge_config_selectorIjN6thrust23THRUST_200600_302600_NS5tupleIffNS6_9null_typeES8_S8_S8_S8_S8_S8_S8_EEEEZZNS1_27merge_sort_block_merge_implIS3_NS6_6detail15normal_iteratorINS6_10device_ptrIjEEEENSD_INSE_IS9_EEEEjNS1_19radix_merge_compareILb0ELb0EjNS0_19identity_decomposerEEEEE10hipError_tT0_T1_T2_jT3_P12ihipStream_tbPNSt15iterator_traitsISN_E10value_typeEPNST_ISO_E10value_typeEPSP_NS1_7vsmem_tEENKUlT_SN_SO_SP_E_clISG_PjSI_PS9_EESM_S12_SN_SO_SP_EUlS12_E0_NS1_11comp_targetILNS1_3genE2ELNS1_11target_archE906ELNS1_3gpuE6ELNS1_3repE0EEENS1_38merge_mergepath_config_static_selectorELNS0_4arch9wavefront6targetE0EEEvSO_.private_seg_size, 0
	.set _ZN7rocprim17ROCPRIM_400000_NS6detail17trampoline_kernelINS0_14default_configENS1_38merge_sort_block_merge_config_selectorIjN6thrust23THRUST_200600_302600_NS5tupleIffNS6_9null_typeES8_S8_S8_S8_S8_S8_S8_EEEEZZNS1_27merge_sort_block_merge_implIS3_NS6_6detail15normal_iteratorINS6_10device_ptrIjEEEENSD_INSE_IS9_EEEEjNS1_19radix_merge_compareILb0ELb0EjNS0_19identity_decomposerEEEEE10hipError_tT0_T1_T2_jT3_P12ihipStream_tbPNSt15iterator_traitsISN_E10value_typeEPNST_ISO_E10value_typeEPSP_NS1_7vsmem_tEENKUlT_SN_SO_SP_E_clISG_PjSI_PS9_EESM_S12_SN_SO_SP_EUlS12_E0_NS1_11comp_targetILNS1_3genE2ELNS1_11target_archE906ELNS1_3gpuE6ELNS1_3repE0EEENS1_38merge_mergepath_config_static_selectorELNS0_4arch9wavefront6targetE0EEEvSO_.uses_vcc, 0
	.set _ZN7rocprim17ROCPRIM_400000_NS6detail17trampoline_kernelINS0_14default_configENS1_38merge_sort_block_merge_config_selectorIjN6thrust23THRUST_200600_302600_NS5tupleIffNS6_9null_typeES8_S8_S8_S8_S8_S8_S8_EEEEZZNS1_27merge_sort_block_merge_implIS3_NS6_6detail15normal_iteratorINS6_10device_ptrIjEEEENSD_INSE_IS9_EEEEjNS1_19radix_merge_compareILb0ELb0EjNS0_19identity_decomposerEEEEE10hipError_tT0_T1_T2_jT3_P12ihipStream_tbPNSt15iterator_traitsISN_E10value_typeEPNST_ISO_E10value_typeEPSP_NS1_7vsmem_tEENKUlT_SN_SO_SP_E_clISG_PjSI_PS9_EESM_S12_SN_SO_SP_EUlS12_E0_NS1_11comp_targetILNS1_3genE2ELNS1_11target_archE906ELNS1_3gpuE6ELNS1_3repE0EEENS1_38merge_mergepath_config_static_selectorELNS0_4arch9wavefront6targetE0EEEvSO_.uses_flat_scratch, 0
	.set _ZN7rocprim17ROCPRIM_400000_NS6detail17trampoline_kernelINS0_14default_configENS1_38merge_sort_block_merge_config_selectorIjN6thrust23THRUST_200600_302600_NS5tupleIffNS6_9null_typeES8_S8_S8_S8_S8_S8_S8_EEEEZZNS1_27merge_sort_block_merge_implIS3_NS6_6detail15normal_iteratorINS6_10device_ptrIjEEEENSD_INSE_IS9_EEEEjNS1_19radix_merge_compareILb0ELb0EjNS0_19identity_decomposerEEEEE10hipError_tT0_T1_T2_jT3_P12ihipStream_tbPNSt15iterator_traitsISN_E10value_typeEPNST_ISO_E10value_typeEPSP_NS1_7vsmem_tEENKUlT_SN_SO_SP_E_clISG_PjSI_PS9_EESM_S12_SN_SO_SP_EUlS12_E0_NS1_11comp_targetILNS1_3genE2ELNS1_11target_archE906ELNS1_3gpuE6ELNS1_3repE0EEENS1_38merge_mergepath_config_static_selectorELNS0_4arch9wavefront6targetE0EEEvSO_.has_dyn_sized_stack, 0
	.set _ZN7rocprim17ROCPRIM_400000_NS6detail17trampoline_kernelINS0_14default_configENS1_38merge_sort_block_merge_config_selectorIjN6thrust23THRUST_200600_302600_NS5tupleIffNS6_9null_typeES8_S8_S8_S8_S8_S8_S8_EEEEZZNS1_27merge_sort_block_merge_implIS3_NS6_6detail15normal_iteratorINS6_10device_ptrIjEEEENSD_INSE_IS9_EEEEjNS1_19radix_merge_compareILb0ELb0EjNS0_19identity_decomposerEEEEE10hipError_tT0_T1_T2_jT3_P12ihipStream_tbPNSt15iterator_traitsISN_E10value_typeEPNST_ISO_E10value_typeEPSP_NS1_7vsmem_tEENKUlT_SN_SO_SP_E_clISG_PjSI_PS9_EESM_S12_SN_SO_SP_EUlS12_E0_NS1_11comp_targetILNS1_3genE2ELNS1_11target_archE906ELNS1_3gpuE6ELNS1_3repE0EEENS1_38merge_mergepath_config_static_selectorELNS0_4arch9wavefront6targetE0EEEvSO_.has_recursion, 0
	.set _ZN7rocprim17ROCPRIM_400000_NS6detail17trampoline_kernelINS0_14default_configENS1_38merge_sort_block_merge_config_selectorIjN6thrust23THRUST_200600_302600_NS5tupleIffNS6_9null_typeES8_S8_S8_S8_S8_S8_S8_EEEEZZNS1_27merge_sort_block_merge_implIS3_NS6_6detail15normal_iteratorINS6_10device_ptrIjEEEENSD_INSE_IS9_EEEEjNS1_19radix_merge_compareILb0ELb0EjNS0_19identity_decomposerEEEEE10hipError_tT0_T1_T2_jT3_P12ihipStream_tbPNSt15iterator_traitsISN_E10value_typeEPNST_ISO_E10value_typeEPSP_NS1_7vsmem_tEENKUlT_SN_SO_SP_E_clISG_PjSI_PS9_EESM_S12_SN_SO_SP_EUlS12_E0_NS1_11comp_targetILNS1_3genE2ELNS1_11target_archE906ELNS1_3gpuE6ELNS1_3repE0EEENS1_38merge_mergepath_config_static_selectorELNS0_4arch9wavefront6targetE0EEEvSO_.has_indirect_call, 0
	.section	.AMDGPU.csdata,"",@progbits
; Kernel info:
; codeLenInByte = 0
; TotalNumSgprs: 0
; NumVgprs: 0
; ScratchSize: 0
; MemoryBound: 0
; FloatMode: 240
; IeeeMode: 1
; LDSByteSize: 0 bytes/workgroup (compile time only)
; SGPRBlocks: 0
; VGPRBlocks: 0
; NumSGPRsForWavesPerEU: 1
; NumVGPRsForWavesPerEU: 1
; Occupancy: 16
; WaveLimiterHint : 0
; COMPUTE_PGM_RSRC2:SCRATCH_EN: 0
; COMPUTE_PGM_RSRC2:USER_SGPR: 2
; COMPUTE_PGM_RSRC2:TRAP_HANDLER: 0
; COMPUTE_PGM_RSRC2:TGID_X_EN: 1
; COMPUTE_PGM_RSRC2:TGID_Y_EN: 0
; COMPUTE_PGM_RSRC2:TGID_Z_EN: 0
; COMPUTE_PGM_RSRC2:TIDIG_COMP_CNT: 0
	.section	.text._ZN7rocprim17ROCPRIM_400000_NS6detail17trampoline_kernelINS0_14default_configENS1_38merge_sort_block_merge_config_selectorIjN6thrust23THRUST_200600_302600_NS5tupleIffNS6_9null_typeES8_S8_S8_S8_S8_S8_S8_EEEEZZNS1_27merge_sort_block_merge_implIS3_NS6_6detail15normal_iteratorINS6_10device_ptrIjEEEENSD_INSE_IS9_EEEEjNS1_19radix_merge_compareILb0ELb0EjNS0_19identity_decomposerEEEEE10hipError_tT0_T1_T2_jT3_P12ihipStream_tbPNSt15iterator_traitsISN_E10value_typeEPNST_ISO_E10value_typeEPSP_NS1_7vsmem_tEENKUlT_SN_SO_SP_E_clISG_PjSI_PS9_EESM_S12_SN_SO_SP_EUlS12_E0_NS1_11comp_targetILNS1_3genE9ELNS1_11target_archE1100ELNS1_3gpuE3ELNS1_3repE0EEENS1_38merge_mergepath_config_static_selectorELNS0_4arch9wavefront6targetE0EEEvSO_,"axG",@progbits,_ZN7rocprim17ROCPRIM_400000_NS6detail17trampoline_kernelINS0_14default_configENS1_38merge_sort_block_merge_config_selectorIjN6thrust23THRUST_200600_302600_NS5tupleIffNS6_9null_typeES8_S8_S8_S8_S8_S8_S8_EEEEZZNS1_27merge_sort_block_merge_implIS3_NS6_6detail15normal_iteratorINS6_10device_ptrIjEEEENSD_INSE_IS9_EEEEjNS1_19radix_merge_compareILb0ELb0EjNS0_19identity_decomposerEEEEE10hipError_tT0_T1_T2_jT3_P12ihipStream_tbPNSt15iterator_traitsISN_E10value_typeEPNST_ISO_E10value_typeEPSP_NS1_7vsmem_tEENKUlT_SN_SO_SP_E_clISG_PjSI_PS9_EESM_S12_SN_SO_SP_EUlS12_E0_NS1_11comp_targetILNS1_3genE9ELNS1_11target_archE1100ELNS1_3gpuE3ELNS1_3repE0EEENS1_38merge_mergepath_config_static_selectorELNS0_4arch9wavefront6targetE0EEEvSO_,comdat
	.protected	_ZN7rocprim17ROCPRIM_400000_NS6detail17trampoline_kernelINS0_14default_configENS1_38merge_sort_block_merge_config_selectorIjN6thrust23THRUST_200600_302600_NS5tupleIffNS6_9null_typeES8_S8_S8_S8_S8_S8_S8_EEEEZZNS1_27merge_sort_block_merge_implIS3_NS6_6detail15normal_iteratorINS6_10device_ptrIjEEEENSD_INSE_IS9_EEEEjNS1_19radix_merge_compareILb0ELb0EjNS0_19identity_decomposerEEEEE10hipError_tT0_T1_T2_jT3_P12ihipStream_tbPNSt15iterator_traitsISN_E10value_typeEPNST_ISO_E10value_typeEPSP_NS1_7vsmem_tEENKUlT_SN_SO_SP_E_clISG_PjSI_PS9_EESM_S12_SN_SO_SP_EUlS12_E0_NS1_11comp_targetILNS1_3genE9ELNS1_11target_archE1100ELNS1_3gpuE3ELNS1_3repE0EEENS1_38merge_mergepath_config_static_selectorELNS0_4arch9wavefront6targetE0EEEvSO_ ; -- Begin function _ZN7rocprim17ROCPRIM_400000_NS6detail17trampoline_kernelINS0_14default_configENS1_38merge_sort_block_merge_config_selectorIjN6thrust23THRUST_200600_302600_NS5tupleIffNS6_9null_typeES8_S8_S8_S8_S8_S8_S8_EEEEZZNS1_27merge_sort_block_merge_implIS3_NS6_6detail15normal_iteratorINS6_10device_ptrIjEEEENSD_INSE_IS9_EEEEjNS1_19radix_merge_compareILb0ELb0EjNS0_19identity_decomposerEEEEE10hipError_tT0_T1_T2_jT3_P12ihipStream_tbPNSt15iterator_traitsISN_E10value_typeEPNST_ISO_E10value_typeEPSP_NS1_7vsmem_tEENKUlT_SN_SO_SP_E_clISG_PjSI_PS9_EESM_S12_SN_SO_SP_EUlS12_E0_NS1_11comp_targetILNS1_3genE9ELNS1_11target_archE1100ELNS1_3gpuE3ELNS1_3repE0EEENS1_38merge_mergepath_config_static_selectorELNS0_4arch9wavefront6targetE0EEEvSO_
	.globl	_ZN7rocprim17ROCPRIM_400000_NS6detail17trampoline_kernelINS0_14default_configENS1_38merge_sort_block_merge_config_selectorIjN6thrust23THRUST_200600_302600_NS5tupleIffNS6_9null_typeES8_S8_S8_S8_S8_S8_S8_EEEEZZNS1_27merge_sort_block_merge_implIS3_NS6_6detail15normal_iteratorINS6_10device_ptrIjEEEENSD_INSE_IS9_EEEEjNS1_19radix_merge_compareILb0ELb0EjNS0_19identity_decomposerEEEEE10hipError_tT0_T1_T2_jT3_P12ihipStream_tbPNSt15iterator_traitsISN_E10value_typeEPNST_ISO_E10value_typeEPSP_NS1_7vsmem_tEENKUlT_SN_SO_SP_E_clISG_PjSI_PS9_EESM_S12_SN_SO_SP_EUlS12_E0_NS1_11comp_targetILNS1_3genE9ELNS1_11target_archE1100ELNS1_3gpuE3ELNS1_3repE0EEENS1_38merge_mergepath_config_static_selectorELNS0_4arch9wavefront6targetE0EEEvSO_
	.p2align	8
	.type	_ZN7rocprim17ROCPRIM_400000_NS6detail17trampoline_kernelINS0_14default_configENS1_38merge_sort_block_merge_config_selectorIjN6thrust23THRUST_200600_302600_NS5tupleIffNS6_9null_typeES8_S8_S8_S8_S8_S8_S8_EEEEZZNS1_27merge_sort_block_merge_implIS3_NS6_6detail15normal_iteratorINS6_10device_ptrIjEEEENSD_INSE_IS9_EEEEjNS1_19radix_merge_compareILb0ELb0EjNS0_19identity_decomposerEEEEE10hipError_tT0_T1_T2_jT3_P12ihipStream_tbPNSt15iterator_traitsISN_E10value_typeEPNST_ISO_E10value_typeEPSP_NS1_7vsmem_tEENKUlT_SN_SO_SP_E_clISG_PjSI_PS9_EESM_S12_SN_SO_SP_EUlS12_E0_NS1_11comp_targetILNS1_3genE9ELNS1_11target_archE1100ELNS1_3gpuE3ELNS1_3repE0EEENS1_38merge_mergepath_config_static_selectorELNS0_4arch9wavefront6targetE0EEEvSO_,@function
_ZN7rocprim17ROCPRIM_400000_NS6detail17trampoline_kernelINS0_14default_configENS1_38merge_sort_block_merge_config_selectorIjN6thrust23THRUST_200600_302600_NS5tupleIffNS6_9null_typeES8_S8_S8_S8_S8_S8_S8_EEEEZZNS1_27merge_sort_block_merge_implIS3_NS6_6detail15normal_iteratorINS6_10device_ptrIjEEEENSD_INSE_IS9_EEEEjNS1_19radix_merge_compareILb0ELb0EjNS0_19identity_decomposerEEEEE10hipError_tT0_T1_T2_jT3_P12ihipStream_tbPNSt15iterator_traitsISN_E10value_typeEPNST_ISO_E10value_typeEPSP_NS1_7vsmem_tEENKUlT_SN_SO_SP_E_clISG_PjSI_PS9_EESM_S12_SN_SO_SP_EUlS12_E0_NS1_11comp_targetILNS1_3genE9ELNS1_11target_archE1100ELNS1_3gpuE3ELNS1_3repE0EEENS1_38merge_mergepath_config_static_selectorELNS0_4arch9wavefront6targetE0EEEvSO_: ; @_ZN7rocprim17ROCPRIM_400000_NS6detail17trampoline_kernelINS0_14default_configENS1_38merge_sort_block_merge_config_selectorIjN6thrust23THRUST_200600_302600_NS5tupleIffNS6_9null_typeES8_S8_S8_S8_S8_S8_S8_EEEEZZNS1_27merge_sort_block_merge_implIS3_NS6_6detail15normal_iteratorINS6_10device_ptrIjEEEENSD_INSE_IS9_EEEEjNS1_19radix_merge_compareILb0ELb0EjNS0_19identity_decomposerEEEEE10hipError_tT0_T1_T2_jT3_P12ihipStream_tbPNSt15iterator_traitsISN_E10value_typeEPNST_ISO_E10value_typeEPSP_NS1_7vsmem_tEENKUlT_SN_SO_SP_E_clISG_PjSI_PS9_EESM_S12_SN_SO_SP_EUlS12_E0_NS1_11comp_targetILNS1_3genE9ELNS1_11target_archE1100ELNS1_3gpuE3ELNS1_3repE0EEENS1_38merge_mergepath_config_static_selectorELNS0_4arch9wavefront6targetE0EEEvSO_
; %bb.0:
	.section	.rodata,"a",@progbits
	.p2align	6, 0x0
	.amdhsa_kernel _ZN7rocprim17ROCPRIM_400000_NS6detail17trampoline_kernelINS0_14default_configENS1_38merge_sort_block_merge_config_selectorIjN6thrust23THRUST_200600_302600_NS5tupleIffNS6_9null_typeES8_S8_S8_S8_S8_S8_S8_EEEEZZNS1_27merge_sort_block_merge_implIS3_NS6_6detail15normal_iteratorINS6_10device_ptrIjEEEENSD_INSE_IS9_EEEEjNS1_19radix_merge_compareILb0ELb0EjNS0_19identity_decomposerEEEEE10hipError_tT0_T1_T2_jT3_P12ihipStream_tbPNSt15iterator_traitsISN_E10value_typeEPNST_ISO_E10value_typeEPSP_NS1_7vsmem_tEENKUlT_SN_SO_SP_E_clISG_PjSI_PS9_EESM_S12_SN_SO_SP_EUlS12_E0_NS1_11comp_targetILNS1_3genE9ELNS1_11target_archE1100ELNS1_3gpuE3ELNS1_3repE0EEENS1_38merge_mergepath_config_static_selectorELNS0_4arch9wavefront6targetE0EEEvSO_
		.amdhsa_group_segment_fixed_size 0
		.amdhsa_private_segment_fixed_size 0
		.amdhsa_kernarg_size 64
		.amdhsa_user_sgpr_count 2
		.amdhsa_user_sgpr_dispatch_ptr 0
		.amdhsa_user_sgpr_queue_ptr 0
		.amdhsa_user_sgpr_kernarg_segment_ptr 1
		.amdhsa_user_sgpr_dispatch_id 0
		.amdhsa_user_sgpr_private_segment_size 0
		.amdhsa_wavefront_size32 1
		.amdhsa_uses_dynamic_stack 0
		.amdhsa_enable_private_segment 0
		.amdhsa_system_sgpr_workgroup_id_x 1
		.amdhsa_system_sgpr_workgroup_id_y 0
		.amdhsa_system_sgpr_workgroup_id_z 0
		.amdhsa_system_sgpr_workgroup_info 0
		.amdhsa_system_vgpr_workitem_id 0
		.amdhsa_next_free_vgpr 1
		.amdhsa_next_free_sgpr 1
		.amdhsa_reserve_vcc 0
		.amdhsa_float_round_mode_32 0
		.amdhsa_float_round_mode_16_64 0
		.amdhsa_float_denorm_mode_32 3
		.amdhsa_float_denorm_mode_16_64 3
		.amdhsa_fp16_overflow 0
		.amdhsa_workgroup_processor_mode 1
		.amdhsa_memory_ordered 1
		.amdhsa_forward_progress 1
		.amdhsa_inst_pref_size 0
		.amdhsa_round_robin_scheduling 0
		.amdhsa_exception_fp_ieee_invalid_op 0
		.amdhsa_exception_fp_denorm_src 0
		.amdhsa_exception_fp_ieee_div_zero 0
		.amdhsa_exception_fp_ieee_overflow 0
		.amdhsa_exception_fp_ieee_underflow 0
		.amdhsa_exception_fp_ieee_inexact 0
		.amdhsa_exception_int_div_zero 0
	.end_amdhsa_kernel
	.section	.text._ZN7rocprim17ROCPRIM_400000_NS6detail17trampoline_kernelINS0_14default_configENS1_38merge_sort_block_merge_config_selectorIjN6thrust23THRUST_200600_302600_NS5tupleIffNS6_9null_typeES8_S8_S8_S8_S8_S8_S8_EEEEZZNS1_27merge_sort_block_merge_implIS3_NS6_6detail15normal_iteratorINS6_10device_ptrIjEEEENSD_INSE_IS9_EEEEjNS1_19radix_merge_compareILb0ELb0EjNS0_19identity_decomposerEEEEE10hipError_tT0_T1_T2_jT3_P12ihipStream_tbPNSt15iterator_traitsISN_E10value_typeEPNST_ISO_E10value_typeEPSP_NS1_7vsmem_tEENKUlT_SN_SO_SP_E_clISG_PjSI_PS9_EESM_S12_SN_SO_SP_EUlS12_E0_NS1_11comp_targetILNS1_3genE9ELNS1_11target_archE1100ELNS1_3gpuE3ELNS1_3repE0EEENS1_38merge_mergepath_config_static_selectorELNS0_4arch9wavefront6targetE0EEEvSO_,"axG",@progbits,_ZN7rocprim17ROCPRIM_400000_NS6detail17trampoline_kernelINS0_14default_configENS1_38merge_sort_block_merge_config_selectorIjN6thrust23THRUST_200600_302600_NS5tupleIffNS6_9null_typeES8_S8_S8_S8_S8_S8_S8_EEEEZZNS1_27merge_sort_block_merge_implIS3_NS6_6detail15normal_iteratorINS6_10device_ptrIjEEEENSD_INSE_IS9_EEEEjNS1_19radix_merge_compareILb0ELb0EjNS0_19identity_decomposerEEEEE10hipError_tT0_T1_T2_jT3_P12ihipStream_tbPNSt15iterator_traitsISN_E10value_typeEPNST_ISO_E10value_typeEPSP_NS1_7vsmem_tEENKUlT_SN_SO_SP_E_clISG_PjSI_PS9_EESM_S12_SN_SO_SP_EUlS12_E0_NS1_11comp_targetILNS1_3genE9ELNS1_11target_archE1100ELNS1_3gpuE3ELNS1_3repE0EEENS1_38merge_mergepath_config_static_selectorELNS0_4arch9wavefront6targetE0EEEvSO_,comdat
.Lfunc_end63:
	.size	_ZN7rocprim17ROCPRIM_400000_NS6detail17trampoline_kernelINS0_14default_configENS1_38merge_sort_block_merge_config_selectorIjN6thrust23THRUST_200600_302600_NS5tupleIffNS6_9null_typeES8_S8_S8_S8_S8_S8_S8_EEEEZZNS1_27merge_sort_block_merge_implIS3_NS6_6detail15normal_iteratorINS6_10device_ptrIjEEEENSD_INSE_IS9_EEEEjNS1_19radix_merge_compareILb0ELb0EjNS0_19identity_decomposerEEEEE10hipError_tT0_T1_T2_jT3_P12ihipStream_tbPNSt15iterator_traitsISN_E10value_typeEPNST_ISO_E10value_typeEPSP_NS1_7vsmem_tEENKUlT_SN_SO_SP_E_clISG_PjSI_PS9_EESM_S12_SN_SO_SP_EUlS12_E0_NS1_11comp_targetILNS1_3genE9ELNS1_11target_archE1100ELNS1_3gpuE3ELNS1_3repE0EEENS1_38merge_mergepath_config_static_selectorELNS0_4arch9wavefront6targetE0EEEvSO_, .Lfunc_end63-_ZN7rocprim17ROCPRIM_400000_NS6detail17trampoline_kernelINS0_14default_configENS1_38merge_sort_block_merge_config_selectorIjN6thrust23THRUST_200600_302600_NS5tupleIffNS6_9null_typeES8_S8_S8_S8_S8_S8_S8_EEEEZZNS1_27merge_sort_block_merge_implIS3_NS6_6detail15normal_iteratorINS6_10device_ptrIjEEEENSD_INSE_IS9_EEEEjNS1_19radix_merge_compareILb0ELb0EjNS0_19identity_decomposerEEEEE10hipError_tT0_T1_T2_jT3_P12ihipStream_tbPNSt15iterator_traitsISN_E10value_typeEPNST_ISO_E10value_typeEPSP_NS1_7vsmem_tEENKUlT_SN_SO_SP_E_clISG_PjSI_PS9_EESM_S12_SN_SO_SP_EUlS12_E0_NS1_11comp_targetILNS1_3genE9ELNS1_11target_archE1100ELNS1_3gpuE3ELNS1_3repE0EEENS1_38merge_mergepath_config_static_selectorELNS0_4arch9wavefront6targetE0EEEvSO_
                                        ; -- End function
	.set _ZN7rocprim17ROCPRIM_400000_NS6detail17trampoline_kernelINS0_14default_configENS1_38merge_sort_block_merge_config_selectorIjN6thrust23THRUST_200600_302600_NS5tupleIffNS6_9null_typeES8_S8_S8_S8_S8_S8_S8_EEEEZZNS1_27merge_sort_block_merge_implIS3_NS6_6detail15normal_iteratorINS6_10device_ptrIjEEEENSD_INSE_IS9_EEEEjNS1_19radix_merge_compareILb0ELb0EjNS0_19identity_decomposerEEEEE10hipError_tT0_T1_T2_jT3_P12ihipStream_tbPNSt15iterator_traitsISN_E10value_typeEPNST_ISO_E10value_typeEPSP_NS1_7vsmem_tEENKUlT_SN_SO_SP_E_clISG_PjSI_PS9_EESM_S12_SN_SO_SP_EUlS12_E0_NS1_11comp_targetILNS1_3genE9ELNS1_11target_archE1100ELNS1_3gpuE3ELNS1_3repE0EEENS1_38merge_mergepath_config_static_selectorELNS0_4arch9wavefront6targetE0EEEvSO_.num_vgpr, 0
	.set _ZN7rocprim17ROCPRIM_400000_NS6detail17trampoline_kernelINS0_14default_configENS1_38merge_sort_block_merge_config_selectorIjN6thrust23THRUST_200600_302600_NS5tupleIffNS6_9null_typeES8_S8_S8_S8_S8_S8_S8_EEEEZZNS1_27merge_sort_block_merge_implIS3_NS6_6detail15normal_iteratorINS6_10device_ptrIjEEEENSD_INSE_IS9_EEEEjNS1_19radix_merge_compareILb0ELb0EjNS0_19identity_decomposerEEEEE10hipError_tT0_T1_T2_jT3_P12ihipStream_tbPNSt15iterator_traitsISN_E10value_typeEPNST_ISO_E10value_typeEPSP_NS1_7vsmem_tEENKUlT_SN_SO_SP_E_clISG_PjSI_PS9_EESM_S12_SN_SO_SP_EUlS12_E0_NS1_11comp_targetILNS1_3genE9ELNS1_11target_archE1100ELNS1_3gpuE3ELNS1_3repE0EEENS1_38merge_mergepath_config_static_selectorELNS0_4arch9wavefront6targetE0EEEvSO_.num_agpr, 0
	.set _ZN7rocprim17ROCPRIM_400000_NS6detail17trampoline_kernelINS0_14default_configENS1_38merge_sort_block_merge_config_selectorIjN6thrust23THRUST_200600_302600_NS5tupleIffNS6_9null_typeES8_S8_S8_S8_S8_S8_S8_EEEEZZNS1_27merge_sort_block_merge_implIS3_NS6_6detail15normal_iteratorINS6_10device_ptrIjEEEENSD_INSE_IS9_EEEEjNS1_19radix_merge_compareILb0ELb0EjNS0_19identity_decomposerEEEEE10hipError_tT0_T1_T2_jT3_P12ihipStream_tbPNSt15iterator_traitsISN_E10value_typeEPNST_ISO_E10value_typeEPSP_NS1_7vsmem_tEENKUlT_SN_SO_SP_E_clISG_PjSI_PS9_EESM_S12_SN_SO_SP_EUlS12_E0_NS1_11comp_targetILNS1_3genE9ELNS1_11target_archE1100ELNS1_3gpuE3ELNS1_3repE0EEENS1_38merge_mergepath_config_static_selectorELNS0_4arch9wavefront6targetE0EEEvSO_.numbered_sgpr, 0
	.set _ZN7rocprim17ROCPRIM_400000_NS6detail17trampoline_kernelINS0_14default_configENS1_38merge_sort_block_merge_config_selectorIjN6thrust23THRUST_200600_302600_NS5tupleIffNS6_9null_typeES8_S8_S8_S8_S8_S8_S8_EEEEZZNS1_27merge_sort_block_merge_implIS3_NS6_6detail15normal_iteratorINS6_10device_ptrIjEEEENSD_INSE_IS9_EEEEjNS1_19radix_merge_compareILb0ELb0EjNS0_19identity_decomposerEEEEE10hipError_tT0_T1_T2_jT3_P12ihipStream_tbPNSt15iterator_traitsISN_E10value_typeEPNST_ISO_E10value_typeEPSP_NS1_7vsmem_tEENKUlT_SN_SO_SP_E_clISG_PjSI_PS9_EESM_S12_SN_SO_SP_EUlS12_E0_NS1_11comp_targetILNS1_3genE9ELNS1_11target_archE1100ELNS1_3gpuE3ELNS1_3repE0EEENS1_38merge_mergepath_config_static_selectorELNS0_4arch9wavefront6targetE0EEEvSO_.num_named_barrier, 0
	.set _ZN7rocprim17ROCPRIM_400000_NS6detail17trampoline_kernelINS0_14default_configENS1_38merge_sort_block_merge_config_selectorIjN6thrust23THRUST_200600_302600_NS5tupleIffNS6_9null_typeES8_S8_S8_S8_S8_S8_S8_EEEEZZNS1_27merge_sort_block_merge_implIS3_NS6_6detail15normal_iteratorINS6_10device_ptrIjEEEENSD_INSE_IS9_EEEEjNS1_19radix_merge_compareILb0ELb0EjNS0_19identity_decomposerEEEEE10hipError_tT0_T1_T2_jT3_P12ihipStream_tbPNSt15iterator_traitsISN_E10value_typeEPNST_ISO_E10value_typeEPSP_NS1_7vsmem_tEENKUlT_SN_SO_SP_E_clISG_PjSI_PS9_EESM_S12_SN_SO_SP_EUlS12_E0_NS1_11comp_targetILNS1_3genE9ELNS1_11target_archE1100ELNS1_3gpuE3ELNS1_3repE0EEENS1_38merge_mergepath_config_static_selectorELNS0_4arch9wavefront6targetE0EEEvSO_.private_seg_size, 0
	.set _ZN7rocprim17ROCPRIM_400000_NS6detail17trampoline_kernelINS0_14default_configENS1_38merge_sort_block_merge_config_selectorIjN6thrust23THRUST_200600_302600_NS5tupleIffNS6_9null_typeES8_S8_S8_S8_S8_S8_S8_EEEEZZNS1_27merge_sort_block_merge_implIS3_NS6_6detail15normal_iteratorINS6_10device_ptrIjEEEENSD_INSE_IS9_EEEEjNS1_19radix_merge_compareILb0ELb0EjNS0_19identity_decomposerEEEEE10hipError_tT0_T1_T2_jT3_P12ihipStream_tbPNSt15iterator_traitsISN_E10value_typeEPNST_ISO_E10value_typeEPSP_NS1_7vsmem_tEENKUlT_SN_SO_SP_E_clISG_PjSI_PS9_EESM_S12_SN_SO_SP_EUlS12_E0_NS1_11comp_targetILNS1_3genE9ELNS1_11target_archE1100ELNS1_3gpuE3ELNS1_3repE0EEENS1_38merge_mergepath_config_static_selectorELNS0_4arch9wavefront6targetE0EEEvSO_.uses_vcc, 0
	.set _ZN7rocprim17ROCPRIM_400000_NS6detail17trampoline_kernelINS0_14default_configENS1_38merge_sort_block_merge_config_selectorIjN6thrust23THRUST_200600_302600_NS5tupleIffNS6_9null_typeES8_S8_S8_S8_S8_S8_S8_EEEEZZNS1_27merge_sort_block_merge_implIS3_NS6_6detail15normal_iteratorINS6_10device_ptrIjEEEENSD_INSE_IS9_EEEEjNS1_19radix_merge_compareILb0ELb0EjNS0_19identity_decomposerEEEEE10hipError_tT0_T1_T2_jT3_P12ihipStream_tbPNSt15iterator_traitsISN_E10value_typeEPNST_ISO_E10value_typeEPSP_NS1_7vsmem_tEENKUlT_SN_SO_SP_E_clISG_PjSI_PS9_EESM_S12_SN_SO_SP_EUlS12_E0_NS1_11comp_targetILNS1_3genE9ELNS1_11target_archE1100ELNS1_3gpuE3ELNS1_3repE0EEENS1_38merge_mergepath_config_static_selectorELNS0_4arch9wavefront6targetE0EEEvSO_.uses_flat_scratch, 0
	.set _ZN7rocprim17ROCPRIM_400000_NS6detail17trampoline_kernelINS0_14default_configENS1_38merge_sort_block_merge_config_selectorIjN6thrust23THRUST_200600_302600_NS5tupleIffNS6_9null_typeES8_S8_S8_S8_S8_S8_S8_EEEEZZNS1_27merge_sort_block_merge_implIS3_NS6_6detail15normal_iteratorINS6_10device_ptrIjEEEENSD_INSE_IS9_EEEEjNS1_19radix_merge_compareILb0ELb0EjNS0_19identity_decomposerEEEEE10hipError_tT0_T1_T2_jT3_P12ihipStream_tbPNSt15iterator_traitsISN_E10value_typeEPNST_ISO_E10value_typeEPSP_NS1_7vsmem_tEENKUlT_SN_SO_SP_E_clISG_PjSI_PS9_EESM_S12_SN_SO_SP_EUlS12_E0_NS1_11comp_targetILNS1_3genE9ELNS1_11target_archE1100ELNS1_3gpuE3ELNS1_3repE0EEENS1_38merge_mergepath_config_static_selectorELNS0_4arch9wavefront6targetE0EEEvSO_.has_dyn_sized_stack, 0
	.set _ZN7rocprim17ROCPRIM_400000_NS6detail17trampoline_kernelINS0_14default_configENS1_38merge_sort_block_merge_config_selectorIjN6thrust23THRUST_200600_302600_NS5tupleIffNS6_9null_typeES8_S8_S8_S8_S8_S8_S8_EEEEZZNS1_27merge_sort_block_merge_implIS3_NS6_6detail15normal_iteratorINS6_10device_ptrIjEEEENSD_INSE_IS9_EEEEjNS1_19radix_merge_compareILb0ELb0EjNS0_19identity_decomposerEEEEE10hipError_tT0_T1_T2_jT3_P12ihipStream_tbPNSt15iterator_traitsISN_E10value_typeEPNST_ISO_E10value_typeEPSP_NS1_7vsmem_tEENKUlT_SN_SO_SP_E_clISG_PjSI_PS9_EESM_S12_SN_SO_SP_EUlS12_E0_NS1_11comp_targetILNS1_3genE9ELNS1_11target_archE1100ELNS1_3gpuE3ELNS1_3repE0EEENS1_38merge_mergepath_config_static_selectorELNS0_4arch9wavefront6targetE0EEEvSO_.has_recursion, 0
	.set _ZN7rocprim17ROCPRIM_400000_NS6detail17trampoline_kernelINS0_14default_configENS1_38merge_sort_block_merge_config_selectorIjN6thrust23THRUST_200600_302600_NS5tupleIffNS6_9null_typeES8_S8_S8_S8_S8_S8_S8_EEEEZZNS1_27merge_sort_block_merge_implIS3_NS6_6detail15normal_iteratorINS6_10device_ptrIjEEEENSD_INSE_IS9_EEEEjNS1_19radix_merge_compareILb0ELb0EjNS0_19identity_decomposerEEEEE10hipError_tT0_T1_T2_jT3_P12ihipStream_tbPNSt15iterator_traitsISN_E10value_typeEPNST_ISO_E10value_typeEPSP_NS1_7vsmem_tEENKUlT_SN_SO_SP_E_clISG_PjSI_PS9_EESM_S12_SN_SO_SP_EUlS12_E0_NS1_11comp_targetILNS1_3genE9ELNS1_11target_archE1100ELNS1_3gpuE3ELNS1_3repE0EEENS1_38merge_mergepath_config_static_selectorELNS0_4arch9wavefront6targetE0EEEvSO_.has_indirect_call, 0
	.section	.AMDGPU.csdata,"",@progbits
; Kernel info:
; codeLenInByte = 0
; TotalNumSgprs: 0
; NumVgprs: 0
; ScratchSize: 0
; MemoryBound: 0
; FloatMode: 240
; IeeeMode: 1
; LDSByteSize: 0 bytes/workgroup (compile time only)
; SGPRBlocks: 0
; VGPRBlocks: 0
; NumSGPRsForWavesPerEU: 1
; NumVGPRsForWavesPerEU: 1
; Occupancy: 16
; WaveLimiterHint : 0
; COMPUTE_PGM_RSRC2:SCRATCH_EN: 0
; COMPUTE_PGM_RSRC2:USER_SGPR: 2
; COMPUTE_PGM_RSRC2:TRAP_HANDLER: 0
; COMPUTE_PGM_RSRC2:TGID_X_EN: 1
; COMPUTE_PGM_RSRC2:TGID_Y_EN: 0
; COMPUTE_PGM_RSRC2:TGID_Z_EN: 0
; COMPUTE_PGM_RSRC2:TIDIG_COMP_CNT: 0
	.section	.text._ZN7rocprim17ROCPRIM_400000_NS6detail17trampoline_kernelINS0_14default_configENS1_38merge_sort_block_merge_config_selectorIjN6thrust23THRUST_200600_302600_NS5tupleIffNS6_9null_typeES8_S8_S8_S8_S8_S8_S8_EEEEZZNS1_27merge_sort_block_merge_implIS3_NS6_6detail15normal_iteratorINS6_10device_ptrIjEEEENSD_INSE_IS9_EEEEjNS1_19radix_merge_compareILb0ELb0EjNS0_19identity_decomposerEEEEE10hipError_tT0_T1_T2_jT3_P12ihipStream_tbPNSt15iterator_traitsISN_E10value_typeEPNST_ISO_E10value_typeEPSP_NS1_7vsmem_tEENKUlT_SN_SO_SP_E_clISG_PjSI_PS9_EESM_S12_SN_SO_SP_EUlS12_E0_NS1_11comp_targetILNS1_3genE8ELNS1_11target_archE1030ELNS1_3gpuE2ELNS1_3repE0EEENS1_38merge_mergepath_config_static_selectorELNS0_4arch9wavefront6targetE0EEEvSO_,"axG",@progbits,_ZN7rocprim17ROCPRIM_400000_NS6detail17trampoline_kernelINS0_14default_configENS1_38merge_sort_block_merge_config_selectorIjN6thrust23THRUST_200600_302600_NS5tupleIffNS6_9null_typeES8_S8_S8_S8_S8_S8_S8_EEEEZZNS1_27merge_sort_block_merge_implIS3_NS6_6detail15normal_iteratorINS6_10device_ptrIjEEEENSD_INSE_IS9_EEEEjNS1_19radix_merge_compareILb0ELb0EjNS0_19identity_decomposerEEEEE10hipError_tT0_T1_T2_jT3_P12ihipStream_tbPNSt15iterator_traitsISN_E10value_typeEPNST_ISO_E10value_typeEPSP_NS1_7vsmem_tEENKUlT_SN_SO_SP_E_clISG_PjSI_PS9_EESM_S12_SN_SO_SP_EUlS12_E0_NS1_11comp_targetILNS1_3genE8ELNS1_11target_archE1030ELNS1_3gpuE2ELNS1_3repE0EEENS1_38merge_mergepath_config_static_selectorELNS0_4arch9wavefront6targetE0EEEvSO_,comdat
	.protected	_ZN7rocprim17ROCPRIM_400000_NS6detail17trampoline_kernelINS0_14default_configENS1_38merge_sort_block_merge_config_selectorIjN6thrust23THRUST_200600_302600_NS5tupleIffNS6_9null_typeES8_S8_S8_S8_S8_S8_S8_EEEEZZNS1_27merge_sort_block_merge_implIS3_NS6_6detail15normal_iteratorINS6_10device_ptrIjEEEENSD_INSE_IS9_EEEEjNS1_19radix_merge_compareILb0ELb0EjNS0_19identity_decomposerEEEEE10hipError_tT0_T1_T2_jT3_P12ihipStream_tbPNSt15iterator_traitsISN_E10value_typeEPNST_ISO_E10value_typeEPSP_NS1_7vsmem_tEENKUlT_SN_SO_SP_E_clISG_PjSI_PS9_EESM_S12_SN_SO_SP_EUlS12_E0_NS1_11comp_targetILNS1_3genE8ELNS1_11target_archE1030ELNS1_3gpuE2ELNS1_3repE0EEENS1_38merge_mergepath_config_static_selectorELNS0_4arch9wavefront6targetE0EEEvSO_ ; -- Begin function _ZN7rocprim17ROCPRIM_400000_NS6detail17trampoline_kernelINS0_14default_configENS1_38merge_sort_block_merge_config_selectorIjN6thrust23THRUST_200600_302600_NS5tupleIffNS6_9null_typeES8_S8_S8_S8_S8_S8_S8_EEEEZZNS1_27merge_sort_block_merge_implIS3_NS6_6detail15normal_iteratorINS6_10device_ptrIjEEEENSD_INSE_IS9_EEEEjNS1_19radix_merge_compareILb0ELb0EjNS0_19identity_decomposerEEEEE10hipError_tT0_T1_T2_jT3_P12ihipStream_tbPNSt15iterator_traitsISN_E10value_typeEPNST_ISO_E10value_typeEPSP_NS1_7vsmem_tEENKUlT_SN_SO_SP_E_clISG_PjSI_PS9_EESM_S12_SN_SO_SP_EUlS12_E0_NS1_11comp_targetILNS1_3genE8ELNS1_11target_archE1030ELNS1_3gpuE2ELNS1_3repE0EEENS1_38merge_mergepath_config_static_selectorELNS0_4arch9wavefront6targetE0EEEvSO_
	.globl	_ZN7rocprim17ROCPRIM_400000_NS6detail17trampoline_kernelINS0_14default_configENS1_38merge_sort_block_merge_config_selectorIjN6thrust23THRUST_200600_302600_NS5tupleIffNS6_9null_typeES8_S8_S8_S8_S8_S8_S8_EEEEZZNS1_27merge_sort_block_merge_implIS3_NS6_6detail15normal_iteratorINS6_10device_ptrIjEEEENSD_INSE_IS9_EEEEjNS1_19radix_merge_compareILb0ELb0EjNS0_19identity_decomposerEEEEE10hipError_tT0_T1_T2_jT3_P12ihipStream_tbPNSt15iterator_traitsISN_E10value_typeEPNST_ISO_E10value_typeEPSP_NS1_7vsmem_tEENKUlT_SN_SO_SP_E_clISG_PjSI_PS9_EESM_S12_SN_SO_SP_EUlS12_E0_NS1_11comp_targetILNS1_3genE8ELNS1_11target_archE1030ELNS1_3gpuE2ELNS1_3repE0EEENS1_38merge_mergepath_config_static_selectorELNS0_4arch9wavefront6targetE0EEEvSO_
	.p2align	8
	.type	_ZN7rocprim17ROCPRIM_400000_NS6detail17trampoline_kernelINS0_14default_configENS1_38merge_sort_block_merge_config_selectorIjN6thrust23THRUST_200600_302600_NS5tupleIffNS6_9null_typeES8_S8_S8_S8_S8_S8_S8_EEEEZZNS1_27merge_sort_block_merge_implIS3_NS6_6detail15normal_iteratorINS6_10device_ptrIjEEEENSD_INSE_IS9_EEEEjNS1_19radix_merge_compareILb0ELb0EjNS0_19identity_decomposerEEEEE10hipError_tT0_T1_T2_jT3_P12ihipStream_tbPNSt15iterator_traitsISN_E10value_typeEPNST_ISO_E10value_typeEPSP_NS1_7vsmem_tEENKUlT_SN_SO_SP_E_clISG_PjSI_PS9_EESM_S12_SN_SO_SP_EUlS12_E0_NS1_11comp_targetILNS1_3genE8ELNS1_11target_archE1030ELNS1_3gpuE2ELNS1_3repE0EEENS1_38merge_mergepath_config_static_selectorELNS0_4arch9wavefront6targetE0EEEvSO_,@function
_ZN7rocprim17ROCPRIM_400000_NS6detail17trampoline_kernelINS0_14default_configENS1_38merge_sort_block_merge_config_selectorIjN6thrust23THRUST_200600_302600_NS5tupleIffNS6_9null_typeES8_S8_S8_S8_S8_S8_S8_EEEEZZNS1_27merge_sort_block_merge_implIS3_NS6_6detail15normal_iteratorINS6_10device_ptrIjEEEENSD_INSE_IS9_EEEEjNS1_19radix_merge_compareILb0ELb0EjNS0_19identity_decomposerEEEEE10hipError_tT0_T1_T2_jT3_P12ihipStream_tbPNSt15iterator_traitsISN_E10value_typeEPNST_ISO_E10value_typeEPSP_NS1_7vsmem_tEENKUlT_SN_SO_SP_E_clISG_PjSI_PS9_EESM_S12_SN_SO_SP_EUlS12_E0_NS1_11comp_targetILNS1_3genE8ELNS1_11target_archE1030ELNS1_3gpuE2ELNS1_3repE0EEENS1_38merge_mergepath_config_static_selectorELNS0_4arch9wavefront6targetE0EEEvSO_: ; @_ZN7rocprim17ROCPRIM_400000_NS6detail17trampoline_kernelINS0_14default_configENS1_38merge_sort_block_merge_config_selectorIjN6thrust23THRUST_200600_302600_NS5tupleIffNS6_9null_typeES8_S8_S8_S8_S8_S8_S8_EEEEZZNS1_27merge_sort_block_merge_implIS3_NS6_6detail15normal_iteratorINS6_10device_ptrIjEEEENSD_INSE_IS9_EEEEjNS1_19radix_merge_compareILb0ELb0EjNS0_19identity_decomposerEEEEE10hipError_tT0_T1_T2_jT3_P12ihipStream_tbPNSt15iterator_traitsISN_E10value_typeEPNST_ISO_E10value_typeEPSP_NS1_7vsmem_tEENKUlT_SN_SO_SP_E_clISG_PjSI_PS9_EESM_S12_SN_SO_SP_EUlS12_E0_NS1_11comp_targetILNS1_3genE8ELNS1_11target_archE1030ELNS1_3gpuE2ELNS1_3repE0EEENS1_38merge_mergepath_config_static_selectorELNS0_4arch9wavefront6targetE0EEEvSO_
; %bb.0:
	.section	.rodata,"a",@progbits
	.p2align	6, 0x0
	.amdhsa_kernel _ZN7rocprim17ROCPRIM_400000_NS6detail17trampoline_kernelINS0_14default_configENS1_38merge_sort_block_merge_config_selectorIjN6thrust23THRUST_200600_302600_NS5tupleIffNS6_9null_typeES8_S8_S8_S8_S8_S8_S8_EEEEZZNS1_27merge_sort_block_merge_implIS3_NS6_6detail15normal_iteratorINS6_10device_ptrIjEEEENSD_INSE_IS9_EEEEjNS1_19radix_merge_compareILb0ELb0EjNS0_19identity_decomposerEEEEE10hipError_tT0_T1_T2_jT3_P12ihipStream_tbPNSt15iterator_traitsISN_E10value_typeEPNST_ISO_E10value_typeEPSP_NS1_7vsmem_tEENKUlT_SN_SO_SP_E_clISG_PjSI_PS9_EESM_S12_SN_SO_SP_EUlS12_E0_NS1_11comp_targetILNS1_3genE8ELNS1_11target_archE1030ELNS1_3gpuE2ELNS1_3repE0EEENS1_38merge_mergepath_config_static_selectorELNS0_4arch9wavefront6targetE0EEEvSO_
		.amdhsa_group_segment_fixed_size 0
		.amdhsa_private_segment_fixed_size 0
		.amdhsa_kernarg_size 64
		.amdhsa_user_sgpr_count 2
		.amdhsa_user_sgpr_dispatch_ptr 0
		.amdhsa_user_sgpr_queue_ptr 0
		.amdhsa_user_sgpr_kernarg_segment_ptr 1
		.amdhsa_user_sgpr_dispatch_id 0
		.amdhsa_user_sgpr_private_segment_size 0
		.amdhsa_wavefront_size32 1
		.amdhsa_uses_dynamic_stack 0
		.amdhsa_enable_private_segment 0
		.amdhsa_system_sgpr_workgroup_id_x 1
		.amdhsa_system_sgpr_workgroup_id_y 0
		.amdhsa_system_sgpr_workgroup_id_z 0
		.amdhsa_system_sgpr_workgroup_info 0
		.amdhsa_system_vgpr_workitem_id 0
		.amdhsa_next_free_vgpr 1
		.amdhsa_next_free_sgpr 1
		.amdhsa_reserve_vcc 0
		.amdhsa_float_round_mode_32 0
		.amdhsa_float_round_mode_16_64 0
		.amdhsa_float_denorm_mode_32 3
		.amdhsa_float_denorm_mode_16_64 3
		.amdhsa_fp16_overflow 0
		.amdhsa_workgroup_processor_mode 1
		.amdhsa_memory_ordered 1
		.amdhsa_forward_progress 1
		.amdhsa_inst_pref_size 0
		.amdhsa_round_robin_scheduling 0
		.amdhsa_exception_fp_ieee_invalid_op 0
		.amdhsa_exception_fp_denorm_src 0
		.amdhsa_exception_fp_ieee_div_zero 0
		.amdhsa_exception_fp_ieee_overflow 0
		.amdhsa_exception_fp_ieee_underflow 0
		.amdhsa_exception_fp_ieee_inexact 0
		.amdhsa_exception_int_div_zero 0
	.end_amdhsa_kernel
	.section	.text._ZN7rocprim17ROCPRIM_400000_NS6detail17trampoline_kernelINS0_14default_configENS1_38merge_sort_block_merge_config_selectorIjN6thrust23THRUST_200600_302600_NS5tupleIffNS6_9null_typeES8_S8_S8_S8_S8_S8_S8_EEEEZZNS1_27merge_sort_block_merge_implIS3_NS6_6detail15normal_iteratorINS6_10device_ptrIjEEEENSD_INSE_IS9_EEEEjNS1_19radix_merge_compareILb0ELb0EjNS0_19identity_decomposerEEEEE10hipError_tT0_T1_T2_jT3_P12ihipStream_tbPNSt15iterator_traitsISN_E10value_typeEPNST_ISO_E10value_typeEPSP_NS1_7vsmem_tEENKUlT_SN_SO_SP_E_clISG_PjSI_PS9_EESM_S12_SN_SO_SP_EUlS12_E0_NS1_11comp_targetILNS1_3genE8ELNS1_11target_archE1030ELNS1_3gpuE2ELNS1_3repE0EEENS1_38merge_mergepath_config_static_selectorELNS0_4arch9wavefront6targetE0EEEvSO_,"axG",@progbits,_ZN7rocprim17ROCPRIM_400000_NS6detail17trampoline_kernelINS0_14default_configENS1_38merge_sort_block_merge_config_selectorIjN6thrust23THRUST_200600_302600_NS5tupleIffNS6_9null_typeES8_S8_S8_S8_S8_S8_S8_EEEEZZNS1_27merge_sort_block_merge_implIS3_NS6_6detail15normal_iteratorINS6_10device_ptrIjEEEENSD_INSE_IS9_EEEEjNS1_19radix_merge_compareILb0ELb0EjNS0_19identity_decomposerEEEEE10hipError_tT0_T1_T2_jT3_P12ihipStream_tbPNSt15iterator_traitsISN_E10value_typeEPNST_ISO_E10value_typeEPSP_NS1_7vsmem_tEENKUlT_SN_SO_SP_E_clISG_PjSI_PS9_EESM_S12_SN_SO_SP_EUlS12_E0_NS1_11comp_targetILNS1_3genE8ELNS1_11target_archE1030ELNS1_3gpuE2ELNS1_3repE0EEENS1_38merge_mergepath_config_static_selectorELNS0_4arch9wavefront6targetE0EEEvSO_,comdat
.Lfunc_end64:
	.size	_ZN7rocprim17ROCPRIM_400000_NS6detail17trampoline_kernelINS0_14default_configENS1_38merge_sort_block_merge_config_selectorIjN6thrust23THRUST_200600_302600_NS5tupleIffNS6_9null_typeES8_S8_S8_S8_S8_S8_S8_EEEEZZNS1_27merge_sort_block_merge_implIS3_NS6_6detail15normal_iteratorINS6_10device_ptrIjEEEENSD_INSE_IS9_EEEEjNS1_19radix_merge_compareILb0ELb0EjNS0_19identity_decomposerEEEEE10hipError_tT0_T1_T2_jT3_P12ihipStream_tbPNSt15iterator_traitsISN_E10value_typeEPNST_ISO_E10value_typeEPSP_NS1_7vsmem_tEENKUlT_SN_SO_SP_E_clISG_PjSI_PS9_EESM_S12_SN_SO_SP_EUlS12_E0_NS1_11comp_targetILNS1_3genE8ELNS1_11target_archE1030ELNS1_3gpuE2ELNS1_3repE0EEENS1_38merge_mergepath_config_static_selectorELNS0_4arch9wavefront6targetE0EEEvSO_, .Lfunc_end64-_ZN7rocprim17ROCPRIM_400000_NS6detail17trampoline_kernelINS0_14default_configENS1_38merge_sort_block_merge_config_selectorIjN6thrust23THRUST_200600_302600_NS5tupleIffNS6_9null_typeES8_S8_S8_S8_S8_S8_S8_EEEEZZNS1_27merge_sort_block_merge_implIS3_NS6_6detail15normal_iteratorINS6_10device_ptrIjEEEENSD_INSE_IS9_EEEEjNS1_19radix_merge_compareILb0ELb0EjNS0_19identity_decomposerEEEEE10hipError_tT0_T1_T2_jT3_P12ihipStream_tbPNSt15iterator_traitsISN_E10value_typeEPNST_ISO_E10value_typeEPSP_NS1_7vsmem_tEENKUlT_SN_SO_SP_E_clISG_PjSI_PS9_EESM_S12_SN_SO_SP_EUlS12_E0_NS1_11comp_targetILNS1_3genE8ELNS1_11target_archE1030ELNS1_3gpuE2ELNS1_3repE0EEENS1_38merge_mergepath_config_static_selectorELNS0_4arch9wavefront6targetE0EEEvSO_
                                        ; -- End function
	.set _ZN7rocprim17ROCPRIM_400000_NS6detail17trampoline_kernelINS0_14default_configENS1_38merge_sort_block_merge_config_selectorIjN6thrust23THRUST_200600_302600_NS5tupleIffNS6_9null_typeES8_S8_S8_S8_S8_S8_S8_EEEEZZNS1_27merge_sort_block_merge_implIS3_NS6_6detail15normal_iteratorINS6_10device_ptrIjEEEENSD_INSE_IS9_EEEEjNS1_19radix_merge_compareILb0ELb0EjNS0_19identity_decomposerEEEEE10hipError_tT0_T1_T2_jT3_P12ihipStream_tbPNSt15iterator_traitsISN_E10value_typeEPNST_ISO_E10value_typeEPSP_NS1_7vsmem_tEENKUlT_SN_SO_SP_E_clISG_PjSI_PS9_EESM_S12_SN_SO_SP_EUlS12_E0_NS1_11comp_targetILNS1_3genE8ELNS1_11target_archE1030ELNS1_3gpuE2ELNS1_3repE0EEENS1_38merge_mergepath_config_static_selectorELNS0_4arch9wavefront6targetE0EEEvSO_.num_vgpr, 0
	.set _ZN7rocprim17ROCPRIM_400000_NS6detail17trampoline_kernelINS0_14default_configENS1_38merge_sort_block_merge_config_selectorIjN6thrust23THRUST_200600_302600_NS5tupleIffNS6_9null_typeES8_S8_S8_S8_S8_S8_S8_EEEEZZNS1_27merge_sort_block_merge_implIS3_NS6_6detail15normal_iteratorINS6_10device_ptrIjEEEENSD_INSE_IS9_EEEEjNS1_19radix_merge_compareILb0ELb0EjNS0_19identity_decomposerEEEEE10hipError_tT0_T1_T2_jT3_P12ihipStream_tbPNSt15iterator_traitsISN_E10value_typeEPNST_ISO_E10value_typeEPSP_NS1_7vsmem_tEENKUlT_SN_SO_SP_E_clISG_PjSI_PS9_EESM_S12_SN_SO_SP_EUlS12_E0_NS1_11comp_targetILNS1_3genE8ELNS1_11target_archE1030ELNS1_3gpuE2ELNS1_3repE0EEENS1_38merge_mergepath_config_static_selectorELNS0_4arch9wavefront6targetE0EEEvSO_.num_agpr, 0
	.set _ZN7rocprim17ROCPRIM_400000_NS6detail17trampoline_kernelINS0_14default_configENS1_38merge_sort_block_merge_config_selectorIjN6thrust23THRUST_200600_302600_NS5tupleIffNS6_9null_typeES8_S8_S8_S8_S8_S8_S8_EEEEZZNS1_27merge_sort_block_merge_implIS3_NS6_6detail15normal_iteratorINS6_10device_ptrIjEEEENSD_INSE_IS9_EEEEjNS1_19radix_merge_compareILb0ELb0EjNS0_19identity_decomposerEEEEE10hipError_tT0_T1_T2_jT3_P12ihipStream_tbPNSt15iterator_traitsISN_E10value_typeEPNST_ISO_E10value_typeEPSP_NS1_7vsmem_tEENKUlT_SN_SO_SP_E_clISG_PjSI_PS9_EESM_S12_SN_SO_SP_EUlS12_E0_NS1_11comp_targetILNS1_3genE8ELNS1_11target_archE1030ELNS1_3gpuE2ELNS1_3repE0EEENS1_38merge_mergepath_config_static_selectorELNS0_4arch9wavefront6targetE0EEEvSO_.numbered_sgpr, 0
	.set _ZN7rocprim17ROCPRIM_400000_NS6detail17trampoline_kernelINS0_14default_configENS1_38merge_sort_block_merge_config_selectorIjN6thrust23THRUST_200600_302600_NS5tupleIffNS6_9null_typeES8_S8_S8_S8_S8_S8_S8_EEEEZZNS1_27merge_sort_block_merge_implIS3_NS6_6detail15normal_iteratorINS6_10device_ptrIjEEEENSD_INSE_IS9_EEEEjNS1_19radix_merge_compareILb0ELb0EjNS0_19identity_decomposerEEEEE10hipError_tT0_T1_T2_jT3_P12ihipStream_tbPNSt15iterator_traitsISN_E10value_typeEPNST_ISO_E10value_typeEPSP_NS1_7vsmem_tEENKUlT_SN_SO_SP_E_clISG_PjSI_PS9_EESM_S12_SN_SO_SP_EUlS12_E0_NS1_11comp_targetILNS1_3genE8ELNS1_11target_archE1030ELNS1_3gpuE2ELNS1_3repE0EEENS1_38merge_mergepath_config_static_selectorELNS0_4arch9wavefront6targetE0EEEvSO_.num_named_barrier, 0
	.set _ZN7rocprim17ROCPRIM_400000_NS6detail17trampoline_kernelINS0_14default_configENS1_38merge_sort_block_merge_config_selectorIjN6thrust23THRUST_200600_302600_NS5tupleIffNS6_9null_typeES8_S8_S8_S8_S8_S8_S8_EEEEZZNS1_27merge_sort_block_merge_implIS3_NS6_6detail15normal_iteratorINS6_10device_ptrIjEEEENSD_INSE_IS9_EEEEjNS1_19radix_merge_compareILb0ELb0EjNS0_19identity_decomposerEEEEE10hipError_tT0_T1_T2_jT3_P12ihipStream_tbPNSt15iterator_traitsISN_E10value_typeEPNST_ISO_E10value_typeEPSP_NS1_7vsmem_tEENKUlT_SN_SO_SP_E_clISG_PjSI_PS9_EESM_S12_SN_SO_SP_EUlS12_E0_NS1_11comp_targetILNS1_3genE8ELNS1_11target_archE1030ELNS1_3gpuE2ELNS1_3repE0EEENS1_38merge_mergepath_config_static_selectorELNS0_4arch9wavefront6targetE0EEEvSO_.private_seg_size, 0
	.set _ZN7rocprim17ROCPRIM_400000_NS6detail17trampoline_kernelINS0_14default_configENS1_38merge_sort_block_merge_config_selectorIjN6thrust23THRUST_200600_302600_NS5tupleIffNS6_9null_typeES8_S8_S8_S8_S8_S8_S8_EEEEZZNS1_27merge_sort_block_merge_implIS3_NS6_6detail15normal_iteratorINS6_10device_ptrIjEEEENSD_INSE_IS9_EEEEjNS1_19radix_merge_compareILb0ELb0EjNS0_19identity_decomposerEEEEE10hipError_tT0_T1_T2_jT3_P12ihipStream_tbPNSt15iterator_traitsISN_E10value_typeEPNST_ISO_E10value_typeEPSP_NS1_7vsmem_tEENKUlT_SN_SO_SP_E_clISG_PjSI_PS9_EESM_S12_SN_SO_SP_EUlS12_E0_NS1_11comp_targetILNS1_3genE8ELNS1_11target_archE1030ELNS1_3gpuE2ELNS1_3repE0EEENS1_38merge_mergepath_config_static_selectorELNS0_4arch9wavefront6targetE0EEEvSO_.uses_vcc, 0
	.set _ZN7rocprim17ROCPRIM_400000_NS6detail17trampoline_kernelINS0_14default_configENS1_38merge_sort_block_merge_config_selectorIjN6thrust23THRUST_200600_302600_NS5tupleIffNS6_9null_typeES8_S8_S8_S8_S8_S8_S8_EEEEZZNS1_27merge_sort_block_merge_implIS3_NS6_6detail15normal_iteratorINS6_10device_ptrIjEEEENSD_INSE_IS9_EEEEjNS1_19radix_merge_compareILb0ELb0EjNS0_19identity_decomposerEEEEE10hipError_tT0_T1_T2_jT3_P12ihipStream_tbPNSt15iterator_traitsISN_E10value_typeEPNST_ISO_E10value_typeEPSP_NS1_7vsmem_tEENKUlT_SN_SO_SP_E_clISG_PjSI_PS9_EESM_S12_SN_SO_SP_EUlS12_E0_NS1_11comp_targetILNS1_3genE8ELNS1_11target_archE1030ELNS1_3gpuE2ELNS1_3repE0EEENS1_38merge_mergepath_config_static_selectorELNS0_4arch9wavefront6targetE0EEEvSO_.uses_flat_scratch, 0
	.set _ZN7rocprim17ROCPRIM_400000_NS6detail17trampoline_kernelINS0_14default_configENS1_38merge_sort_block_merge_config_selectorIjN6thrust23THRUST_200600_302600_NS5tupleIffNS6_9null_typeES8_S8_S8_S8_S8_S8_S8_EEEEZZNS1_27merge_sort_block_merge_implIS3_NS6_6detail15normal_iteratorINS6_10device_ptrIjEEEENSD_INSE_IS9_EEEEjNS1_19radix_merge_compareILb0ELb0EjNS0_19identity_decomposerEEEEE10hipError_tT0_T1_T2_jT3_P12ihipStream_tbPNSt15iterator_traitsISN_E10value_typeEPNST_ISO_E10value_typeEPSP_NS1_7vsmem_tEENKUlT_SN_SO_SP_E_clISG_PjSI_PS9_EESM_S12_SN_SO_SP_EUlS12_E0_NS1_11comp_targetILNS1_3genE8ELNS1_11target_archE1030ELNS1_3gpuE2ELNS1_3repE0EEENS1_38merge_mergepath_config_static_selectorELNS0_4arch9wavefront6targetE0EEEvSO_.has_dyn_sized_stack, 0
	.set _ZN7rocprim17ROCPRIM_400000_NS6detail17trampoline_kernelINS0_14default_configENS1_38merge_sort_block_merge_config_selectorIjN6thrust23THRUST_200600_302600_NS5tupleIffNS6_9null_typeES8_S8_S8_S8_S8_S8_S8_EEEEZZNS1_27merge_sort_block_merge_implIS3_NS6_6detail15normal_iteratorINS6_10device_ptrIjEEEENSD_INSE_IS9_EEEEjNS1_19radix_merge_compareILb0ELb0EjNS0_19identity_decomposerEEEEE10hipError_tT0_T1_T2_jT3_P12ihipStream_tbPNSt15iterator_traitsISN_E10value_typeEPNST_ISO_E10value_typeEPSP_NS1_7vsmem_tEENKUlT_SN_SO_SP_E_clISG_PjSI_PS9_EESM_S12_SN_SO_SP_EUlS12_E0_NS1_11comp_targetILNS1_3genE8ELNS1_11target_archE1030ELNS1_3gpuE2ELNS1_3repE0EEENS1_38merge_mergepath_config_static_selectorELNS0_4arch9wavefront6targetE0EEEvSO_.has_recursion, 0
	.set _ZN7rocprim17ROCPRIM_400000_NS6detail17trampoline_kernelINS0_14default_configENS1_38merge_sort_block_merge_config_selectorIjN6thrust23THRUST_200600_302600_NS5tupleIffNS6_9null_typeES8_S8_S8_S8_S8_S8_S8_EEEEZZNS1_27merge_sort_block_merge_implIS3_NS6_6detail15normal_iteratorINS6_10device_ptrIjEEEENSD_INSE_IS9_EEEEjNS1_19radix_merge_compareILb0ELb0EjNS0_19identity_decomposerEEEEE10hipError_tT0_T1_T2_jT3_P12ihipStream_tbPNSt15iterator_traitsISN_E10value_typeEPNST_ISO_E10value_typeEPSP_NS1_7vsmem_tEENKUlT_SN_SO_SP_E_clISG_PjSI_PS9_EESM_S12_SN_SO_SP_EUlS12_E0_NS1_11comp_targetILNS1_3genE8ELNS1_11target_archE1030ELNS1_3gpuE2ELNS1_3repE0EEENS1_38merge_mergepath_config_static_selectorELNS0_4arch9wavefront6targetE0EEEvSO_.has_indirect_call, 0
	.section	.AMDGPU.csdata,"",@progbits
; Kernel info:
; codeLenInByte = 0
; TotalNumSgprs: 0
; NumVgprs: 0
; ScratchSize: 0
; MemoryBound: 0
; FloatMode: 240
; IeeeMode: 1
; LDSByteSize: 0 bytes/workgroup (compile time only)
; SGPRBlocks: 0
; VGPRBlocks: 0
; NumSGPRsForWavesPerEU: 1
; NumVGPRsForWavesPerEU: 1
; Occupancy: 16
; WaveLimiterHint : 0
; COMPUTE_PGM_RSRC2:SCRATCH_EN: 0
; COMPUTE_PGM_RSRC2:USER_SGPR: 2
; COMPUTE_PGM_RSRC2:TRAP_HANDLER: 0
; COMPUTE_PGM_RSRC2:TGID_X_EN: 1
; COMPUTE_PGM_RSRC2:TGID_Y_EN: 0
; COMPUTE_PGM_RSRC2:TGID_Z_EN: 0
; COMPUTE_PGM_RSRC2:TIDIG_COMP_CNT: 0
	.section	.text._ZN7rocprim17ROCPRIM_400000_NS6detail17trampoline_kernelINS0_14default_configENS1_38merge_sort_block_merge_config_selectorIjN6thrust23THRUST_200600_302600_NS5tupleIffNS6_9null_typeES8_S8_S8_S8_S8_S8_S8_EEEEZZNS1_27merge_sort_block_merge_implIS3_NS6_6detail15normal_iteratorINS6_10device_ptrIjEEEENSD_INSE_IS9_EEEEjNS1_19radix_merge_compareILb0ELb0EjNS0_19identity_decomposerEEEEE10hipError_tT0_T1_T2_jT3_P12ihipStream_tbPNSt15iterator_traitsISN_E10value_typeEPNST_ISO_E10value_typeEPSP_NS1_7vsmem_tEENKUlT_SN_SO_SP_E_clISG_PjSI_PS9_EESM_S12_SN_SO_SP_EUlS12_E1_NS1_11comp_targetILNS1_3genE0ELNS1_11target_archE4294967295ELNS1_3gpuE0ELNS1_3repE0EEENS1_36merge_oddeven_config_static_selectorELNS0_4arch9wavefront6targetE0EEEvSO_,"axG",@progbits,_ZN7rocprim17ROCPRIM_400000_NS6detail17trampoline_kernelINS0_14default_configENS1_38merge_sort_block_merge_config_selectorIjN6thrust23THRUST_200600_302600_NS5tupleIffNS6_9null_typeES8_S8_S8_S8_S8_S8_S8_EEEEZZNS1_27merge_sort_block_merge_implIS3_NS6_6detail15normal_iteratorINS6_10device_ptrIjEEEENSD_INSE_IS9_EEEEjNS1_19radix_merge_compareILb0ELb0EjNS0_19identity_decomposerEEEEE10hipError_tT0_T1_T2_jT3_P12ihipStream_tbPNSt15iterator_traitsISN_E10value_typeEPNST_ISO_E10value_typeEPSP_NS1_7vsmem_tEENKUlT_SN_SO_SP_E_clISG_PjSI_PS9_EESM_S12_SN_SO_SP_EUlS12_E1_NS1_11comp_targetILNS1_3genE0ELNS1_11target_archE4294967295ELNS1_3gpuE0ELNS1_3repE0EEENS1_36merge_oddeven_config_static_selectorELNS0_4arch9wavefront6targetE0EEEvSO_,comdat
	.protected	_ZN7rocprim17ROCPRIM_400000_NS6detail17trampoline_kernelINS0_14default_configENS1_38merge_sort_block_merge_config_selectorIjN6thrust23THRUST_200600_302600_NS5tupleIffNS6_9null_typeES8_S8_S8_S8_S8_S8_S8_EEEEZZNS1_27merge_sort_block_merge_implIS3_NS6_6detail15normal_iteratorINS6_10device_ptrIjEEEENSD_INSE_IS9_EEEEjNS1_19radix_merge_compareILb0ELb0EjNS0_19identity_decomposerEEEEE10hipError_tT0_T1_T2_jT3_P12ihipStream_tbPNSt15iterator_traitsISN_E10value_typeEPNST_ISO_E10value_typeEPSP_NS1_7vsmem_tEENKUlT_SN_SO_SP_E_clISG_PjSI_PS9_EESM_S12_SN_SO_SP_EUlS12_E1_NS1_11comp_targetILNS1_3genE0ELNS1_11target_archE4294967295ELNS1_3gpuE0ELNS1_3repE0EEENS1_36merge_oddeven_config_static_selectorELNS0_4arch9wavefront6targetE0EEEvSO_ ; -- Begin function _ZN7rocprim17ROCPRIM_400000_NS6detail17trampoline_kernelINS0_14default_configENS1_38merge_sort_block_merge_config_selectorIjN6thrust23THRUST_200600_302600_NS5tupleIffNS6_9null_typeES8_S8_S8_S8_S8_S8_S8_EEEEZZNS1_27merge_sort_block_merge_implIS3_NS6_6detail15normal_iteratorINS6_10device_ptrIjEEEENSD_INSE_IS9_EEEEjNS1_19radix_merge_compareILb0ELb0EjNS0_19identity_decomposerEEEEE10hipError_tT0_T1_T2_jT3_P12ihipStream_tbPNSt15iterator_traitsISN_E10value_typeEPNST_ISO_E10value_typeEPSP_NS1_7vsmem_tEENKUlT_SN_SO_SP_E_clISG_PjSI_PS9_EESM_S12_SN_SO_SP_EUlS12_E1_NS1_11comp_targetILNS1_3genE0ELNS1_11target_archE4294967295ELNS1_3gpuE0ELNS1_3repE0EEENS1_36merge_oddeven_config_static_selectorELNS0_4arch9wavefront6targetE0EEEvSO_
	.globl	_ZN7rocprim17ROCPRIM_400000_NS6detail17trampoline_kernelINS0_14default_configENS1_38merge_sort_block_merge_config_selectorIjN6thrust23THRUST_200600_302600_NS5tupleIffNS6_9null_typeES8_S8_S8_S8_S8_S8_S8_EEEEZZNS1_27merge_sort_block_merge_implIS3_NS6_6detail15normal_iteratorINS6_10device_ptrIjEEEENSD_INSE_IS9_EEEEjNS1_19radix_merge_compareILb0ELb0EjNS0_19identity_decomposerEEEEE10hipError_tT0_T1_T2_jT3_P12ihipStream_tbPNSt15iterator_traitsISN_E10value_typeEPNST_ISO_E10value_typeEPSP_NS1_7vsmem_tEENKUlT_SN_SO_SP_E_clISG_PjSI_PS9_EESM_S12_SN_SO_SP_EUlS12_E1_NS1_11comp_targetILNS1_3genE0ELNS1_11target_archE4294967295ELNS1_3gpuE0ELNS1_3repE0EEENS1_36merge_oddeven_config_static_selectorELNS0_4arch9wavefront6targetE0EEEvSO_
	.p2align	8
	.type	_ZN7rocprim17ROCPRIM_400000_NS6detail17trampoline_kernelINS0_14default_configENS1_38merge_sort_block_merge_config_selectorIjN6thrust23THRUST_200600_302600_NS5tupleIffNS6_9null_typeES8_S8_S8_S8_S8_S8_S8_EEEEZZNS1_27merge_sort_block_merge_implIS3_NS6_6detail15normal_iteratorINS6_10device_ptrIjEEEENSD_INSE_IS9_EEEEjNS1_19radix_merge_compareILb0ELb0EjNS0_19identity_decomposerEEEEE10hipError_tT0_T1_T2_jT3_P12ihipStream_tbPNSt15iterator_traitsISN_E10value_typeEPNST_ISO_E10value_typeEPSP_NS1_7vsmem_tEENKUlT_SN_SO_SP_E_clISG_PjSI_PS9_EESM_S12_SN_SO_SP_EUlS12_E1_NS1_11comp_targetILNS1_3genE0ELNS1_11target_archE4294967295ELNS1_3gpuE0ELNS1_3repE0EEENS1_36merge_oddeven_config_static_selectorELNS0_4arch9wavefront6targetE0EEEvSO_,@function
_ZN7rocprim17ROCPRIM_400000_NS6detail17trampoline_kernelINS0_14default_configENS1_38merge_sort_block_merge_config_selectorIjN6thrust23THRUST_200600_302600_NS5tupleIffNS6_9null_typeES8_S8_S8_S8_S8_S8_S8_EEEEZZNS1_27merge_sort_block_merge_implIS3_NS6_6detail15normal_iteratorINS6_10device_ptrIjEEEENSD_INSE_IS9_EEEEjNS1_19radix_merge_compareILb0ELb0EjNS0_19identity_decomposerEEEEE10hipError_tT0_T1_T2_jT3_P12ihipStream_tbPNSt15iterator_traitsISN_E10value_typeEPNST_ISO_E10value_typeEPSP_NS1_7vsmem_tEENKUlT_SN_SO_SP_E_clISG_PjSI_PS9_EESM_S12_SN_SO_SP_EUlS12_E1_NS1_11comp_targetILNS1_3genE0ELNS1_11target_archE4294967295ELNS1_3gpuE0ELNS1_3repE0EEENS1_36merge_oddeven_config_static_selectorELNS0_4arch9wavefront6targetE0EEEvSO_: ; @_ZN7rocprim17ROCPRIM_400000_NS6detail17trampoline_kernelINS0_14default_configENS1_38merge_sort_block_merge_config_selectorIjN6thrust23THRUST_200600_302600_NS5tupleIffNS6_9null_typeES8_S8_S8_S8_S8_S8_S8_EEEEZZNS1_27merge_sort_block_merge_implIS3_NS6_6detail15normal_iteratorINS6_10device_ptrIjEEEENSD_INSE_IS9_EEEEjNS1_19radix_merge_compareILb0ELb0EjNS0_19identity_decomposerEEEEE10hipError_tT0_T1_T2_jT3_P12ihipStream_tbPNSt15iterator_traitsISN_E10value_typeEPNST_ISO_E10value_typeEPSP_NS1_7vsmem_tEENKUlT_SN_SO_SP_E_clISG_PjSI_PS9_EESM_S12_SN_SO_SP_EUlS12_E1_NS1_11comp_targetILNS1_3genE0ELNS1_11target_archE4294967295ELNS1_3gpuE0ELNS1_3repE0EEENS1_36merge_oddeven_config_static_selectorELNS0_4arch9wavefront6targetE0EEEvSO_
; %bb.0:
	.section	.rodata,"a",@progbits
	.p2align	6, 0x0
	.amdhsa_kernel _ZN7rocprim17ROCPRIM_400000_NS6detail17trampoline_kernelINS0_14default_configENS1_38merge_sort_block_merge_config_selectorIjN6thrust23THRUST_200600_302600_NS5tupleIffNS6_9null_typeES8_S8_S8_S8_S8_S8_S8_EEEEZZNS1_27merge_sort_block_merge_implIS3_NS6_6detail15normal_iteratorINS6_10device_ptrIjEEEENSD_INSE_IS9_EEEEjNS1_19radix_merge_compareILb0ELb0EjNS0_19identity_decomposerEEEEE10hipError_tT0_T1_T2_jT3_P12ihipStream_tbPNSt15iterator_traitsISN_E10value_typeEPNST_ISO_E10value_typeEPSP_NS1_7vsmem_tEENKUlT_SN_SO_SP_E_clISG_PjSI_PS9_EESM_S12_SN_SO_SP_EUlS12_E1_NS1_11comp_targetILNS1_3genE0ELNS1_11target_archE4294967295ELNS1_3gpuE0ELNS1_3repE0EEENS1_36merge_oddeven_config_static_selectorELNS0_4arch9wavefront6targetE0EEEvSO_
		.amdhsa_group_segment_fixed_size 0
		.amdhsa_private_segment_fixed_size 0
		.amdhsa_kernarg_size 48
		.amdhsa_user_sgpr_count 2
		.amdhsa_user_sgpr_dispatch_ptr 0
		.amdhsa_user_sgpr_queue_ptr 0
		.amdhsa_user_sgpr_kernarg_segment_ptr 1
		.amdhsa_user_sgpr_dispatch_id 0
		.amdhsa_user_sgpr_private_segment_size 0
		.amdhsa_wavefront_size32 1
		.amdhsa_uses_dynamic_stack 0
		.amdhsa_enable_private_segment 0
		.amdhsa_system_sgpr_workgroup_id_x 1
		.amdhsa_system_sgpr_workgroup_id_y 0
		.amdhsa_system_sgpr_workgroup_id_z 0
		.amdhsa_system_sgpr_workgroup_info 0
		.amdhsa_system_vgpr_workitem_id 0
		.amdhsa_next_free_vgpr 1
		.amdhsa_next_free_sgpr 1
		.amdhsa_reserve_vcc 0
		.amdhsa_float_round_mode_32 0
		.amdhsa_float_round_mode_16_64 0
		.amdhsa_float_denorm_mode_32 3
		.amdhsa_float_denorm_mode_16_64 3
		.amdhsa_fp16_overflow 0
		.amdhsa_workgroup_processor_mode 1
		.amdhsa_memory_ordered 1
		.amdhsa_forward_progress 1
		.amdhsa_inst_pref_size 0
		.amdhsa_round_robin_scheduling 0
		.amdhsa_exception_fp_ieee_invalid_op 0
		.amdhsa_exception_fp_denorm_src 0
		.amdhsa_exception_fp_ieee_div_zero 0
		.amdhsa_exception_fp_ieee_overflow 0
		.amdhsa_exception_fp_ieee_underflow 0
		.amdhsa_exception_fp_ieee_inexact 0
		.amdhsa_exception_int_div_zero 0
	.end_amdhsa_kernel
	.section	.text._ZN7rocprim17ROCPRIM_400000_NS6detail17trampoline_kernelINS0_14default_configENS1_38merge_sort_block_merge_config_selectorIjN6thrust23THRUST_200600_302600_NS5tupleIffNS6_9null_typeES8_S8_S8_S8_S8_S8_S8_EEEEZZNS1_27merge_sort_block_merge_implIS3_NS6_6detail15normal_iteratorINS6_10device_ptrIjEEEENSD_INSE_IS9_EEEEjNS1_19radix_merge_compareILb0ELb0EjNS0_19identity_decomposerEEEEE10hipError_tT0_T1_T2_jT3_P12ihipStream_tbPNSt15iterator_traitsISN_E10value_typeEPNST_ISO_E10value_typeEPSP_NS1_7vsmem_tEENKUlT_SN_SO_SP_E_clISG_PjSI_PS9_EESM_S12_SN_SO_SP_EUlS12_E1_NS1_11comp_targetILNS1_3genE0ELNS1_11target_archE4294967295ELNS1_3gpuE0ELNS1_3repE0EEENS1_36merge_oddeven_config_static_selectorELNS0_4arch9wavefront6targetE0EEEvSO_,"axG",@progbits,_ZN7rocprim17ROCPRIM_400000_NS6detail17trampoline_kernelINS0_14default_configENS1_38merge_sort_block_merge_config_selectorIjN6thrust23THRUST_200600_302600_NS5tupleIffNS6_9null_typeES8_S8_S8_S8_S8_S8_S8_EEEEZZNS1_27merge_sort_block_merge_implIS3_NS6_6detail15normal_iteratorINS6_10device_ptrIjEEEENSD_INSE_IS9_EEEEjNS1_19radix_merge_compareILb0ELb0EjNS0_19identity_decomposerEEEEE10hipError_tT0_T1_T2_jT3_P12ihipStream_tbPNSt15iterator_traitsISN_E10value_typeEPNST_ISO_E10value_typeEPSP_NS1_7vsmem_tEENKUlT_SN_SO_SP_E_clISG_PjSI_PS9_EESM_S12_SN_SO_SP_EUlS12_E1_NS1_11comp_targetILNS1_3genE0ELNS1_11target_archE4294967295ELNS1_3gpuE0ELNS1_3repE0EEENS1_36merge_oddeven_config_static_selectorELNS0_4arch9wavefront6targetE0EEEvSO_,comdat
.Lfunc_end65:
	.size	_ZN7rocprim17ROCPRIM_400000_NS6detail17trampoline_kernelINS0_14default_configENS1_38merge_sort_block_merge_config_selectorIjN6thrust23THRUST_200600_302600_NS5tupleIffNS6_9null_typeES8_S8_S8_S8_S8_S8_S8_EEEEZZNS1_27merge_sort_block_merge_implIS3_NS6_6detail15normal_iteratorINS6_10device_ptrIjEEEENSD_INSE_IS9_EEEEjNS1_19radix_merge_compareILb0ELb0EjNS0_19identity_decomposerEEEEE10hipError_tT0_T1_T2_jT3_P12ihipStream_tbPNSt15iterator_traitsISN_E10value_typeEPNST_ISO_E10value_typeEPSP_NS1_7vsmem_tEENKUlT_SN_SO_SP_E_clISG_PjSI_PS9_EESM_S12_SN_SO_SP_EUlS12_E1_NS1_11comp_targetILNS1_3genE0ELNS1_11target_archE4294967295ELNS1_3gpuE0ELNS1_3repE0EEENS1_36merge_oddeven_config_static_selectorELNS0_4arch9wavefront6targetE0EEEvSO_, .Lfunc_end65-_ZN7rocprim17ROCPRIM_400000_NS6detail17trampoline_kernelINS0_14default_configENS1_38merge_sort_block_merge_config_selectorIjN6thrust23THRUST_200600_302600_NS5tupleIffNS6_9null_typeES8_S8_S8_S8_S8_S8_S8_EEEEZZNS1_27merge_sort_block_merge_implIS3_NS6_6detail15normal_iteratorINS6_10device_ptrIjEEEENSD_INSE_IS9_EEEEjNS1_19radix_merge_compareILb0ELb0EjNS0_19identity_decomposerEEEEE10hipError_tT0_T1_T2_jT3_P12ihipStream_tbPNSt15iterator_traitsISN_E10value_typeEPNST_ISO_E10value_typeEPSP_NS1_7vsmem_tEENKUlT_SN_SO_SP_E_clISG_PjSI_PS9_EESM_S12_SN_SO_SP_EUlS12_E1_NS1_11comp_targetILNS1_3genE0ELNS1_11target_archE4294967295ELNS1_3gpuE0ELNS1_3repE0EEENS1_36merge_oddeven_config_static_selectorELNS0_4arch9wavefront6targetE0EEEvSO_
                                        ; -- End function
	.set _ZN7rocprim17ROCPRIM_400000_NS6detail17trampoline_kernelINS0_14default_configENS1_38merge_sort_block_merge_config_selectorIjN6thrust23THRUST_200600_302600_NS5tupleIffNS6_9null_typeES8_S8_S8_S8_S8_S8_S8_EEEEZZNS1_27merge_sort_block_merge_implIS3_NS6_6detail15normal_iteratorINS6_10device_ptrIjEEEENSD_INSE_IS9_EEEEjNS1_19radix_merge_compareILb0ELb0EjNS0_19identity_decomposerEEEEE10hipError_tT0_T1_T2_jT3_P12ihipStream_tbPNSt15iterator_traitsISN_E10value_typeEPNST_ISO_E10value_typeEPSP_NS1_7vsmem_tEENKUlT_SN_SO_SP_E_clISG_PjSI_PS9_EESM_S12_SN_SO_SP_EUlS12_E1_NS1_11comp_targetILNS1_3genE0ELNS1_11target_archE4294967295ELNS1_3gpuE0ELNS1_3repE0EEENS1_36merge_oddeven_config_static_selectorELNS0_4arch9wavefront6targetE0EEEvSO_.num_vgpr, 0
	.set _ZN7rocprim17ROCPRIM_400000_NS6detail17trampoline_kernelINS0_14default_configENS1_38merge_sort_block_merge_config_selectorIjN6thrust23THRUST_200600_302600_NS5tupleIffNS6_9null_typeES8_S8_S8_S8_S8_S8_S8_EEEEZZNS1_27merge_sort_block_merge_implIS3_NS6_6detail15normal_iteratorINS6_10device_ptrIjEEEENSD_INSE_IS9_EEEEjNS1_19radix_merge_compareILb0ELb0EjNS0_19identity_decomposerEEEEE10hipError_tT0_T1_T2_jT3_P12ihipStream_tbPNSt15iterator_traitsISN_E10value_typeEPNST_ISO_E10value_typeEPSP_NS1_7vsmem_tEENKUlT_SN_SO_SP_E_clISG_PjSI_PS9_EESM_S12_SN_SO_SP_EUlS12_E1_NS1_11comp_targetILNS1_3genE0ELNS1_11target_archE4294967295ELNS1_3gpuE0ELNS1_3repE0EEENS1_36merge_oddeven_config_static_selectorELNS0_4arch9wavefront6targetE0EEEvSO_.num_agpr, 0
	.set _ZN7rocprim17ROCPRIM_400000_NS6detail17trampoline_kernelINS0_14default_configENS1_38merge_sort_block_merge_config_selectorIjN6thrust23THRUST_200600_302600_NS5tupleIffNS6_9null_typeES8_S8_S8_S8_S8_S8_S8_EEEEZZNS1_27merge_sort_block_merge_implIS3_NS6_6detail15normal_iteratorINS6_10device_ptrIjEEEENSD_INSE_IS9_EEEEjNS1_19radix_merge_compareILb0ELb0EjNS0_19identity_decomposerEEEEE10hipError_tT0_T1_T2_jT3_P12ihipStream_tbPNSt15iterator_traitsISN_E10value_typeEPNST_ISO_E10value_typeEPSP_NS1_7vsmem_tEENKUlT_SN_SO_SP_E_clISG_PjSI_PS9_EESM_S12_SN_SO_SP_EUlS12_E1_NS1_11comp_targetILNS1_3genE0ELNS1_11target_archE4294967295ELNS1_3gpuE0ELNS1_3repE0EEENS1_36merge_oddeven_config_static_selectorELNS0_4arch9wavefront6targetE0EEEvSO_.numbered_sgpr, 0
	.set _ZN7rocprim17ROCPRIM_400000_NS6detail17trampoline_kernelINS0_14default_configENS1_38merge_sort_block_merge_config_selectorIjN6thrust23THRUST_200600_302600_NS5tupleIffNS6_9null_typeES8_S8_S8_S8_S8_S8_S8_EEEEZZNS1_27merge_sort_block_merge_implIS3_NS6_6detail15normal_iteratorINS6_10device_ptrIjEEEENSD_INSE_IS9_EEEEjNS1_19radix_merge_compareILb0ELb0EjNS0_19identity_decomposerEEEEE10hipError_tT0_T1_T2_jT3_P12ihipStream_tbPNSt15iterator_traitsISN_E10value_typeEPNST_ISO_E10value_typeEPSP_NS1_7vsmem_tEENKUlT_SN_SO_SP_E_clISG_PjSI_PS9_EESM_S12_SN_SO_SP_EUlS12_E1_NS1_11comp_targetILNS1_3genE0ELNS1_11target_archE4294967295ELNS1_3gpuE0ELNS1_3repE0EEENS1_36merge_oddeven_config_static_selectorELNS0_4arch9wavefront6targetE0EEEvSO_.num_named_barrier, 0
	.set _ZN7rocprim17ROCPRIM_400000_NS6detail17trampoline_kernelINS0_14default_configENS1_38merge_sort_block_merge_config_selectorIjN6thrust23THRUST_200600_302600_NS5tupleIffNS6_9null_typeES8_S8_S8_S8_S8_S8_S8_EEEEZZNS1_27merge_sort_block_merge_implIS3_NS6_6detail15normal_iteratorINS6_10device_ptrIjEEEENSD_INSE_IS9_EEEEjNS1_19radix_merge_compareILb0ELb0EjNS0_19identity_decomposerEEEEE10hipError_tT0_T1_T2_jT3_P12ihipStream_tbPNSt15iterator_traitsISN_E10value_typeEPNST_ISO_E10value_typeEPSP_NS1_7vsmem_tEENKUlT_SN_SO_SP_E_clISG_PjSI_PS9_EESM_S12_SN_SO_SP_EUlS12_E1_NS1_11comp_targetILNS1_3genE0ELNS1_11target_archE4294967295ELNS1_3gpuE0ELNS1_3repE0EEENS1_36merge_oddeven_config_static_selectorELNS0_4arch9wavefront6targetE0EEEvSO_.private_seg_size, 0
	.set _ZN7rocprim17ROCPRIM_400000_NS6detail17trampoline_kernelINS0_14default_configENS1_38merge_sort_block_merge_config_selectorIjN6thrust23THRUST_200600_302600_NS5tupleIffNS6_9null_typeES8_S8_S8_S8_S8_S8_S8_EEEEZZNS1_27merge_sort_block_merge_implIS3_NS6_6detail15normal_iteratorINS6_10device_ptrIjEEEENSD_INSE_IS9_EEEEjNS1_19radix_merge_compareILb0ELb0EjNS0_19identity_decomposerEEEEE10hipError_tT0_T1_T2_jT3_P12ihipStream_tbPNSt15iterator_traitsISN_E10value_typeEPNST_ISO_E10value_typeEPSP_NS1_7vsmem_tEENKUlT_SN_SO_SP_E_clISG_PjSI_PS9_EESM_S12_SN_SO_SP_EUlS12_E1_NS1_11comp_targetILNS1_3genE0ELNS1_11target_archE4294967295ELNS1_3gpuE0ELNS1_3repE0EEENS1_36merge_oddeven_config_static_selectorELNS0_4arch9wavefront6targetE0EEEvSO_.uses_vcc, 0
	.set _ZN7rocprim17ROCPRIM_400000_NS6detail17trampoline_kernelINS0_14default_configENS1_38merge_sort_block_merge_config_selectorIjN6thrust23THRUST_200600_302600_NS5tupleIffNS6_9null_typeES8_S8_S8_S8_S8_S8_S8_EEEEZZNS1_27merge_sort_block_merge_implIS3_NS6_6detail15normal_iteratorINS6_10device_ptrIjEEEENSD_INSE_IS9_EEEEjNS1_19radix_merge_compareILb0ELb0EjNS0_19identity_decomposerEEEEE10hipError_tT0_T1_T2_jT3_P12ihipStream_tbPNSt15iterator_traitsISN_E10value_typeEPNST_ISO_E10value_typeEPSP_NS1_7vsmem_tEENKUlT_SN_SO_SP_E_clISG_PjSI_PS9_EESM_S12_SN_SO_SP_EUlS12_E1_NS1_11comp_targetILNS1_3genE0ELNS1_11target_archE4294967295ELNS1_3gpuE0ELNS1_3repE0EEENS1_36merge_oddeven_config_static_selectorELNS0_4arch9wavefront6targetE0EEEvSO_.uses_flat_scratch, 0
	.set _ZN7rocprim17ROCPRIM_400000_NS6detail17trampoline_kernelINS0_14default_configENS1_38merge_sort_block_merge_config_selectorIjN6thrust23THRUST_200600_302600_NS5tupleIffNS6_9null_typeES8_S8_S8_S8_S8_S8_S8_EEEEZZNS1_27merge_sort_block_merge_implIS3_NS6_6detail15normal_iteratorINS6_10device_ptrIjEEEENSD_INSE_IS9_EEEEjNS1_19radix_merge_compareILb0ELb0EjNS0_19identity_decomposerEEEEE10hipError_tT0_T1_T2_jT3_P12ihipStream_tbPNSt15iterator_traitsISN_E10value_typeEPNST_ISO_E10value_typeEPSP_NS1_7vsmem_tEENKUlT_SN_SO_SP_E_clISG_PjSI_PS9_EESM_S12_SN_SO_SP_EUlS12_E1_NS1_11comp_targetILNS1_3genE0ELNS1_11target_archE4294967295ELNS1_3gpuE0ELNS1_3repE0EEENS1_36merge_oddeven_config_static_selectorELNS0_4arch9wavefront6targetE0EEEvSO_.has_dyn_sized_stack, 0
	.set _ZN7rocprim17ROCPRIM_400000_NS6detail17trampoline_kernelINS0_14default_configENS1_38merge_sort_block_merge_config_selectorIjN6thrust23THRUST_200600_302600_NS5tupleIffNS6_9null_typeES8_S8_S8_S8_S8_S8_S8_EEEEZZNS1_27merge_sort_block_merge_implIS3_NS6_6detail15normal_iteratorINS6_10device_ptrIjEEEENSD_INSE_IS9_EEEEjNS1_19radix_merge_compareILb0ELb0EjNS0_19identity_decomposerEEEEE10hipError_tT0_T1_T2_jT3_P12ihipStream_tbPNSt15iterator_traitsISN_E10value_typeEPNST_ISO_E10value_typeEPSP_NS1_7vsmem_tEENKUlT_SN_SO_SP_E_clISG_PjSI_PS9_EESM_S12_SN_SO_SP_EUlS12_E1_NS1_11comp_targetILNS1_3genE0ELNS1_11target_archE4294967295ELNS1_3gpuE0ELNS1_3repE0EEENS1_36merge_oddeven_config_static_selectorELNS0_4arch9wavefront6targetE0EEEvSO_.has_recursion, 0
	.set _ZN7rocprim17ROCPRIM_400000_NS6detail17trampoline_kernelINS0_14default_configENS1_38merge_sort_block_merge_config_selectorIjN6thrust23THRUST_200600_302600_NS5tupleIffNS6_9null_typeES8_S8_S8_S8_S8_S8_S8_EEEEZZNS1_27merge_sort_block_merge_implIS3_NS6_6detail15normal_iteratorINS6_10device_ptrIjEEEENSD_INSE_IS9_EEEEjNS1_19radix_merge_compareILb0ELb0EjNS0_19identity_decomposerEEEEE10hipError_tT0_T1_T2_jT3_P12ihipStream_tbPNSt15iterator_traitsISN_E10value_typeEPNST_ISO_E10value_typeEPSP_NS1_7vsmem_tEENKUlT_SN_SO_SP_E_clISG_PjSI_PS9_EESM_S12_SN_SO_SP_EUlS12_E1_NS1_11comp_targetILNS1_3genE0ELNS1_11target_archE4294967295ELNS1_3gpuE0ELNS1_3repE0EEENS1_36merge_oddeven_config_static_selectorELNS0_4arch9wavefront6targetE0EEEvSO_.has_indirect_call, 0
	.section	.AMDGPU.csdata,"",@progbits
; Kernel info:
; codeLenInByte = 0
; TotalNumSgprs: 0
; NumVgprs: 0
; ScratchSize: 0
; MemoryBound: 0
; FloatMode: 240
; IeeeMode: 1
; LDSByteSize: 0 bytes/workgroup (compile time only)
; SGPRBlocks: 0
; VGPRBlocks: 0
; NumSGPRsForWavesPerEU: 1
; NumVGPRsForWavesPerEU: 1
; Occupancy: 16
; WaveLimiterHint : 0
; COMPUTE_PGM_RSRC2:SCRATCH_EN: 0
; COMPUTE_PGM_RSRC2:USER_SGPR: 2
; COMPUTE_PGM_RSRC2:TRAP_HANDLER: 0
; COMPUTE_PGM_RSRC2:TGID_X_EN: 1
; COMPUTE_PGM_RSRC2:TGID_Y_EN: 0
; COMPUTE_PGM_RSRC2:TGID_Z_EN: 0
; COMPUTE_PGM_RSRC2:TIDIG_COMP_CNT: 0
	.section	.text._ZN7rocprim17ROCPRIM_400000_NS6detail17trampoline_kernelINS0_14default_configENS1_38merge_sort_block_merge_config_selectorIjN6thrust23THRUST_200600_302600_NS5tupleIffNS6_9null_typeES8_S8_S8_S8_S8_S8_S8_EEEEZZNS1_27merge_sort_block_merge_implIS3_NS6_6detail15normal_iteratorINS6_10device_ptrIjEEEENSD_INSE_IS9_EEEEjNS1_19radix_merge_compareILb0ELb0EjNS0_19identity_decomposerEEEEE10hipError_tT0_T1_T2_jT3_P12ihipStream_tbPNSt15iterator_traitsISN_E10value_typeEPNST_ISO_E10value_typeEPSP_NS1_7vsmem_tEENKUlT_SN_SO_SP_E_clISG_PjSI_PS9_EESM_S12_SN_SO_SP_EUlS12_E1_NS1_11comp_targetILNS1_3genE10ELNS1_11target_archE1201ELNS1_3gpuE5ELNS1_3repE0EEENS1_36merge_oddeven_config_static_selectorELNS0_4arch9wavefront6targetE0EEEvSO_,"axG",@progbits,_ZN7rocprim17ROCPRIM_400000_NS6detail17trampoline_kernelINS0_14default_configENS1_38merge_sort_block_merge_config_selectorIjN6thrust23THRUST_200600_302600_NS5tupleIffNS6_9null_typeES8_S8_S8_S8_S8_S8_S8_EEEEZZNS1_27merge_sort_block_merge_implIS3_NS6_6detail15normal_iteratorINS6_10device_ptrIjEEEENSD_INSE_IS9_EEEEjNS1_19radix_merge_compareILb0ELb0EjNS0_19identity_decomposerEEEEE10hipError_tT0_T1_T2_jT3_P12ihipStream_tbPNSt15iterator_traitsISN_E10value_typeEPNST_ISO_E10value_typeEPSP_NS1_7vsmem_tEENKUlT_SN_SO_SP_E_clISG_PjSI_PS9_EESM_S12_SN_SO_SP_EUlS12_E1_NS1_11comp_targetILNS1_3genE10ELNS1_11target_archE1201ELNS1_3gpuE5ELNS1_3repE0EEENS1_36merge_oddeven_config_static_selectorELNS0_4arch9wavefront6targetE0EEEvSO_,comdat
	.protected	_ZN7rocprim17ROCPRIM_400000_NS6detail17trampoline_kernelINS0_14default_configENS1_38merge_sort_block_merge_config_selectorIjN6thrust23THRUST_200600_302600_NS5tupleIffNS6_9null_typeES8_S8_S8_S8_S8_S8_S8_EEEEZZNS1_27merge_sort_block_merge_implIS3_NS6_6detail15normal_iteratorINS6_10device_ptrIjEEEENSD_INSE_IS9_EEEEjNS1_19radix_merge_compareILb0ELb0EjNS0_19identity_decomposerEEEEE10hipError_tT0_T1_T2_jT3_P12ihipStream_tbPNSt15iterator_traitsISN_E10value_typeEPNST_ISO_E10value_typeEPSP_NS1_7vsmem_tEENKUlT_SN_SO_SP_E_clISG_PjSI_PS9_EESM_S12_SN_SO_SP_EUlS12_E1_NS1_11comp_targetILNS1_3genE10ELNS1_11target_archE1201ELNS1_3gpuE5ELNS1_3repE0EEENS1_36merge_oddeven_config_static_selectorELNS0_4arch9wavefront6targetE0EEEvSO_ ; -- Begin function _ZN7rocprim17ROCPRIM_400000_NS6detail17trampoline_kernelINS0_14default_configENS1_38merge_sort_block_merge_config_selectorIjN6thrust23THRUST_200600_302600_NS5tupleIffNS6_9null_typeES8_S8_S8_S8_S8_S8_S8_EEEEZZNS1_27merge_sort_block_merge_implIS3_NS6_6detail15normal_iteratorINS6_10device_ptrIjEEEENSD_INSE_IS9_EEEEjNS1_19radix_merge_compareILb0ELb0EjNS0_19identity_decomposerEEEEE10hipError_tT0_T1_T2_jT3_P12ihipStream_tbPNSt15iterator_traitsISN_E10value_typeEPNST_ISO_E10value_typeEPSP_NS1_7vsmem_tEENKUlT_SN_SO_SP_E_clISG_PjSI_PS9_EESM_S12_SN_SO_SP_EUlS12_E1_NS1_11comp_targetILNS1_3genE10ELNS1_11target_archE1201ELNS1_3gpuE5ELNS1_3repE0EEENS1_36merge_oddeven_config_static_selectorELNS0_4arch9wavefront6targetE0EEEvSO_
	.globl	_ZN7rocprim17ROCPRIM_400000_NS6detail17trampoline_kernelINS0_14default_configENS1_38merge_sort_block_merge_config_selectorIjN6thrust23THRUST_200600_302600_NS5tupleIffNS6_9null_typeES8_S8_S8_S8_S8_S8_S8_EEEEZZNS1_27merge_sort_block_merge_implIS3_NS6_6detail15normal_iteratorINS6_10device_ptrIjEEEENSD_INSE_IS9_EEEEjNS1_19radix_merge_compareILb0ELb0EjNS0_19identity_decomposerEEEEE10hipError_tT0_T1_T2_jT3_P12ihipStream_tbPNSt15iterator_traitsISN_E10value_typeEPNST_ISO_E10value_typeEPSP_NS1_7vsmem_tEENKUlT_SN_SO_SP_E_clISG_PjSI_PS9_EESM_S12_SN_SO_SP_EUlS12_E1_NS1_11comp_targetILNS1_3genE10ELNS1_11target_archE1201ELNS1_3gpuE5ELNS1_3repE0EEENS1_36merge_oddeven_config_static_selectorELNS0_4arch9wavefront6targetE0EEEvSO_
	.p2align	8
	.type	_ZN7rocprim17ROCPRIM_400000_NS6detail17trampoline_kernelINS0_14default_configENS1_38merge_sort_block_merge_config_selectorIjN6thrust23THRUST_200600_302600_NS5tupleIffNS6_9null_typeES8_S8_S8_S8_S8_S8_S8_EEEEZZNS1_27merge_sort_block_merge_implIS3_NS6_6detail15normal_iteratorINS6_10device_ptrIjEEEENSD_INSE_IS9_EEEEjNS1_19radix_merge_compareILb0ELb0EjNS0_19identity_decomposerEEEEE10hipError_tT0_T1_T2_jT3_P12ihipStream_tbPNSt15iterator_traitsISN_E10value_typeEPNST_ISO_E10value_typeEPSP_NS1_7vsmem_tEENKUlT_SN_SO_SP_E_clISG_PjSI_PS9_EESM_S12_SN_SO_SP_EUlS12_E1_NS1_11comp_targetILNS1_3genE10ELNS1_11target_archE1201ELNS1_3gpuE5ELNS1_3repE0EEENS1_36merge_oddeven_config_static_selectorELNS0_4arch9wavefront6targetE0EEEvSO_,@function
_ZN7rocprim17ROCPRIM_400000_NS6detail17trampoline_kernelINS0_14default_configENS1_38merge_sort_block_merge_config_selectorIjN6thrust23THRUST_200600_302600_NS5tupleIffNS6_9null_typeES8_S8_S8_S8_S8_S8_S8_EEEEZZNS1_27merge_sort_block_merge_implIS3_NS6_6detail15normal_iteratorINS6_10device_ptrIjEEEENSD_INSE_IS9_EEEEjNS1_19radix_merge_compareILb0ELb0EjNS0_19identity_decomposerEEEEE10hipError_tT0_T1_T2_jT3_P12ihipStream_tbPNSt15iterator_traitsISN_E10value_typeEPNST_ISO_E10value_typeEPSP_NS1_7vsmem_tEENKUlT_SN_SO_SP_E_clISG_PjSI_PS9_EESM_S12_SN_SO_SP_EUlS12_E1_NS1_11comp_targetILNS1_3genE10ELNS1_11target_archE1201ELNS1_3gpuE5ELNS1_3repE0EEENS1_36merge_oddeven_config_static_selectorELNS0_4arch9wavefront6targetE0EEEvSO_: ; @_ZN7rocprim17ROCPRIM_400000_NS6detail17trampoline_kernelINS0_14default_configENS1_38merge_sort_block_merge_config_selectorIjN6thrust23THRUST_200600_302600_NS5tupleIffNS6_9null_typeES8_S8_S8_S8_S8_S8_S8_EEEEZZNS1_27merge_sort_block_merge_implIS3_NS6_6detail15normal_iteratorINS6_10device_ptrIjEEEENSD_INSE_IS9_EEEEjNS1_19radix_merge_compareILb0ELb0EjNS0_19identity_decomposerEEEEE10hipError_tT0_T1_T2_jT3_P12ihipStream_tbPNSt15iterator_traitsISN_E10value_typeEPNST_ISO_E10value_typeEPSP_NS1_7vsmem_tEENKUlT_SN_SO_SP_E_clISG_PjSI_PS9_EESM_S12_SN_SO_SP_EUlS12_E1_NS1_11comp_targetILNS1_3genE10ELNS1_11target_archE1201ELNS1_3gpuE5ELNS1_3repE0EEENS1_36merge_oddeven_config_static_selectorELNS0_4arch9wavefront6targetE0EEEvSO_
; %bb.0:
	s_load_b32 s3, s[0:1], 0x20
	s_lshl_b32 s12, ttmp9, 8
	s_wait_kmcnt 0x0
	s_lshr_b32 s2, s3, 8
	s_delay_alu instid0(SALU_CYCLE_1) | instskip(SKIP_4) | instid1(SALU_CYCLE_1)
	s_cmp_eq_u32 ttmp9, s2
	s_cselect_b32 s14, -1, 0
	s_cmp_lg_u32 ttmp9, s2
	s_cselect_b32 s4, -1, 0
	s_sub_co_i32 s2, s3, s12
	v_cmp_gt_u32_e64 s2, s2, v0
	s_or_b32 s4, s4, s2
	s_delay_alu instid0(SALU_CYCLE_1)
	s_and_saveexec_b32 s5, s4
	s_cbranch_execz .LBB66_24
; %bb.1:
	s_load_b256 s[4:11], s[0:1], 0x0
	s_mov_b32 s13, 0
	v_lshlrev_b32_e32 v1, 2, v0
	v_lshlrev_b32_e32 v2, 3, v0
	s_lshl_b64 s[16:17], s[12:13], 2
	s_lshl_b64 s[18:19], s[12:13], 3
	v_add_nc_u32_e32 v3, s12, v0
	s_wait_kmcnt 0x0
	s_add_nc_u64 s[16:17], s[4:5], s[16:17]
	s_add_nc_u64 s[8:9], s[8:9], s[18:19]
	global_load_b32 v5, v1, s[16:17]
	global_load_b64 v[1:2], v2, s[8:9]
	s_load_b32 s9, s[0:1], 0x24
	s_wait_kmcnt 0x0
	s_lshr_b32 s0, s9, 8
	s_delay_alu instid0(SALU_CYCLE_1) | instskip(NEXT) | instid1(SALU_CYCLE_1)
	s_sub_co_i32 s1, 0, s0
	s_and_b32 s1, ttmp9, s1
	s_delay_alu instid0(SALU_CYCLE_1) | instskip(SKIP_4) | instid1(SALU_CYCLE_1)
	s_and_b32 s0, s1, s0
	s_lshl_b32 s13, s1, 8
	s_sub_co_i32 s1, 0, s9
	s_cmp_eq_u32 s0, 0
	s_cselect_b32 s0, -1, 0
	s_and_b32 s8, s0, exec_lo
	s_cselect_b32 s1, s9, s1
	s_mov_b32 s8, -1
	s_wait_alu 0xfffe
	s_add_co_i32 s1, s1, s13
	s_delay_alu instid0(SALU_CYCLE_1)
	s_cmp_gt_u32 s3, s1
	s_cbranch_scc1 .LBB66_9
; %bb.2:
	s_and_b32 vcc_lo, exec_lo, s14
	s_cbranch_vccz .LBB66_6
; %bb.3:
	s_mov_b32 s8, exec_lo
	v_cmpx_gt_u32_e64 s3, v3
	s_cbranch_execz .LBB66_5
; %bb.4:
	v_mov_b32_e32 v4, 0
	s_delay_alu instid0(VALU_DEP_1) | instskip(SKIP_1) | instid1(VALU_DEP_2)
	v_lshlrev_b64_e32 v[6:7], 2, v[3:4]
	v_lshlrev_b64_e32 v[8:9], 3, v[3:4]
	v_add_co_u32 v6, vcc_lo, s6, v6
	s_delay_alu instid0(VALU_DEP_1) | instskip(NEXT) | instid1(VALU_DEP_3)
	v_add_co_ci_u32_e64 v7, null, s7, v7, vcc_lo
	v_add_co_u32 v8, vcc_lo, s10, v8
	s_wait_alu 0xfffd
	s_delay_alu instid0(VALU_DEP_4)
	v_add_co_ci_u32_e64 v9, null, s11, v9, vcc_lo
	s_wait_loadcnt 0x1
	global_store_b32 v[6:7], v5, off
	s_wait_loadcnt 0x0
	global_store_b64 v[8:9], v[1:2], off
.LBB66_5:
	s_or_b32 exec_lo, exec_lo, s8
	s_mov_b32 s8, 0
.LBB66_6:
	s_delay_alu instid0(SALU_CYCLE_1)
	s_and_not1_b32 vcc_lo, exec_lo, s8
	s_wait_alu 0xfffe
	s_cbranch_vccnz .LBB66_8
; %bb.7:
	v_mov_b32_e32 v4, 0
	s_delay_alu instid0(VALU_DEP_1) | instskip(SKIP_1) | instid1(VALU_DEP_2)
	v_lshlrev_b64_e32 v[6:7], 2, v[3:4]
	v_lshlrev_b64_e32 v[8:9], 3, v[3:4]
	v_add_co_u32 v6, vcc_lo, s6, v6
	s_wait_alu 0xfffd
	s_delay_alu instid0(VALU_DEP_3) | instskip(NEXT) | instid1(VALU_DEP_3)
	v_add_co_ci_u32_e64 v7, null, s7, v7, vcc_lo
	v_add_co_u32 v8, vcc_lo, s10, v8
	s_wait_alu 0xfffd
	v_add_co_ci_u32_e64 v9, null, s11, v9, vcc_lo
	s_wait_loadcnt 0x1
	global_store_b32 v[6:7], v5, off
	s_wait_loadcnt 0x0
	global_store_b64 v[8:9], v[1:2], off
.LBB66_8:
	s_mov_b32 s8, 0
.LBB66_9:
	s_delay_alu instid0(SALU_CYCLE_1)
	s_and_not1_b32 vcc_lo, exec_lo, s8
	s_wait_alu 0xfffe
	s_cbranch_vccnz .LBB66_24
; %bb.10:
	s_min_u32 s8, s1, s3
	s_and_b32 vcc_lo, exec_lo, s14
	s_add_co_i32 s12, s13, s8
	s_add_co_i32 s9, s8, s9
	s_wait_alu 0xfffe
	v_subrev_nc_u32_e32 v0, s12, v3
	s_min_u32 s12, s13, s8
	s_min_u32 s3, s9, s3
	s_mov_b32 s9, -1
	s_wait_alu 0xfffe
	v_add_nc_u32_e32 v0, s12, v0
	s_cbranch_vccz .LBB66_18
; %bb.11:
	s_and_saveexec_b32 s9, s2
	s_cbranch_execz .LBB66_17
; %bb.12:
	v_mov_b32_e32 v6, s8
	s_cmp_ge_u32 s1, s3
	s_cbranch_scc1 .LBB66_16
; %bb.13:
	v_dual_mov_b32 v7, s3 :: v_dual_mov_b32 v6, s8
	v_mov_b32_e32 v4, 0
	s_mov_b32 s2, 0
.LBB66_14:                              ; =>This Inner Loop Header: Depth=1
	s_delay_alu instid0(VALU_DEP_2) | instskip(NEXT) | instid1(VALU_DEP_1)
	v_add_nc_u32_e32 v3, v6, v7
	v_lshrrev_b32_e32 v3, 1, v3
	s_delay_alu instid0(VALU_DEP_1) | instskip(NEXT) | instid1(VALU_DEP_1)
	v_lshlrev_b64_e32 v[8:9], 2, v[3:4]
	v_add_co_u32 v8, vcc_lo, s4, v8
	s_wait_alu 0xfffd
	s_delay_alu instid0(VALU_DEP_2)
	v_add_co_ci_u32_e64 v9, null, s5, v9, vcc_lo
	global_load_b32 v8, v[8:9], off
	s_wait_loadcnt 0x0
	v_cmp_gt_u32_e32 vcc_lo, v5, v8
	s_wait_alu 0xfffd
	v_cndmask_b32_e64 v9, 0, 1, vcc_lo
	v_cmp_le_u32_e32 vcc_lo, v8, v5
	s_wait_alu 0xfffd
	v_cndmask_b32_e64 v8, 0, 1, vcc_lo
	s_delay_alu instid0(VALU_DEP_1) | instskip(SKIP_1) | instid1(VALU_DEP_2)
	v_cndmask_b32_e64 v8, v8, v9, s0
	v_add_nc_u32_e32 v9, 1, v3
	v_and_b32_e32 v8, 1, v8
	s_delay_alu instid0(VALU_DEP_1) | instskip(SKIP_1) | instid1(VALU_DEP_3)
	v_cmp_eq_u32_e32 vcc_lo, 1, v8
	s_wait_alu 0xfffd
	v_dual_cndmask_b32 v7, v3, v7 :: v_dual_cndmask_b32 v6, v6, v9
	s_delay_alu instid0(VALU_DEP_1)
	v_cmp_ge_u32_e32 vcc_lo, v6, v7
	s_wait_alu 0xfffe
	s_or_b32 s2, vcc_lo, s2
	s_wait_alu 0xfffe
	s_and_not1_b32 exec_lo, exec_lo, s2
	s_cbranch_execnz .LBB66_14
; %bb.15:
	s_or_b32 exec_lo, exec_lo, s2
.LBB66_16:
	s_delay_alu instid0(VALU_DEP_1) | instskip(NEXT) | instid1(VALU_DEP_1)
	v_dual_mov_b32 v4, 0 :: v_dual_add_nc_u32 v3, v6, v0
	v_lshlrev_b64_e32 v[6:7], 2, v[3:4]
	v_lshlrev_b64_e32 v[3:4], 3, v[3:4]
	s_delay_alu instid0(VALU_DEP_2) | instskip(SKIP_1) | instid1(VALU_DEP_3)
	v_add_co_u32 v6, vcc_lo, s6, v6
	s_wait_alu 0xfffd
	v_add_co_ci_u32_e64 v7, null, s7, v7, vcc_lo
	s_delay_alu instid0(VALU_DEP_3)
	v_add_co_u32 v3, vcc_lo, s10, v3
	s_wait_alu 0xfffd
	v_add_co_ci_u32_e64 v4, null, s11, v4, vcc_lo
	s_wait_loadcnt 0x1
	global_store_b32 v[6:7], v5, off
	s_wait_loadcnt 0x0
	global_store_b64 v[3:4], v[1:2], off
.LBB66_17:
	s_or_b32 exec_lo, exec_lo, s9
	s_mov_b32 s9, 0
.LBB66_18:
	s_wait_alu 0xfffe
	s_and_not1_b32 vcc_lo, exec_lo, s9
	s_wait_alu 0xfffe
	s_cbranch_vccnz .LBB66_24
; %bb.19:
	v_mov_b32_e32 v6, s8
	s_cmp_ge_u32 s1, s3
	s_cbranch_scc1 .LBB66_23
; %bb.20:
	v_dual_mov_b32 v7, s3 :: v_dual_mov_b32 v6, s8
	v_mov_b32_e32 v4, 0
	s_mov_b32 s1, 0
.LBB66_21:                              ; =>This Inner Loop Header: Depth=1
	s_delay_alu instid0(VALU_DEP_2) | instskip(NEXT) | instid1(VALU_DEP_1)
	v_add_nc_u32_e32 v3, v6, v7
	v_lshrrev_b32_e32 v3, 1, v3
	s_delay_alu instid0(VALU_DEP_1) | instskip(NEXT) | instid1(VALU_DEP_1)
	v_lshlrev_b64_e32 v[8:9], 2, v[3:4]
	v_add_co_u32 v8, vcc_lo, s4, v8
	s_wait_alu 0xfffd
	s_delay_alu instid0(VALU_DEP_2)
	v_add_co_ci_u32_e64 v9, null, s5, v9, vcc_lo
	global_load_b32 v8, v[8:9], off
	s_wait_loadcnt 0x0
	v_cmp_gt_u32_e32 vcc_lo, v5, v8
	s_wait_alu 0xfffd
	v_cndmask_b32_e64 v9, 0, 1, vcc_lo
	v_cmp_le_u32_e32 vcc_lo, v8, v5
	s_wait_alu 0xfffd
	v_cndmask_b32_e64 v8, 0, 1, vcc_lo
	s_delay_alu instid0(VALU_DEP_1) | instskip(SKIP_1) | instid1(VALU_DEP_2)
	v_cndmask_b32_e64 v8, v8, v9, s0
	v_add_nc_u32_e32 v9, 1, v3
	v_and_b32_e32 v8, 1, v8
	s_delay_alu instid0(VALU_DEP_1) | instskip(SKIP_1) | instid1(VALU_DEP_3)
	v_cmp_eq_u32_e32 vcc_lo, 1, v8
	s_wait_alu 0xfffd
	v_dual_cndmask_b32 v7, v3, v7 :: v_dual_cndmask_b32 v6, v6, v9
	s_delay_alu instid0(VALU_DEP_1)
	v_cmp_ge_u32_e32 vcc_lo, v6, v7
	s_wait_alu 0xfffe
	s_or_b32 s1, vcc_lo, s1
	s_wait_alu 0xfffe
	s_and_not1_b32 exec_lo, exec_lo, s1
	s_cbranch_execnz .LBB66_21
; %bb.22:
	s_or_b32 exec_lo, exec_lo, s1
.LBB66_23:
	s_delay_alu instid0(VALU_DEP_1) | instskip(NEXT) | instid1(VALU_DEP_1)
	v_dual_mov_b32 v4, 0 :: v_dual_add_nc_u32 v3, v6, v0
	v_lshlrev_b64_e32 v[6:7], 2, v[3:4]
	v_lshlrev_b64_e32 v[3:4], 3, v[3:4]
	s_delay_alu instid0(VALU_DEP_2) | instskip(SKIP_1) | instid1(VALU_DEP_3)
	v_add_co_u32 v6, vcc_lo, s6, v6
	s_wait_alu 0xfffd
	v_add_co_ci_u32_e64 v7, null, s7, v7, vcc_lo
	s_delay_alu instid0(VALU_DEP_3)
	v_add_co_u32 v3, vcc_lo, s10, v3
	s_wait_alu 0xfffd
	v_add_co_ci_u32_e64 v4, null, s11, v4, vcc_lo
	s_wait_loadcnt 0x1
	global_store_b32 v[6:7], v5, off
	s_wait_loadcnt 0x0
	global_store_b64 v[3:4], v[1:2], off
.LBB66_24:
	s_endpgm
	.section	.rodata,"a",@progbits
	.p2align	6, 0x0
	.amdhsa_kernel _ZN7rocprim17ROCPRIM_400000_NS6detail17trampoline_kernelINS0_14default_configENS1_38merge_sort_block_merge_config_selectorIjN6thrust23THRUST_200600_302600_NS5tupleIffNS6_9null_typeES8_S8_S8_S8_S8_S8_S8_EEEEZZNS1_27merge_sort_block_merge_implIS3_NS6_6detail15normal_iteratorINS6_10device_ptrIjEEEENSD_INSE_IS9_EEEEjNS1_19radix_merge_compareILb0ELb0EjNS0_19identity_decomposerEEEEE10hipError_tT0_T1_T2_jT3_P12ihipStream_tbPNSt15iterator_traitsISN_E10value_typeEPNST_ISO_E10value_typeEPSP_NS1_7vsmem_tEENKUlT_SN_SO_SP_E_clISG_PjSI_PS9_EESM_S12_SN_SO_SP_EUlS12_E1_NS1_11comp_targetILNS1_3genE10ELNS1_11target_archE1201ELNS1_3gpuE5ELNS1_3repE0EEENS1_36merge_oddeven_config_static_selectorELNS0_4arch9wavefront6targetE0EEEvSO_
		.amdhsa_group_segment_fixed_size 0
		.amdhsa_private_segment_fixed_size 0
		.amdhsa_kernarg_size 48
		.amdhsa_user_sgpr_count 2
		.amdhsa_user_sgpr_dispatch_ptr 0
		.amdhsa_user_sgpr_queue_ptr 0
		.amdhsa_user_sgpr_kernarg_segment_ptr 1
		.amdhsa_user_sgpr_dispatch_id 0
		.amdhsa_user_sgpr_private_segment_size 0
		.amdhsa_wavefront_size32 1
		.amdhsa_uses_dynamic_stack 0
		.amdhsa_enable_private_segment 0
		.amdhsa_system_sgpr_workgroup_id_x 1
		.amdhsa_system_sgpr_workgroup_id_y 0
		.amdhsa_system_sgpr_workgroup_id_z 0
		.amdhsa_system_sgpr_workgroup_info 0
		.amdhsa_system_vgpr_workitem_id 0
		.amdhsa_next_free_vgpr 10
		.amdhsa_next_free_sgpr 20
		.amdhsa_reserve_vcc 1
		.amdhsa_float_round_mode_32 0
		.amdhsa_float_round_mode_16_64 0
		.amdhsa_float_denorm_mode_32 3
		.amdhsa_float_denorm_mode_16_64 3
		.amdhsa_fp16_overflow 0
		.amdhsa_workgroup_processor_mode 1
		.amdhsa_memory_ordered 1
		.amdhsa_forward_progress 1
		.amdhsa_inst_pref_size 9
		.amdhsa_round_robin_scheduling 0
		.amdhsa_exception_fp_ieee_invalid_op 0
		.amdhsa_exception_fp_denorm_src 0
		.amdhsa_exception_fp_ieee_div_zero 0
		.amdhsa_exception_fp_ieee_overflow 0
		.amdhsa_exception_fp_ieee_underflow 0
		.amdhsa_exception_fp_ieee_inexact 0
		.amdhsa_exception_int_div_zero 0
	.end_amdhsa_kernel
	.section	.text._ZN7rocprim17ROCPRIM_400000_NS6detail17trampoline_kernelINS0_14default_configENS1_38merge_sort_block_merge_config_selectorIjN6thrust23THRUST_200600_302600_NS5tupleIffNS6_9null_typeES8_S8_S8_S8_S8_S8_S8_EEEEZZNS1_27merge_sort_block_merge_implIS3_NS6_6detail15normal_iteratorINS6_10device_ptrIjEEEENSD_INSE_IS9_EEEEjNS1_19radix_merge_compareILb0ELb0EjNS0_19identity_decomposerEEEEE10hipError_tT0_T1_T2_jT3_P12ihipStream_tbPNSt15iterator_traitsISN_E10value_typeEPNST_ISO_E10value_typeEPSP_NS1_7vsmem_tEENKUlT_SN_SO_SP_E_clISG_PjSI_PS9_EESM_S12_SN_SO_SP_EUlS12_E1_NS1_11comp_targetILNS1_3genE10ELNS1_11target_archE1201ELNS1_3gpuE5ELNS1_3repE0EEENS1_36merge_oddeven_config_static_selectorELNS0_4arch9wavefront6targetE0EEEvSO_,"axG",@progbits,_ZN7rocprim17ROCPRIM_400000_NS6detail17trampoline_kernelINS0_14default_configENS1_38merge_sort_block_merge_config_selectorIjN6thrust23THRUST_200600_302600_NS5tupleIffNS6_9null_typeES8_S8_S8_S8_S8_S8_S8_EEEEZZNS1_27merge_sort_block_merge_implIS3_NS6_6detail15normal_iteratorINS6_10device_ptrIjEEEENSD_INSE_IS9_EEEEjNS1_19radix_merge_compareILb0ELb0EjNS0_19identity_decomposerEEEEE10hipError_tT0_T1_T2_jT3_P12ihipStream_tbPNSt15iterator_traitsISN_E10value_typeEPNST_ISO_E10value_typeEPSP_NS1_7vsmem_tEENKUlT_SN_SO_SP_E_clISG_PjSI_PS9_EESM_S12_SN_SO_SP_EUlS12_E1_NS1_11comp_targetILNS1_3genE10ELNS1_11target_archE1201ELNS1_3gpuE5ELNS1_3repE0EEENS1_36merge_oddeven_config_static_selectorELNS0_4arch9wavefront6targetE0EEEvSO_,comdat
.Lfunc_end66:
	.size	_ZN7rocprim17ROCPRIM_400000_NS6detail17trampoline_kernelINS0_14default_configENS1_38merge_sort_block_merge_config_selectorIjN6thrust23THRUST_200600_302600_NS5tupleIffNS6_9null_typeES8_S8_S8_S8_S8_S8_S8_EEEEZZNS1_27merge_sort_block_merge_implIS3_NS6_6detail15normal_iteratorINS6_10device_ptrIjEEEENSD_INSE_IS9_EEEEjNS1_19radix_merge_compareILb0ELb0EjNS0_19identity_decomposerEEEEE10hipError_tT0_T1_T2_jT3_P12ihipStream_tbPNSt15iterator_traitsISN_E10value_typeEPNST_ISO_E10value_typeEPSP_NS1_7vsmem_tEENKUlT_SN_SO_SP_E_clISG_PjSI_PS9_EESM_S12_SN_SO_SP_EUlS12_E1_NS1_11comp_targetILNS1_3genE10ELNS1_11target_archE1201ELNS1_3gpuE5ELNS1_3repE0EEENS1_36merge_oddeven_config_static_selectorELNS0_4arch9wavefront6targetE0EEEvSO_, .Lfunc_end66-_ZN7rocprim17ROCPRIM_400000_NS6detail17trampoline_kernelINS0_14default_configENS1_38merge_sort_block_merge_config_selectorIjN6thrust23THRUST_200600_302600_NS5tupleIffNS6_9null_typeES8_S8_S8_S8_S8_S8_S8_EEEEZZNS1_27merge_sort_block_merge_implIS3_NS6_6detail15normal_iteratorINS6_10device_ptrIjEEEENSD_INSE_IS9_EEEEjNS1_19radix_merge_compareILb0ELb0EjNS0_19identity_decomposerEEEEE10hipError_tT0_T1_T2_jT3_P12ihipStream_tbPNSt15iterator_traitsISN_E10value_typeEPNST_ISO_E10value_typeEPSP_NS1_7vsmem_tEENKUlT_SN_SO_SP_E_clISG_PjSI_PS9_EESM_S12_SN_SO_SP_EUlS12_E1_NS1_11comp_targetILNS1_3genE10ELNS1_11target_archE1201ELNS1_3gpuE5ELNS1_3repE0EEENS1_36merge_oddeven_config_static_selectorELNS0_4arch9wavefront6targetE0EEEvSO_
                                        ; -- End function
	.set _ZN7rocprim17ROCPRIM_400000_NS6detail17trampoline_kernelINS0_14default_configENS1_38merge_sort_block_merge_config_selectorIjN6thrust23THRUST_200600_302600_NS5tupleIffNS6_9null_typeES8_S8_S8_S8_S8_S8_S8_EEEEZZNS1_27merge_sort_block_merge_implIS3_NS6_6detail15normal_iteratorINS6_10device_ptrIjEEEENSD_INSE_IS9_EEEEjNS1_19radix_merge_compareILb0ELb0EjNS0_19identity_decomposerEEEEE10hipError_tT0_T1_T2_jT3_P12ihipStream_tbPNSt15iterator_traitsISN_E10value_typeEPNST_ISO_E10value_typeEPSP_NS1_7vsmem_tEENKUlT_SN_SO_SP_E_clISG_PjSI_PS9_EESM_S12_SN_SO_SP_EUlS12_E1_NS1_11comp_targetILNS1_3genE10ELNS1_11target_archE1201ELNS1_3gpuE5ELNS1_3repE0EEENS1_36merge_oddeven_config_static_selectorELNS0_4arch9wavefront6targetE0EEEvSO_.num_vgpr, 10
	.set _ZN7rocprim17ROCPRIM_400000_NS6detail17trampoline_kernelINS0_14default_configENS1_38merge_sort_block_merge_config_selectorIjN6thrust23THRUST_200600_302600_NS5tupleIffNS6_9null_typeES8_S8_S8_S8_S8_S8_S8_EEEEZZNS1_27merge_sort_block_merge_implIS3_NS6_6detail15normal_iteratorINS6_10device_ptrIjEEEENSD_INSE_IS9_EEEEjNS1_19radix_merge_compareILb0ELb0EjNS0_19identity_decomposerEEEEE10hipError_tT0_T1_T2_jT3_P12ihipStream_tbPNSt15iterator_traitsISN_E10value_typeEPNST_ISO_E10value_typeEPSP_NS1_7vsmem_tEENKUlT_SN_SO_SP_E_clISG_PjSI_PS9_EESM_S12_SN_SO_SP_EUlS12_E1_NS1_11comp_targetILNS1_3genE10ELNS1_11target_archE1201ELNS1_3gpuE5ELNS1_3repE0EEENS1_36merge_oddeven_config_static_selectorELNS0_4arch9wavefront6targetE0EEEvSO_.num_agpr, 0
	.set _ZN7rocprim17ROCPRIM_400000_NS6detail17trampoline_kernelINS0_14default_configENS1_38merge_sort_block_merge_config_selectorIjN6thrust23THRUST_200600_302600_NS5tupleIffNS6_9null_typeES8_S8_S8_S8_S8_S8_S8_EEEEZZNS1_27merge_sort_block_merge_implIS3_NS6_6detail15normal_iteratorINS6_10device_ptrIjEEEENSD_INSE_IS9_EEEEjNS1_19radix_merge_compareILb0ELb0EjNS0_19identity_decomposerEEEEE10hipError_tT0_T1_T2_jT3_P12ihipStream_tbPNSt15iterator_traitsISN_E10value_typeEPNST_ISO_E10value_typeEPSP_NS1_7vsmem_tEENKUlT_SN_SO_SP_E_clISG_PjSI_PS9_EESM_S12_SN_SO_SP_EUlS12_E1_NS1_11comp_targetILNS1_3genE10ELNS1_11target_archE1201ELNS1_3gpuE5ELNS1_3repE0EEENS1_36merge_oddeven_config_static_selectorELNS0_4arch9wavefront6targetE0EEEvSO_.numbered_sgpr, 20
	.set _ZN7rocprim17ROCPRIM_400000_NS6detail17trampoline_kernelINS0_14default_configENS1_38merge_sort_block_merge_config_selectorIjN6thrust23THRUST_200600_302600_NS5tupleIffNS6_9null_typeES8_S8_S8_S8_S8_S8_S8_EEEEZZNS1_27merge_sort_block_merge_implIS3_NS6_6detail15normal_iteratorINS6_10device_ptrIjEEEENSD_INSE_IS9_EEEEjNS1_19radix_merge_compareILb0ELb0EjNS0_19identity_decomposerEEEEE10hipError_tT0_T1_T2_jT3_P12ihipStream_tbPNSt15iterator_traitsISN_E10value_typeEPNST_ISO_E10value_typeEPSP_NS1_7vsmem_tEENKUlT_SN_SO_SP_E_clISG_PjSI_PS9_EESM_S12_SN_SO_SP_EUlS12_E1_NS1_11comp_targetILNS1_3genE10ELNS1_11target_archE1201ELNS1_3gpuE5ELNS1_3repE0EEENS1_36merge_oddeven_config_static_selectorELNS0_4arch9wavefront6targetE0EEEvSO_.num_named_barrier, 0
	.set _ZN7rocprim17ROCPRIM_400000_NS6detail17trampoline_kernelINS0_14default_configENS1_38merge_sort_block_merge_config_selectorIjN6thrust23THRUST_200600_302600_NS5tupleIffNS6_9null_typeES8_S8_S8_S8_S8_S8_S8_EEEEZZNS1_27merge_sort_block_merge_implIS3_NS6_6detail15normal_iteratorINS6_10device_ptrIjEEEENSD_INSE_IS9_EEEEjNS1_19radix_merge_compareILb0ELb0EjNS0_19identity_decomposerEEEEE10hipError_tT0_T1_T2_jT3_P12ihipStream_tbPNSt15iterator_traitsISN_E10value_typeEPNST_ISO_E10value_typeEPSP_NS1_7vsmem_tEENKUlT_SN_SO_SP_E_clISG_PjSI_PS9_EESM_S12_SN_SO_SP_EUlS12_E1_NS1_11comp_targetILNS1_3genE10ELNS1_11target_archE1201ELNS1_3gpuE5ELNS1_3repE0EEENS1_36merge_oddeven_config_static_selectorELNS0_4arch9wavefront6targetE0EEEvSO_.private_seg_size, 0
	.set _ZN7rocprim17ROCPRIM_400000_NS6detail17trampoline_kernelINS0_14default_configENS1_38merge_sort_block_merge_config_selectorIjN6thrust23THRUST_200600_302600_NS5tupleIffNS6_9null_typeES8_S8_S8_S8_S8_S8_S8_EEEEZZNS1_27merge_sort_block_merge_implIS3_NS6_6detail15normal_iteratorINS6_10device_ptrIjEEEENSD_INSE_IS9_EEEEjNS1_19radix_merge_compareILb0ELb0EjNS0_19identity_decomposerEEEEE10hipError_tT0_T1_T2_jT3_P12ihipStream_tbPNSt15iterator_traitsISN_E10value_typeEPNST_ISO_E10value_typeEPSP_NS1_7vsmem_tEENKUlT_SN_SO_SP_E_clISG_PjSI_PS9_EESM_S12_SN_SO_SP_EUlS12_E1_NS1_11comp_targetILNS1_3genE10ELNS1_11target_archE1201ELNS1_3gpuE5ELNS1_3repE0EEENS1_36merge_oddeven_config_static_selectorELNS0_4arch9wavefront6targetE0EEEvSO_.uses_vcc, 1
	.set _ZN7rocprim17ROCPRIM_400000_NS6detail17trampoline_kernelINS0_14default_configENS1_38merge_sort_block_merge_config_selectorIjN6thrust23THRUST_200600_302600_NS5tupleIffNS6_9null_typeES8_S8_S8_S8_S8_S8_S8_EEEEZZNS1_27merge_sort_block_merge_implIS3_NS6_6detail15normal_iteratorINS6_10device_ptrIjEEEENSD_INSE_IS9_EEEEjNS1_19radix_merge_compareILb0ELb0EjNS0_19identity_decomposerEEEEE10hipError_tT0_T1_T2_jT3_P12ihipStream_tbPNSt15iterator_traitsISN_E10value_typeEPNST_ISO_E10value_typeEPSP_NS1_7vsmem_tEENKUlT_SN_SO_SP_E_clISG_PjSI_PS9_EESM_S12_SN_SO_SP_EUlS12_E1_NS1_11comp_targetILNS1_3genE10ELNS1_11target_archE1201ELNS1_3gpuE5ELNS1_3repE0EEENS1_36merge_oddeven_config_static_selectorELNS0_4arch9wavefront6targetE0EEEvSO_.uses_flat_scratch, 0
	.set _ZN7rocprim17ROCPRIM_400000_NS6detail17trampoline_kernelINS0_14default_configENS1_38merge_sort_block_merge_config_selectorIjN6thrust23THRUST_200600_302600_NS5tupleIffNS6_9null_typeES8_S8_S8_S8_S8_S8_S8_EEEEZZNS1_27merge_sort_block_merge_implIS3_NS6_6detail15normal_iteratorINS6_10device_ptrIjEEEENSD_INSE_IS9_EEEEjNS1_19radix_merge_compareILb0ELb0EjNS0_19identity_decomposerEEEEE10hipError_tT0_T1_T2_jT3_P12ihipStream_tbPNSt15iterator_traitsISN_E10value_typeEPNST_ISO_E10value_typeEPSP_NS1_7vsmem_tEENKUlT_SN_SO_SP_E_clISG_PjSI_PS9_EESM_S12_SN_SO_SP_EUlS12_E1_NS1_11comp_targetILNS1_3genE10ELNS1_11target_archE1201ELNS1_3gpuE5ELNS1_3repE0EEENS1_36merge_oddeven_config_static_selectorELNS0_4arch9wavefront6targetE0EEEvSO_.has_dyn_sized_stack, 0
	.set _ZN7rocprim17ROCPRIM_400000_NS6detail17trampoline_kernelINS0_14default_configENS1_38merge_sort_block_merge_config_selectorIjN6thrust23THRUST_200600_302600_NS5tupleIffNS6_9null_typeES8_S8_S8_S8_S8_S8_S8_EEEEZZNS1_27merge_sort_block_merge_implIS3_NS6_6detail15normal_iteratorINS6_10device_ptrIjEEEENSD_INSE_IS9_EEEEjNS1_19radix_merge_compareILb0ELb0EjNS0_19identity_decomposerEEEEE10hipError_tT0_T1_T2_jT3_P12ihipStream_tbPNSt15iterator_traitsISN_E10value_typeEPNST_ISO_E10value_typeEPSP_NS1_7vsmem_tEENKUlT_SN_SO_SP_E_clISG_PjSI_PS9_EESM_S12_SN_SO_SP_EUlS12_E1_NS1_11comp_targetILNS1_3genE10ELNS1_11target_archE1201ELNS1_3gpuE5ELNS1_3repE0EEENS1_36merge_oddeven_config_static_selectorELNS0_4arch9wavefront6targetE0EEEvSO_.has_recursion, 0
	.set _ZN7rocprim17ROCPRIM_400000_NS6detail17trampoline_kernelINS0_14default_configENS1_38merge_sort_block_merge_config_selectorIjN6thrust23THRUST_200600_302600_NS5tupleIffNS6_9null_typeES8_S8_S8_S8_S8_S8_S8_EEEEZZNS1_27merge_sort_block_merge_implIS3_NS6_6detail15normal_iteratorINS6_10device_ptrIjEEEENSD_INSE_IS9_EEEEjNS1_19radix_merge_compareILb0ELb0EjNS0_19identity_decomposerEEEEE10hipError_tT0_T1_T2_jT3_P12ihipStream_tbPNSt15iterator_traitsISN_E10value_typeEPNST_ISO_E10value_typeEPSP_NS1_7vsmem_tEENKUlT_SN_SO_SP_E_clISG_PjSI_PS9_EESM_S12_SN_SO_SP_EUlS12_E1_NS1_11comp_targetILNS1_3genE10ELNS1_11target_archE1201ELNS1_3gpuE5ELNS1_3repE0EEENS1_36merge_oddeven_config_static_selectorELNS0_4arch9wavefront6targetE0EEEvSO_.has_indirect_call, 0
	.section	.AMDGPU.csdata,"",@progbits
; Kernel info:
; codeLenInByte = 1140
; TotalNumSgprs: 22
; NumVgprs: 10
; ScratchSize: 0
; MemoryBound: 0
; FloatMode: 240
; IeeeMode: 1
; LDSByteSize: 0 bytes/workgroup (compile time only)
; SGPRBlocks: 0
; VGPRBlocks: 1
; NumSGPRsForWavesPerEU: 22
; NumVGPRsForWavesPerEU: 10
; Occupancy: 16
; WaveLimiterHint : 0
; COMPUTE_PGM_RSRC2:SCRATCH_EN: 0
; COMPUTE_PGM_RSRC2:USER_SGPR: 2
; COMPUTE_PGM_RSRC2:TRAP_HANDLER: 0
; COMPUTE_PGM_RSRC2:TGID_X_EN: 1
; COMPUTE_PGM_RSRC2:TGID_Y_EN: 0
; COMPUTE_PGM_RSRC2:TGID_Z_EN: 0
; COMPUTE_PGM_RSRC2:TIDIG_COMP_CNT: 0
	.section	.text._ZN7rocprim17ROCPRIM_400000_NS6detail17trampoline_kernelINS0_14default_configENS1_38merge_sort_block_merge_config_selectorIjN6thrust23THRUST_200600_302600_NS5tupleIffNS6_9null_typeES8_S8_S8_S8_S8_S8_S8_EEEEZZNS1_27merge_sort_block_merge_implIS3_NS6_6detail15normal_iteratorINS6_10device_ptrIjEEEENSD_INSE_IS9_EEEEjNS1_19radix_merge_compareILb0ELb0EjNS0_19identity_decomposerEEEEE10hipError_tT0_T1_T2_jT3_P12ihipStream_tbPNSt15iterator_traitsISN_E10value_typeEPNST_ISO_E10value_typeEPSP_NS1_7vsmem_tEENKUlT_SN_SO_SP_E_clISG_PjSI_PS9_EESM_S12_SN_SO_SP_EUlS12_E1_NS1_11comp_targetILNS1_3genE5ELNS1_11target_archE942ELNS1_3gpuE9ELNS1_3repE0EEENS1_36merge_oddeven_config_static_selectorELNS0_4arch9wavefront6targetE0EEEvSO_,"axG",@progbits,_ZN7rocprim17ROCPRIM_400000_NS6detail17trampoline_kernelINS0_14default_configENS1_38merge_sort_block_merge_config_selectorIjN6thrust23THRUST_200600_302600_NS5tupleIffNS6_9null_typeES8_S8_S8_S8_S8_S8_S8_EEEEZZNS1_27merge_sort_block_merge_implIS3_NS6_6detail15normal_iteratorINS6_10device_ptrIjEEEENSD_INSE_IS9_EEEEjNS1_19radix_merge_compareILb0ELb0EjNS0_19identity_decomposerEEEEE10hipError_tT0_T1_T2_jT3_P12ihipStream_tbPNSt15iterator_traitsISN_E10value_typeEPNST_ISO_E10value_typeEPSP_NS1_7vsmem_tEENKUlT_SN_SO_SP_E_clISG_PjSI_PS9_EESM_S12_SN_SO_SP_EUlS12_E1_NS1_11comp_targetILNS1_3genE5ELNS1_11target_archE942ELNS1_3gpuE9ELNS1_3repE0EEENS1_36merge_oddeven_config_static_selectorELNS0_4arch9wavefront6targetE0EEEvSO_,comdat
	.protected	_ZN7rocprim17ROCPRIM_400000_NS6detail17trampoline_kernelINS0_14default_configENS1_38merge_sort_block_merge_config_selectorIjN6thrust23THRUST_200600_302600_NS5tupleIffNS6_9null_typeES8_S8_S8_S8_S8_S8_S8_EEEEZZNS1_27merge_sort_block_merge_implIS3_NS6_6detail15normal_iteratorINS6_10device_ptrIjEEEENSD_INSE_IS9_EEEEjNS1_19radix_merge_compareILb0ELb0EjNS0_19identity_decomposerEEEEE10hipError_tT0_T1_T2_jT3_P12ihipStream_tbPNSt15iterator_traitsISN_E10value_typeEPNST_ISO_E10value_typeEPSP_NS1_7vsmem_tEENKUlT_SN_SO_SP_E_clISG_PjSI_PS9_EESM_S12_SN_SO_SP_EUlS12_E1_NS1_11comp_targetILNS1_3genE5ELNS1_11target_archE942ELNS1_3gpuE9ELNS1_3repE0EEENS1_36merge_oddeven_config_static_selectorELNS0_4arch9wavefront6targetE0EEEvSO_ ; -- Begin function _ZN7rocprim17ROCPRIM_400000_NS6detail17trampoline_kernelINS0_14default_configENS1_38merge_sort_block_merge_config_selectorIjN6thrust23THRUST_200600_302600_NS5tupleIffNS6_9null_typeES8_S8_S8_S8_S8_S8_S8_EEEEZZNS1_27merge_sort_block_merge_implIS3_NS6_6detail15normal_iteratorINS6_10device_ptrIjEEEENSD_INSE_IS9_EEEEjNS1_19radix_merge_compareILb0ELb0EjNS0_19identity_decomposerEEEEE10hipError_tT0_T1_T2_jT3_P12ihipStream_tbPNSt15iterator_traitsISN_E10value_typeEPNST_ISO_E10value_typeEPSP_NS1_7vsmem_tEENKUlT_SN_SO_SP_E_clISG_PjSI_PS9_EESM_S12_SN_SO_SP_EUlS12_E1_NS1_11comp_targetILNS1_3genE5ELNS1_11target_archE942ELNS1_3gpuE9ELNS1_3repE0EEENS1_36merge_oddeven_config_static_selectorELNS0_4arch9wavefront6targetE0EEEvSO_
	.globl	_ZN7rocprim17ROCPRIM_400000_NS6detail17trampoline_kernelINS0_14default_configENS1_38merge_sort_block_merge_config_selectorIjN6thrust23THRUST_200600_302600_NS5tupleIffNS6_9null_typeES8_S8_S8_S8_S8_S8_S8_EEEEZZNS1_27merge_sort_block_merge_implIS3_NS6_6detail15normal_iteratorINS6_10device_ptrIjEEEENSD_INSE_IS9_EEEEjNS1_19radix_merge_compareILb0ELb0EjNS0_19identity_decomposerEEEEE10hipError_tT0_T1_T2_jT3_P12ihipStream_tbPNSt15iterator_traitsISN_E10value_typeEPNST_ISO_E10value_typeEPSP_NS1_7vsmem_tEENKUlT_SN_SO_SP_E_clISG_PjSI_PS9_EESM_S12_SN_SO_SP_EUlS12_E1_NS1_11comp_targetILNS1_3genE5ELNS1_11target_archE942ELNS1_3gpuE9ELNS1_3repE0EEENS1_36merge_oddeven_config_static_selectorELNS0_4arch9wavefront6targetE0EEEvSO_
	.p2align	8
	.type	_ZN7rocprim17ROCPRIM_400000_NS6detail17trampoline_kernelINS0_14default_configENS1_38merge_sort_block_merge_config_selectorIjN6thrust23THRUST_200600_302600_NS5tupleIffNS6_9null_typeES8_S8_S8_S8_S8_S8_S8_EEEEZZNS1_27merge_sort_block_merge_implIS3_NS6_6detail15normal_iteratorINS6_10device_ptrIjEEEENSD_INSE_IS9_EEEEjNS1_19radix_merge_compareILb0ELb0EjNS0_19identity_decomposerEEEEE10hipError_tT0_T1_T2_jT3_P12ihipStream_tbPNSt15iterator_traitsISN_E10value_typeEPNST_ISO_E10value_typeEPSP_NS1_7vsmem_tEENKUlT_SN_SO_SP_E_clISG_PjSI_PS9_EESM_S12_SN_SO_SP_EUlS12_E1_NS1_11comp_targetILNS1_3genE5ELNS1_11target_archE942ELNS1_3gpuE9ELNS1_3repE0EEENS1_36merge_oddeven_config_static_selectorELNS0_4arch9wavefront6targetE0EEEvSO_,@function
_ZN7rocprim17ROCPRIM_400000_NS6detail17trampoline_kernelINS0_14default_configENS1_38merge_sort_block_merge_config_selectorIjN6thrust23THRUST_200600_302600_NS5tupleIffNS6_9null_typeES8_S8_S8_S8_S8_S8_S8_EEEEZZNS1_27merge_sort_block_merge_implIS3_NS6_6detail15normal_iteratorINS6_10device_ptrIjEEEENSD_INSE_IS9_EEEEjNS1_19radix_merge_compareILb0ELb0EjNS0_19identity_decomposerEEEEE10hipError_tT0_T1_T2_jT3_P12ihipStream_tbPNSt15iterator_traitsISN_E10value_typeEPNST_ISO_E10value_typeEPSP_NS1_7vsmem_tEENKUlT_SN_SO_SP_E_clISG_PjSI_PS9_EESM_S12_SN_SO_SP_EUlS12_E1_NS1_11comp_targetILNS1_3genE5ELNS1_11target_archE942ELNS1_3gpuE9ELNS1_3repE0EEENS1_36merge_oddeven_config_static_selectorELNS0_4arch9wavefront6targetE0EEEvSO_: ; @_ZN7rocprim17ROCPRIM_400000_NS6detail17trampoline_kernelINS0_14default_configENS1_38merge_sort_block_merge_config_selectorIjN6thrust23THRUST_200600_302600_NS5tupleIffNS6_9null_typeES8_S8_S8_S8_S8_S8_S8_EEEEZZNS1_27merge_sort_block_merge_implIS3_NS6_6detail15normal_iteratorINS6_10device_ptrIjEEEENSD_INSE_IS9_EEEEjNS1_19radix_merge_compareILb0ELb0EjNS0_19identity_decomposerEEEEE10hipError_tT0_T1_T2_jT3_P12ihipStream_tbPNSt15iterator_traitsISN_E10value_typeEPNST_ISO_E10value_typeEPSP_NS1_7vsmem_tEENKUlT_SN_SO_SP_E_clISG_PjSI_PS9_EESM_S12_SN_SO_SP_EUlS12_E1_NS1_11comp_targetILNS1_3genE5ELNS1_11target_archE942ELNS1_3gpuE9ELNS1_3repE0EEENS1_36merge_oddeven_config_static_selectorELNS0_4arch9wavefront6targetE0EEEvSO_
; %bb.0:
	.section	.rodata,"a",@progbits
	.p2align	6, 0x0
	.amdhsa_kernel _ZN7rocprim17ROCPRIM_400000_NS6detail17trampoline_kernelINS0_14default_configENS1_38merge_sort_block_merge_config_selectorIjN6thrust23THRUST_200600_302600_NS5tupleIffNS6_9null_typeES8_S8_S8_S8_S8_S8_S8_EEEEZZNS1_27merge_sort_block_merge_implIS3_NS6_6detail15normal_iteratorINS6_10device_ptrIjEEEENSD_INSE_IS9_EEEEjNS1_19radix_merge_compareILb0ELb0EjNS0_19identity_decomposerEEEEE10hipError_tT0_T1_T2_jT3_P12ihipStream_tbPNSt15iterator_traitsISN_E10value_typeEPNST_ISO_E10value_typeEPSP_NS1_7vsmem_tEENKUlT_SN_SO_SP_E_clISG_PjSI_PS9_EESM_S12_SN_SO_SP_EUlS12_E1_NS1_11comp_targetILNS1_3genE5ELNS1_11target_archE942ELNS1_3gpuE9ELNS1_3repE0EEENS1_36merge_oddeven_config_static_selectorELNS0_4arch9wavefront6targetE0EEEvSO_
		.amdhsa_group_segment_fixed_size 0
		.amdhsa_private_segment_fixed_size 0
		.amdhsa_kernarg_size 48
		.amdhsa_user_sgpr_count 2
		.amdhsa_user_sgpr_dispatch_ptr 0
		.amdhsa_user_sgpr_queue_ptr 0
		.amdhsa_user_sgpr_kernarg_segment_ptr 1
		.amdhsa_user_sgpr_dispatch_id 0
		.amdhsa_user_sgpr_private_segment_size 0
		.amdhsa_wavefront_size32 1
		.amdhsa_uses_dynamic_stack 0
		.amdhsa_enable_private_segment 0
		.amdhsa_system_sgpr_workgroup_id_x 1
		.amdhsa_system_sgpr_workgroup_id_y 0
		.amdhsa_system_sgpr_workgroup_id_z 0
		.amdhsa_system_sgpr_workgroup_info 0
		.amdhsa_system_vgpr_workitem_id 0
		.amdhsa_next_free_vgpr 1
		.amdhsa_next_free_sgpr 1
		.amdhsa_reserve_vcc 0
		.amdhsa_float_round_mode_32 0
		.amdhsa_float_round_mode_16_64 0
		.amdhsa_float_denorm_mode_32 3
		.amdhsa_float_denorm_mode_16_64 3
		.amdhsa_fp16_overflow 0
		.amdhsa_workgroup_processor_mode 1
		.amdhsa_memory_ordered 1
		.amdhsa_forward_progress 1
		.amdhsa_inst_pref_size 0
		.amdhsa_round_robin_scheduling 0
		.amdhsa_exception_fp_ieee_invalid_op 0
		.amdhsa_exception_fp_denorm_src 0
		.amdhsa_exception_fp_ieee_div_zero 0
		.amdhsa_exception_fp_ieee_overflow 0
		.amdhsa_exception_fp_ieee_underflow 0
		.amdhsa_exception_fp_ieee_inexact 0
		.amdhsa_exception_int_div_zero 0
	.end_amdhsa_kernel
	.section	.text._ZN7rocprim17ROCPRIM_400000_NS6detail17trampoline_kernelINS0_14default_configENS1_38merge_sort_block_merge_config_selectorIjN6thrust23THRUST_200600_302600_NS5tupleIffNS6_9null_typeES8_S8_S8_S8_S8_S8_S8_EEEEZZNS1_27merge_sort_block_merge_implIS3_NS6_6detail15normal_iteratorINS6_10device_ptrIjEEEENSD_INSE_IS9_EEEEjNS1_19radix_merge_compareILb0ELb0EjNS0_19identity_decomposerEEEEE10hipError_tT0_T1_T2_jT3_P12ihipStream_tbPNSt15iterator_traitsISN_E10value_typeEPNST_ISO_E10value_typeEPSP_NS1_7vsmem_tEENKUlT_SN_SO_SP_E_clISG_PjSI_PS9_EESM_S12_SN_SO_SP_EUlS12_E1_NS1_11comp_targetILNS1_3genE5ELNS1_11target_archE942ELNS1_3gpuE9ELNS1_3repE0EEENS1_36merge_oddeven_config_static_selectorELNS0_4arch9wavefront6targetE0EEEvSO_,"axG",@progbits,_ZN7rocprim17ROCPRIM_400000_NS6detail17trampoline_kernelINS0_14default_configENS1_38merge_sort_block_merge_config_selectorIjN6thrust23THRUST_200600_302600_NS5tupleIffNS6_9null_typeES8_S8_S8_S8_S8_S8_S8_EEEEZZNS1_27merge_sort_block_merge_implIS3_NS6_6detail15normal_iteratorINS6_10device_ptrIjEEEENSD_INSE_IS9_EEEEjNS1_19radix_merge_compareILb0ELb0EjNS0_19identity_decomposerEEEEE10hipError_tT0_T1_T2_jT3_P12ihipStream_tbPNSt15iterator_traitsISN_E10value_typeEPNST_ISO_E10value_typeEPSP_NS1_7vsmem_tEENKUlT_SN_SO_SP_E_clISG_PjSI_PS9_EESM_S12_SN_SO_SP_EUlS12_E1_NS1_11comp_targetILNS1_3genE5ELNS1_11target_archE942ELNS1_3gpuE9ELNS1_3repE0EEENS1_36merge_oddeven_config_static_selectorELNS0_4arch9wavefront6targetE0EEEvSO_,comdat
.Lfunc_end67:
	.size	_ZN7rocprim17ROCPRIM_400000_NS6detail17trampoline_kernelINS0_14default_configENS1_38merge_sort_block_merge_config_selectorIjN6thrust23THRUST_200600_302600_NS5tupleIffNS6_9null_typeES8_S8_S8_S8_S8_S8_S8_EEEEZZNS1_27merge_sort_block_merge_implIS3_NS6_6detail15normal_iteratorINS6_10device_ptrIjEEEENSD_INSE_IS9_EEEEjNS1_19radix_merge_compareILb0ELb0EjNS0_19identity_decomposerEEEEE10hipError_tT0_T1_T2_jT3_P12ihipStream_tbPNSt15iterator_traitsISN_E10value_typeEPNST_ISO_E10value_typeEPSP_NS1_7vsmem_tEENKUlT_SN_SO_SP_E_clISG_PjSI_PS9_EESM_S12_SN_SO_SP_EUlS12_E1_NS1_11comp_targetILNS1_3genE5ELNS1_11target_archE942ELNS1_3gpuE9ELNS1_3repE0EEENS1_36merge_oddeven_config_static_selectorELNS0_4arch9wavefront6targetE0EEEvSO_, .Lfunc_end67-_ZN7rocprim17ROCPRIM_400000_NS6detail17trampoline_kernelINS0_14default_configENS1_38merge_sort_block_merge_config_selectorIjN6thrust23THRUST_200600_302600_NS5tupleIffNS6_9null_typeES8_S8_S8_S8_S8_S8_S8_EEEEZZNS1_27merge_sort_block_merge_implIS3_NS6_6detail15normal_iteratorINS6_10device_ptrIjEEEENSD_INSE_IS9_EEEEjNS1_19radix_merge_compareILb0ELb0EjNS0_19identity_decomposerEEEEE10hipError_tT0_T1_T2_jT3_P12ihipStream_tbPNSt15iterator_traitsISN_E10value_typeEPNST_ISO_E10value_typeEPSP_NS1_7vsmem_tEENKUlT_SN_SO_SP_E_clISG_PjSI_PS9_EESM_S12_SN_SO_SP_EUlS12_E1_NS1_11comp_targetILNS1_3genE5ELNS1_11target_archE942ELNS1_3gpuE9ELNS1_3repE0EEENS1_36merge_oddeven_config_static_selectorELNS0_4arch9wavefront6targetE0EEEvSO_
                                        ; -- End function
	.set _ZN7rocprim17ROCPRIM_400000_NS6detail17trampoline_kernelINS0_14default_configENS1_38merge_sort_block_merge_config_selectorIjN6thrust23THRUST_200600_302600_NS5tupleIffNS6_9null_typeES8_S8_S8_S8_S8_S8_S8_EEEEZZNS1_27merge_sort_block_merge_implIS3_NS6_6detail15normal_iteratorINS6_10device_ptrIjEEEENSD_INSE_IS9_EEEEjNS1_19radix_merge_compareILb0ELb0EjNS0_19identity_decomposerEEEEE10hipError_tT0_T1_T2_jT3_P12ihipStream_tbPNSt15iterator_traitsISN_E10value_typeEPNST_ISO_E10value_typeEPSP_NS1_7vsmem_tEENKUlT_SN_SO_SP_E_clISG_PjSI_PS9_EESM_S12_SN_SO_SP_EUlS12_E1_NS1_11comp_targetILNS1_3genE5ELNS1_11target_archE942ELNS1_3gpuE9ELNS1_3repE0EEENS1_36merge_oddeven_config_static_selectorELNS0_4arch9wavefront6targetE0EEEvSO_.num_vgpr, 0
	.set _ZN7rocprim17ROCPRIM_400000_NS6detail17trampoline_kernelINS0_14default_configENS1_38merge_sort_block_merge_config_selectorIjN6thrust23THRUST_200600_302600_NS5tupleIffNS6_9null_typeES8_S8_S8_S8_S8_S8_S8_EEEEZZNS1_27merge_sort_block_merge_implIS3_NS6_6detail15normal_iteratorINS6_10device_ptrIjEEEENSD_INSE_IS9_EEEEjNS1_19radix_merge_compareILb0ELb0EjNS0_19identity_decomposerEEEEE10hipError_tT0_T1_T2_jT3_P12ihipStream_tbPNSt15iterator_traitsISN_E10value_typeEPNST_ISO_E10value_typeEPSP_NS1_7vsmem_tEENKUlT_SN_SO_SP_E_clISG_PjSI_PS9_EESM_S12_SN_SO_SP_EUlS12_E1_NS1_11comp_targetILNS1_3genE5ELNS1_11target_archE942ELNS1_3gpuE9ELNS1_3repE0EEENS1_36merge_oddeven_config_static_selectorELNS0_4arch9wavefront6targetE0EEEvSO_.num_agpr, 0
	.set _ZN7rocprim17ROCPRIM_400000_NS6detail17trampoline_kernelINS0_14default_configENS1_38merge_sort_block_merge_config_selectorIjN6thrust23THRUST_200600_302600_NS5tupleIffNS6_9null_typeES8_S8_S8_S8_S8_S8_S8_EEEEZZNS1_27merge_sort_block_merge_implIS3_NS6_6detail15normal_iteratorINS6_10device_ptrIjEEEENSD_INSE_IS9_EEEEjNS1_19radix_merge_compareILb0ELb0EjNS0_19identity_decomposerEEEEE10hipError_tT0_T1_T2_jT3_P12ihipStream_tbPNSt15iterator_traitsISN_E10value_typeEPNST_ISO_E10value_typeEPSP_NS1_7vsmem_tEENKUlT_SN_SO_SP_E_clISG_PjSI_PS9_EESM_S12_SN_SO_SP_EUlS12_E1_NS1_11comp_targetILNS1_3genE5ELNS1_11target_archE942ELNS1_3gpuE9ELNS1_3repE0EEENS1_36merge_oddeven_config_static_selectorELNS0_4arch9wavefront6targetE0EEEvSO_.numbered_sgpr, 0
	.set _ZN7rocprim17ROCPRIM_400000_NS6detail17trampoline_kernelINS0_14default_configENS1_38merge_sort_block_merge_config_selectorIjN6thrust23THRUST_200600_302600_NS5tupleIffNS6_9null_typeES8_S8_S8_S8_S8_S8_S8_EEEEZZNS1_27merge_sort_block_merge_implIS3_NS6_6detail15normal_iteratorINS6_10device_ptrIjEEEENSD_INSE_IS9_EEEEjNS1_19radix_merge_compareILb0ELb0EjNS0_19identity_decomposerEEEEE10hipError_tT0_T1_T2_jT3_P12ihipStream_tbPNSt15iterator_traitsISN_E10value_typeEPNST_ISO_E10value_typeEPSP_NS1_7vsmem_tEENKUlT_SN_SO_SP_E_clISG_PjSI_PS9_EESM_S12_SN_SO_SP_EUlS12_E1_NS1_11comp_targetILNS1_3genE5ELNS1_11target_archE942ELNS1_3gpuE9ELNS1_3repE0EEENS1_36merge_oddeven_config_static_selectorELNS0_4arch9wavefront6targetE0EEEvSO_.num_named_barrier, 0
	.set _ZN7rocprim17ROCPRIM_400000_NS6detail17trampoline_kernelINS0_14default_configENS1_38merge_sort_block_merge_config_selectorIjN6thrust23THRUST_200600_302600_NS5tupleIffNS6_9null_typeES8_S8_S8_S8_S8_S8_S8_EEEEZZNS1_27merge_sort_block_merge_implIS3_NS6_6detail15normal_iteratorINS6_10device_ptrIjEEEENSD_INSE_IS9_EEEEjNS1_19radix_merge_compareILb0ELb0EjNS0_19identity_decomposerEEEEE10hipError_tT0_T1_T2_jT3_P12ihipStream_tbPNSt15iterator_traitsISN_E10value_typeEPNST_ISO_E10value_typeEPSP_NS1_7vsmem_tEENKUlT_SN_SO_SP_E_clISG_PjSI_PS9_EESM_S12_SN_SO_SP_EUlS12_E1_NS1_11comp_targetILNS1_3genE5ELNS1_11target_archE942ELNS1_3gpuE9ELNS1_3repE0EEENS1_36merge_oddeven_config_static_selectorELNS0_4arch9wavefront6targetE0EEEvSO_.private_seg_size, 0
	.set _ZN7rocprim17ROCPRIM_400000_NS6detail17trampoline_kernelINS0_14default_configENS1_38merge_sort_block_merge_config_selectorIjN6thrust23THRUST_200600_302600_NS5tupleIffNS6_9null_typeES8_S8_S8_S8_S8_S8_S8_EEEEZZNS1_27merge_sort_block_merge_implIS3_NS6_6detail15normal_iteratorINS6_10device_ptrIjEEEENSD_INSE_IS9_EEEEjNS1_19radix_merge_compareILb0ELb0EjNS0_19identity_decomposerEEEEE10hipError_tT0_T1_T2_jT3_P12ihipStream_tbPNSt15iterator_traitsISN_E10value_typeEPNST_ISO_E10value_typeEPSP_NS1_7vsmem_tEENKUlT_SN_SO_SP_E_clISG_PjSI_PS9_EESM_S12_SN_SO_SP_EUlS12_E1_NS1_11comp_targetILNS1_3genE5ELNS1_11target_archE942ELNS1_3gpuE9ELNS1_3repE0EEENS1_36merge_oddeven_config_static_selectorELNS0_4arch9wavefront6targetE0EEEvSO_.uses_vcc, 0
	.set _ZN7rocprim17ROCPRIM_400000_NS6detail17trampoline_kernelINS0_14default_configENS1_38merge_sort_block_merge_config_selectorIjN6thrust23THRUST_200600_302600_NS5tupleIffNS6_9null_typeES8_S8_S8_S8_S8_S8_S8_EEEEZZNS1_27merge_sort_block_merge_implIS3_NS6_6detail15normal_iteratorINS6_10device_ptrIjEEEENSD_INSE_IS9_EEEEjNS1_19radix_merge_compareILb0ELb0EjNS0_19identity_decomposerEEEEE10hipError_tT0_T1_T2_jT3_P12ihipStream_tbPNSt15iterator_traitsISN_E10value_typeEPNST_ISO_E10value_typeEPSP_NS1_7vsmem_tEENKUlT_SN_SO_SP_E_clISG_PjSI_PS9_EESM_S12_SN_SO_SP_EUlS12_E1_NS1_11comp_targetILNS1_3genE5ELNS1_11target_archE942ELNS1_3gpuE9ELNS1_3repE0EEENS1_36merge_oddeven_config_static_selectorELNS0_4arch9wavefront6targetE0EEEvSO_.uses_flat_scratch, 0
	.set _ZN7rocprim17ROCPRIM_400000_NS6detail17trampoline_kernelINS0_14default_configENS1_38merge_sort_block_merge_config_selectorIjN6thrust23THRUST_200600_302600_NS5tupleIffNS6_9null_typeES8_S8_S8_S8_S8_S8_S8_EEEEZZNS1_27merge_sort_block_merge_implIS3_NS6_6detail15normal_iteratorINS6_10device_ptrIjEEEENSD_INSE_IS9_EEEEjNS1_19radix_merge_compareILb0ELb0EjNS0_19identity_decomposerEEEEE10hipError_tT0_T1_T2_jT3_P12ihipStream_tbPNSt15iterator_traitsISN_E10value_typeEPNST_ISO_E10value_typeEPSP_NS1_7vsmem_tEENKUlT_SN_SO_SP_E_clISG_PjSI_PS9_EESM_S12_SN_SO_SP_EUlS12_E1_NS1_11comp_targetILNS1_3genE5ELNS1_11target_archE942ELNS1_3gpuE9ELNS1_3repE0EEENS1_36merge_oddeven_config_static_selectorELNS0_4arch9wavefront6targetE0EEEvSO_.has_dyn_sized_stack, 0
	.set _ZN7rocprim17ROCPRIM_400000_NS6detail17trampoline_kernelINS0_14default_configENS1_38merge_sort_block_merge_config_selectorIjN6thrust23THRUST_200600_302600_NS5tupleIffNS6_9null_typeES8_S8_S8_S8_S8_S8_S8_EEEEZZNS1_27merge_sort_block_merge_implIS3_NS6_6detail15normal_iteratorINS6_10device_ptrIjEEEENSD_INSE_IS9_EEEEjNS1_19radix_merge_compareILb0ELb0EjNS0_19identity_decomposerEEEEE10hipError_tT0_T1_T2_jT3_P12ihipStream_tbPNSt15iterator_traitsISN_E10value_typeEPNST_ISO_E10value_typeEPSP_NS1_7vsmem_tEENKUlT_SN_SO_SP_E_clISG_PjSI_PS9_EESM_S12_SN_SO_SP_EUlS12_E1_NS1_11comp_targetILNS1_3genE5ELNS1_11target_archE942ELNS1_3gpuE9ELNS1_3repE0EEENS1_36merge_oddeven_config_static_selectorELNS0_4arch9wavefront6targetE0EEEvSO_.has_recursion, 0
	.set _ZN7rocprim17ROCPRIM_400000_NS6detail17trampoline_kernelINS0_14default_configENS1_38merge_sort_block_merge_config_selectorIjN6thrust23THRUST_200600_302600_NS5tupleIffNS6_9null_typeES8_S8_S8_S8_S8_S8_S8_EEEEZZNS1_27merge_sort_block_merge_implIS3_NS6_6detail15normal_iteratorINS6_10device_ptrIjEEEENSD_INSE_IS9_EEEEjNS1_19radix_merge_compareILb0ELb0EjNS0_19identity_decomposerEEEEE10hipError_tT0_T1_T2_jT3_P12ihipStream_tbPNSt15iterator_traitsISN_E10value_typeEPNST_ISO_E10value_typeEPSP_NS1_7vsmem_tEENKUlT_SN_SO_SP_E_clISG_PjSI_PS9_EESM_S12_SN_SO_SP_EUlS12_E1_NS1_11comp_targetILNS1_3genE5ELNS1_11target_archE942ELNS1_3gpuE9ELNS1_3repE0EEENS1_36merge_oddeven_config_static_selectorELNS0_4arch9wavefront6targetE0EEEvSO_.has_indirect_call, 0
	.section	.AMDGPU.csdata,"",@progbits
; Kernel info:
; codeLenInByte = 0
; TotalNumSgprs: 0
; NumVgprs: 0
; ScratchSize: 0
; MemoryBound: 0
; FloatMode: 240
; IeeeMode: 1
; LDSByteSize: 0 bytes/workgroup (compile time only)
; SGPRBlocks: 0
; VGPRBlocks: 0
; NumSGPRsForWavesPerEU: 1
; NumVGPRsForWavesPerEU: 1
; Occupancy: 16
; WaveLimiterHint : 0
; COMPUTE_PGM_RSRC2:SCRATCH_EN: 0
; COMPUTE_PGM_RSRC2:USER_SGPR: 2
; COMPUTE_PGM_RSRC2:TRAP_HANDLER: 0
; COMPUTE_PGM_RSRC2:TGID_X_EN: 1
; COMPUTE_PGM_RSRC2:TGID_Y_EN: 0
; COMPUTE_PGM_RSRC2:TGID_Z_EN: 0
; COMPUTE_PGM_RSRC2:TIDIG_COMP_CNT: 0
	.section	.text._ZN7rocprim17ROCPRIM_400000_NS6detail17trampoline_kernelINS0_14default_configENS1_38merge_sort_block_merge_config_selectorIjN6thrust23THRUST_200600_302600_NS5tupleIffNS6_9null_typeES8_S8_S8_S8_S8_S8_S8_EEEEZZNS1_27merge_sort_block_merge_implIS3_NS6_6detail15normal_iteratorINS6_10device_ptrIjEEEENSD_INSE_IS9_EEEEjNS1_19radix_merge_compareILb0ELb0EjNS0_19identity_decomposerEEEEE10hipError_tT0_T1_T2_jT3_P12ihipStream_tbPNSt15iterator_traitsISN_E10value_typeEPNST_ISO_E10value_typeEPSP_NS1_7vsmem_tEENKUlT_SN_SO_SP_E_clISG_PjSI_PS9_EESM_S12_SN_SO_SP_EUlS12_E1_NS1_11comp_targetILNS1_3genE4ELNS1_11target_archE910ELNS1_3gpuE8ELNS1_3repE0EEENS1_36merge_oddeven_config_static_selectorELNS0_4arch9wavefront6targetE0EEEvSO_,"axG",@progbits,_ZN7rocprim17ROCPRIM_400000_NS6detail17trampoline_kernelINS0_14default_configENS1_38merge_sort_block_merge_config_selectorIjN6thrust23THRUST_200600_302600_NS5tupleIffNS6_9null_typeES8_S8_S8_S8_S8_S8_S8_EEEEZZNS1_27merge_sort_block_merge_implIS3_NS6_6detail15normal_iteratorINS6_10device_ptrIjEEEENSD_INSE_IS9_EEEEjNS1_19radix_merge_compareILb0ELb0EjNS0_19identity_decomposerEEEEE10hipError_tT0_T1_T2_jT3_P12ihipStream_tbPNSt15iterator_traitsISN_E10value_typeEPNST_ISO_E10value_typeEPSP_NS1_7vsmem_tEENKUlT_SN_SO_SP_E_clISG_PjSI_PS9_EESM_S12_SN_SO_SP_EUlS12_E1_NS1_11comp_targetILNS1_3genE4ELNS1_11target_archE910ELNS1_3gpuE8ELNS1_3repE0EEENS1_36merge_oddeven_config_static_selectorELNS0_4arch9wavefront6targetE0EEEvSO_,comdat
	.protected	_ZN7rocprim17ROCPRIM_400000_NS6detail17trampoline_kernelINS0_14default_configENS1_38merge_sort_block_merge_config_selectorIjN6thrust23THRUST_200600_302600_NS5tupleIffNS6_9null_typeES8_S8_S8_S8_S8_S8_S8_EEEEZZNS1_27merge_sort_block_merge_implIS3_NS6_6detail15normal_iteratorINS6_10device_ptrIjEEEENSD_INSE_IS9_EEEEjNS1_19radix_merge_compareILb0ELb0EjNS0_19identity_decomposerEEEEE10hipError_tT0_T1_T2_jT3_P12ihipStream_tbPNSt15iterator_traitsISN_E10value_typeEPNST_ISO_E10value_typeEPSP_NS1_7vsmem_tEENKUlT_SN_SO_SP_E_clISG_PjSI_PS9_EESM_S12_SN_SO_SP_EUlS12_E1_NS1_11comp_targetILNS1_3genE4ELNS1_11target_archE910ELNS1_3gpuE8ELNS1_3repE0EEENS1_36merge_oddeven_config_static_selectorELNS0_4arch9wavefront6targetE0EEEvSO_ ; -- Begin function _ZN7rocprim17ROCPRIM_400000_NS6detail17trampoline_kernelINS0_14default_configENS1_38merge_sort_block_merge_config_selectorIjN6thrust23THRUST_200600_302600_NS5tupleIffNS6_9null_typeES8_S8_S8_S8_S8_S8_S8_EEEEZZNS1_27merge_sort_block_merge_implIS3_NS6_6detail15normal_iteratorINS6_10device_ptrIjEEEENSD_INSE_IS9_EEEEjNS1_19radix_merge_compareILb0ELb0EjNS0_19identity_decomposerEEEEE10hipError_tT0_T1_T2_jT3_P12ihipStream_tbPNSt15iterator_traitsISN_E10value_typeEPNST_ISO_E10value_typeEPSP_NS1_7vsmem_tEENKUlT_SN_SO_SP_E_clISG_PjSI_PS9_EESM_S12_SN_SO_SP_EUlS12_E1_NS1_11comp_targetILNS1_3genE4ELNS1_11target_archE910ELNS1_3gpuE8ELNS1_3repE0EEENS1_36merge_oddeven_config_static_selectorELNS0_4arch9wavefront6targetE0EEEvSO_
	.globl	_ZN7rocprim17ROCPRIM_400000_NS6detail17trampoline_kernelINS0_14default_configENS1_38merge_sort_block_merge_config_selectorIjN6thrust23THRUST_200600_302600_NS5tupleIffNS6_9null_typeES8_S8_S8_S8_S8_S8_S8_EEEEZZNS1_27merge_sort_block_merge_implIS3_NS6_6detail15normal_iteratorINS6_10device_ptrIjEEEENSD_INSE_IS9_EEEEjNS1_19radix_merge_compareILb0ELb0EjNS0_19identity_decomposerEEEEE10hipError_tT0_T1_T2_jT3_P12ihipStream_tbPNSt15iterator_traitsISN_E10value_typeEPNST_ISO_E10value_typeEPSP_NS1_7vsmem_tEENKUlT_SN_SO_SP_E_clISG_PjSI_PS9_EESM_S12_SN_SO_SP_EUlS12_E1_NS1_11comp_targetILNS1_3genE4ELNS1_11target_archE910ELNS1_3gpuE8ELNS1_3repE0EEENS1_36merge_oddeven_config_static_selectorELNS0_4arch9wavefront6targetE0EEEvSO_
	.p2align	8
	.type	_ZN7rocprim17ROCPRIM_400000_NS6detail17trampoline_kernelINS0_14default_configENS1_38merge_sort_block_merge_config_selectorIjN6thrust23THRUST_200600_302600_NS5tupleIffNS6_9null_typeES8_S8_S8_S8_S8_S8_S8_EEEEZZNS1_27merge_sort_block_merge_implIS3_NS6_6detail15normal_iteratorINS6_10device_ptrIjEEEENSD_INSE_IS9_EEEEjNS1_19radix_merge_compareILb0ELb0EjNS0_19identity_decomposerEEEEE10hipError_tT0_T1_T2_jT3_P12ihipStream_tbPNSt15iterator_traitsISN_E10value_typeEPNST_ISO_E10value_typeEPSP_NS1_7vsmem_tEENKUlT_SN_SO_SP_E_clISG_PjSI_PS9_EESM_S12_SN_SO_SP_EUlS12_E1_NS1_11comp_targetILNS1_3genE4ELNS1_11target_archE910ELNS1_3gpuE8ELNS1_3repE0EEENS1_36merge_oddeven_config_static_selectorELNS0_4arch9wavefront6targetE0EEEvSO_,@function
_ZN7rocprim17ROCPRIM_400000_NS6detail17trampoline_kernelINS0_14default_configENS1_38merge_sort_block_merge_config_selectorIjN6thrust23THRUST_200600_302600_NS5tupleIffNS6_9null_typeES8_S8_S8_S8_S8_S8_S8_EEEEZZNS1_27merge_sort_block_merge_implIS3_NS6_6detail15normal_iteratorINS6_10device_ptrIjEEEENSD_INSE_IS9_EEEEjNS1_19radix_merge_compareILb0ELb0EjNS0_19identity_decomposerEEEEE10hipError_tT0_T1_T2_jT3_P12ihipStream_tbPNSt15iterator_traitsISN_E10value_typeEPNST_ISO_E10value_typeEPSP_NS1_7vsmem_tEENKUlT_SN_SO_SP_E_clISG_PjSI_PS9_EESM_S12_SN_SO_SP_EUlS12_E1_NS1_11comp_targetILNS1_3genE4ELNS1_11target_archE910ELNS1_3gpuE8ELNS1_3repE0EEENS1_36merge_oddeven_config_static_selectorELNS0_4arch9wavefront6targetE0EEEvSO_: ; @_ZN7rocprim17ROCPRIM_400000_NS6detail17trampoline_kernelINS0_14default_configENS1_38merge_sort_block_merge_config_selectorIjN6thrust23THRUST_200600_302600_NS5tupleIffNS6_9null_typeES8_S8_S8_S8_S8_S8_S8_EEEEZZNS1_27merge_sort_block_merge_implIS3_NS6_6detail15normal_iteratorINS6_10device_ptrIjEEEENSD_INSE_IS9_EEEEjNS1_19radix_merge_compareILb0ELb0EjNS0_19identity_decomposerEEEEE10hipError_tT0_T1_T2_jT3_P12ihipStream_tbPNSt15iterator_traitsISN_E10value_typeEPNST_ISO_E10value_typeEPSP_NS1_7vsmem_tEENKUlT_SN_SO_SP_E_clISG_PjSI_PS9_EESM_S12_SN_SO_SP_EUlS12_E1_NS1_11comp_targetILNS1_3genE4ELNS1_11target_archE910ELNS1_3gpuE8ELNS1_3repE0EEENS1_36merge_oddeven_config_static_selectorELNS0_4arch9wavefront6targetE0EEEvSO_
; %bb.0:
	.section	.rodata,"a",@progbits
	.p2align	6, 0x0
	.amdhsa_kernel _ZN7rocprim17ROCPRIM_400000_NS6detail17trampoline_kernelINS0_14default_configENS1_38merge_sort_block_merge_config_selectorIjN6thrust23THRUST_200600_302600_NS5tupleIffNS6_9null_typeES8_S8_S8_S8_S8_S8_S8_EEEEZZNS1_27merge_sort_block_merge_implIS3_NS6_6detail15normal_iteratorINS6_10device_ptrIjEEEENSD_INSE_IS9_EEEEjNS1_19radix_merge_compareILb0ELb0EjNS0_19identity_decomposerEEEEE10hipError_tT0_T1_T2_jT3_P12ihipStream_tbPNSt15iterator_traitsISN_E10value_typeEPNST_ISO_E10value_typeEPSP_NS1_7vsmem_tEENKUlT_SN_SO_SP_E_clISG_PjSI_PS9_EESM_S12_SN_SO_SP_EUlS12_E1_NS1_11comp_targetILNS1_3genE4ELNS1_11target_archE910ELNS1_3gpuE8ELNS1_3repE0EEENS1_36merge_oddeven_config_static_selectorELNS0_4arch9wavefront6targetE0EEEvSO_
		.amdhsa_group_segment_fixed_size 0
		.amdhsa_private_segment_fixed_size 0
		.amdhsa_kernarg_size 48
		.amdhsa_user_sgpr_count 2
		.amdhsa_user_sgpr_dispatch_ptr 0
		.amdhsa_user_sgpr_queue_ptr 0
		.amdhsa_user_sgpr_kernarg_segment_ptr 1
		.amdhsa_user_sgpr_dispatch_id 0
		.amdhsa_user_sgpr_private_segment_size 0
		.amdhsa_wavefront_size32 1
		.amdhsa_uses_dynamic_stack 0
		.amdhsa_enable_private_segment 0
		.amdhsa_system_sgpr_workgroup_id_x 1
		.amdhsa_system_sgpr_workgroup_id_y 0
		.amdhsa_system_sgpr_workgroup_id_z 0
		.amdhsa_system_sgpr_workgroup_info 0
		.amdhsa_system_vgpr_workitem_id 0
		.amdhsa_next_free_vgpr 1
		.amdhsa_next_free_sgpr 1
		.amdhsa_reserve_vcc 0
		.amdhsa_float_round_mode_32 0
		.amdhsa_float_round_mode_16_64 0
		.amdhsa_float_denorm_mode_32 3
		.amdhsa_float_denorm_mode_16_64 3
		.amdhsa_fp16_overflow 0
		.amdhsa_workgroup_processor_mode 1
		.amdhsa_memory_ordered 1
		.amdhsa_forward_progress 1
		.amdhsa_inst_pref_size 0
		.amdhsa_round_robin_scheduling 0
		.amdhsa_exception_fp_ieee_invalid_op 0
		.amdhsa_exception_fp_denorm_src 0
		.amdhsa_exception_fp_ieee_div_zero 0
		.amdhsa_exception_fp_ieee_overflow 0
		.amdhsa_exception_fp_ieee_underflow 0
		.amdhsa_exception_fp_ieee_inexact 0
		.amdhsa_exception_int_div_zero 0
	.end_amdhsa_kernel
	.section	.text._ZN7rocprim17ROCPRIM_400000_NS6detail17trampoline_kernelINS0_14default_configENS1_38merge_sort_block_merge_config_selectorIjN6thrust23THRUST_200600_302600_NS5tupleIffNS6_9null_typeES8_S8_S8_S8_S8_S8_S8_EEEEZZNS1_27merge_sort_block_merge_implIS3_NS6_6detail15normal_iteratorINS6_10device_ptrIjEEEENSD_INSE_IS9_EEEEjNS1_19radix_merge_compareILb0ELb0EjNS0_19identity_decomposerEEEEE10hipError_tT0_T1_T2_jT3_P12ihipStream_tbPNSt15iterator_traitsISN_E10value_typeEPNST_ISO_E10value_typeEPSP_NS1_7vsmem_tEENKUlT_SN_SO_SP_E_clISG_PjSI_PS9_EESM_S12_SN_SO_SP_EUlS12_E1_NS1_11comp_targetILNS1_3genE4ELNS1_11target_archE910ELNS1_3gpuE8ELNS1_3repE0EEENS1_36merge_oddeven_config_static_selectorELNS0_4arch9wavefront6targetE0EEEvSO_,"axG",@progbits,_ZN7rocprim17ROCPRIM_400000_NS6detail17trampoline_kernelINS0_14default_configENS1_38merge_sort_block_merge_config_selectorIjN6thrust23THRUST_200600_302600_NS5tupleIffNS6_9null_typeES8_S8_S8_S8_S8_S8_S8_EEEEZZNS1_27merge_sort_block_merge_implIS3_NS6_6detail15normal_iteratorINS6_10device_ptrIjEEEENSD_INSE_IS9_EEEEjNS1_19radix_merge_compareILb0ELb0EjNS0_19identity_decomposerEEEEE10hipError_tT0_T1_T2_jT3_P12ihipStream_tbPNSt15iterator_traitsISN_E10value_typeEPNST_ISO_E10value_typeEPSP_NS1_7vsmem_tEENKUlT_SN_SO_SP_E_clISG_PjSI_PS9_EESM_S12_SN_SO_SP_EUlS12_E1_NS1_11comp_targetILNS1_3genE4ELNS1_11target_archE910ELNS1_3gpuE8ELNS1_3repE0EEENS1_36merge_oddeven_config_static_selectorELNS0_4arch9wavefront6targetE0EEEvSO_,comdat
.Lfunc_end68:
	.size	_ZN7rocprim17ROCPRIM_400000_NS6detail17trampoline_kernelINS0_14default_configENS1_38merge_sort_block_merge_config_selectorIjN6thrust23THRUST_200600_302600_NS5tupleIffNS6_9null_typeES8_S8_S8_S8_S8_S8_S8_EEEEZZNS1_27merge_sort_block_merge_implIS3_NS6_6detail15normal_iteratorINS6_10device_ptrIjEEEENSD_INSE_IS9_EEEEjNS1_19radix_merge_compareILb0ELb0EjNS0_19identity_decomposerEEEEE10hipError_tT0_T1_T2_jT3_P12ihipStream_tbPNSt15iterator_traitsISN_E10value_typeEPNST_ISO_E10value_typeEPSP_NS1_7vsmem_tEENKUlT_SN_SO_SP_E_clISG_PjSI_PS9_EESM_S12_SN_SO_SP_EUlS12_E1_NS1_11comp_targetILNS1_3genE4ELNS1_11target_archE910ELNS1_3gpuE8ELNS1_3repE0EEENS1_36merge_oddeven_config_static_selectorELNS0_4arch9wavefront6targetE0EEEvSO_, .Lfunc_end68-_ZN7rocprim17ROCPRIM_400000_NS6detail17trampoline_kernelINS0_14default_configENS1_38merge_sort_block_merge_config_selectorIjN6thrust23THRUST_200600_302600_NS5tupleIffNS6_9null_typeES8_S8_S8_S8_S8_S8_S8_EEEEZZNS1_27merge_sort_block_merge_implIS3_NS6_6detail15normal_iteratorINS6_10device_ptrIjEEEENSD_INSE_IS9_EEEEjNS1_19radix_merge_compareILb0ELb0EjNS0_19identity_decomposerEEEEE10hipError_tT0_T1_T2_jT3_P12ihipStream_tbPNSt15iterator_traitsISN_E10value_typeEPNST_ISO_E10value_typeEPSP_NS1_7vsmem_tEENKUlT_SN_SO_SP_E_clISG_PjSI_PS9_EESM_S12_SN_SO_SP_EUlS12_E1_NS1_11comp_targetILNS1_3genE4ELNS1_11target_archE910ELNS1_3gpuE8ELNS1_3repE0EEENS1_36merge_oddeven_config_static_selectorELNS0_4arch9wavefront6targetE0EEEvSO_
                                        ; -- End function
	.set _ZN7rocprim17ROCPRIM_400000_NS6detail17trampoline_kernelINS0_14default_configENS1_38merge_sort_block_merge_config_selectorIjN6thrust23THRUST_200600_302600_NS5tupleIffNS6_9null_typeES8_S8_S8_S8_S8_S8_S8_EEEEZZNS1_27merge_sort_block_merge_implIS3_NS6_6detail15normal_iteratorINS6_10device_ptrIjEEEENSD_INSE_IS9_EEEEjNS1_19radix_merge_compareILb0ELb0EjNS0_19identity_decomposerEEEEE10hipError_tT0_T1_T2_jT3_P12ihipStream_tbPNSt15iterator_traitsISN_E10value_typeEPNST_ISO_E10value_typeEPSP_NS1_7vsmem_tEENKUlT_SN_SO_SP_E_clISG_PjSI_PS9_EESM_S12_SN_SO_SP_EUlS12_E1_NS1_11comp_targetILNS1_3genE4ELNS1_11target_archE910ELNS1_3gpuE8ELNS1_3repE0EEENS1_36merge_oddeven_config_static_selectorELNS0_4arch9wavefront6targetE0EEEvSO_.num_vgpr, 0
	.set _ZN7rocprim17ROCPRIM_400000_NS6detail17trampoline_kernelINS0_14default_configENS1_38merge_sort_block_merge_config_selectorIjN6thrust23THRUST_200600_302600_NS5tupleIffNS6_9null_typeES8_S8_S8_S8_S8_S8_S8_EEEEZZNS1_27merge_sort_block_merge_implIS3_NS6_6detail15normal_iteratorINS6_10device_ptrIjEEEENSD_INSE_IS9_EEEEjNS1_19radix_merge_compareILb0ELb0EjNS0_19identity_decomposerEEEEE10hipError_tT0_T1_T2_jT3_P12ihipStream_tbPNSt15iterator_traitsISN_E10value_typeEPNST_ISO_E10value_typeEPSP_NS1_7vsmem_tEENKUlT_SN_SO_SP_E_clISG_PjSI_PS9_EESM_S12_SN_SO_SP_EUlS12_E1_NS1_11comp_targetILNS1_3genE4ELNS1_11target_archE910ELNS1_3gpuE8ELNS1_3repE0EEENS1_36merge_oddeven_config_static_selectorELNS0_4arch9wavefront6targetE0EEEvSO_.num_agpr, 0
	.set _ZN7rocprim17ROCPRIM_400000_NS6detail17trampoline_kernelINS0_14default_configENS1_38merge_sort_block_merge_config_selectorIjN6thrust23THRUST_200600_302600_NS5tupleIffNS6_9null_typeES8_S8_S8_S8_S8_S8_S8_EEEEZZNS1_27merge_sort_block_merge_implIS3_NS6_6detail15normal_iteratorINS6_10device_ptrIjEEEENSD_INSE_IS9_EEEEjNS1_19radix_merge_compareILb0ELb0EjNS0_19identity_decomposerEEEEE10hipError_tT0_T1_T2_jT3_P12ihipStream_tbPNSt15iterator_traitsISN_E10value_typeEPNST_ISO_E10value_typeEPSP_NS1_7vsmem_tEENKUlT_SN_SO_SP_E_clISG_PjSI_PS9_EESM_S12_SN_SO_SP_EUlS12_E1_NS1_11comp_targetILNS1_3genE4ELNS1_11target_archE910ELNS1_3gpuE8ELNS1_3repE0EEENS1_36merge_oddeven_config_static_selectorELNS0_4arch9wavefront6targetE0EEEvSO_.numbered_sgpr, 0
	.set _ZN7rocprim17ROCPRIM_400000_NS6detail17trampoline_kernelINS0_14default_configENS1_38merge_sort_block_merge_config_selectorIjN6thrust23THRUST_200600_302600_NS5tupleIffNS6_9null_typeES8_S8_S8_S8_S8_S8_S8_EEEEZZNS1_27merge_sort_block_merge_implIS3_NS6_6detail15normal_iteratorINS6_10device_ptrIjEEEENSD_INSE_IS9_EEEEjNS1_19radix_merge_compareILb0ELb0EjNS0_19identity_decomposerEEEEE10hipError_tT0_T1_T2_jT3_P12ihipStream_tbPNSt15iterator_traitsISN_E10value_typeEPNST_ISO_E10value_typeEPSP_NS1_7vsmem_tEENKUlT_SN_SO_SP_E_clISG_PjSI_PS9_EESM_S12_SN_SO_SP_EUlS12_E1_NS1_11comp_targetILNS1_3genE4ELNS1_11target_archE910ELNS1_3gpuE8ELNS1_3repE0EEENS1_36merge_oddeven_config_static_selectorELNS0_4arch9wavefront6targetE0EEEvSO_.num_named_barrier, 0
	.set _ZN7rocprim17ROCPRIM_400000_NS6detail17trampoline_kernelINS0_14default_configENS1_38merge_sort_block_merge_config_selectorIjN6thrust23THRUST_200600_302600_NS5tupleIffNS6_9null_typeES8_S8_S8_S8_S8_S8_S8_EEEEZZNS1_27merge_sort_block_merge_implIS3_NS6_6detail15normal_iteratorINS6_10device_ptrIjEEEENSD_INSE_IS9_EEEEjNS1_19radix_merge_compareILb0ELb0EjNS0_19identity_decomposerEEEEE10hipError_tT0_T1_T2_jT3_P12ihipStream_tbPNSt15iterator_traitsISN_E10value_typeEPNST_ISO_E10value_typeEPSP_NS1_7vsmem_tEENKUlT_SN_SO_SP_E_clISG_PjSI_PS9_EESM_S12_SN_SO_SP_EUlS12_E1_NS1_11comp_targetILNS1_3genE4ELNS1_11target_archE910ELNS1_3gpuE8ELNS1_3repE0EEENS1_36merge_oddeven_config_static_selectorELNS0_4arch9wavefront6targetE0EEEvSO_.private_seg_size, 0
	.set _ZN7rocprim17ROCPRIM_400000_NS6detail17trampoline_kernelINS0_14default_configENS1_38merge_sort_block_merge_config_selectorIjN6thrust23THRUST_200600_302600_NS5tupleIffNS6_9null_typeES8_S8_S8_S8_S8_S8_S8_EEEEZZNS1_27merge_sort_block_merge_implIS3_NS6_6detail15normal_iteratorINS6_10device_ptrIjEEEENSD_INSE_IS9_EEEEjNS1_19radix_merge_compareILb0ELb0EjNS0_19identity_decomposerEEEEE10hipError_tT0_T1_T2_jT3_P12ihipStream_tbPNSt15iterator_traitsISN_E10value_typeEPNST_ISO_E10value_typeEPSP_NS1_7vsmem_tEENKUlT_SN_SO_SP_E_clISG_PjSI_PS9_EESM_S12_SN_SO_SP_EUlS12_E1_NS1_11comp_targetILNS1_3genE4ELNS1_11target_archE910ELNS1_3gpuE8ELNS1_3repE0EEENS1_36merge_oddeven_config_static_selectorELNS0_4arch9wavefront6targetE0EEEvSO_.uses_vcc, 0
	.set _ZN7rocprim17ROCPRIM_400000_NS6detail17trampoline_kernelINS0_14default_configENS1_38merge_sort_block_merge_config_selectorIjN6thrust23THRUST_200600_302600_NS5tupleIffNS6_9null_typeES8_S8_S8_S8_S8_S8_S8_EEEEZZNS1_27merge_sort_block_merge_implIS3_NS6_6detail15normal_iteratorINS6_10device_ptrIjEEEENSD_INSE_IS9_EEEEjNS1_19radix_merge_compareILb0ELb0EjNS0_19identity_decomposerEEEEE10hipError_tT0_T1_T2_jT3_P12ihipStream_tbPNSt15iterator_traitsISN_E10value_typeEPNST_ISO_E10value_typeEPSP_NS1_7vsmem_tEENKUlT_SN_SO_SP_E_clISG_PjSI_PS9_EESM_S12_SN_SO_SP_EUlS12_E1_NS1_11comp_targetILNS1_3genE4ELNS1_11target_archE910ELNS1_3gpuE8ELNS1_3repE0EEENS1_36merge_oddeven_config_static_selectorELNS0_4arch9wavefront6targetE0EEEvSO_.uses_flat_scratch, 0
	.set _ZN7rocprim17ROCPRIM_400000_NS6detail17trampoline_kernelINS0_14default_configENS1_38merge_sort_block_merge_config_selectorIjN6thrust23THRUST_200600_302600_NS5tupleIffNS6_9null_typeES8_S8_S8_S8_S8_S8_S8_EEEEZZNS1_27merge_sort_block_merge_implIS3_NS6_6detail15normal_iteratorINS6_10device_ptrIjEEEENSD_INSE_IS9_EEEEjNS1_19radix_merge_compareILb0ELb0EjNS0_19identity_decomposerEEEEE10hipError_tT0_T1_T2_jT3_P12ihipStream_tbPNSt15iterator_traitsISN_E10value_typeEPNST_ISO_E10value_typeEPSP_NS1_7vsmem_tEENKUlT_SN_SO_SP_E_clISG_PjSI_PS9_EESM_S12_SN_SO_SP_EUlS12_E1_NS1_11comp_targetILNS1_3genE4ELNS1_11target_archE910ELNS1_3gpuE8ELNS1_3repE0EEENS1_36merge_oddeven_config_static_selectorELNS0_4arch9wavefront6targetE0EEEvSO_.has_dyn_sized_stack, 0
	.set _ZN7rocprim17ROCPRIM_400000_NS6detail17trampoline_kernelINS0_14default_configENS1_38merge_sort_block_merge_config_selectorIjN6thrust23THRUST_200600_302600_NS5tupleIffNS6_9null_typeES8_S8_S8_S8_S8_S8_S8_EEEEZZNS1_27merge_sort_block_merge_implIS3_NS6_6detail15normal_iteratorINS6_10device_ptrIjEEEENSD_INSE_IS9_EEEEjNS1_19radix_merge_compareILb0ELb0EjNS0_19identity_decomposerEEEEE10hipError_tT0_T1_T2_jT3_P12ihipStream_tbPNSt15iterator_traitsISN_E10value_typeEPNST_ISO_E10value_typeEPSP_NS1_7vsmem_tEENKUlT_SN_SO_SP_E_clISG_PjSI_PS9_EESM_S12_SN_SO_SP_EUlS12_E1_NS1_11comp_targetILNS1_3genE4ELNS1_11target_archE910ELNS1_3gpuE8ELNS1_3repE0EEENS1_36merge_oddeven_config_static_selectorELNS0_4arch9wavefront6targetE0EEEvSO_.has_recursion, 0
	.set _ZN7rocprim17ROCPRIM_400000_NS6detail17trampoline_kernelINS0_14default_configENS1_38merge_sort_block_merge_config_selectorIjN6thrust23THRUST_200600_302600_NS5tupleIffNS6_9null_typeES8_S8_S8_S8_S8_S8_S8_EEEEZZNS1_27merge_sort_block_merge_implIS3_NS6_6detail15normal_iteratorINS6_10device_ptrIjEEEENSD_INSE_IS9_EEEEjNS1_19radix_merge_compareILb0ELb0EjNS0_19identity_decomposerEEEEE10hipError_tT0_T1_T2_jT3_P12ihipStream_tbPNSt15iterator_traitsISN_E10value_typeEPNST_ISO_E10value_typeEPSP_NS1_7vsmem_tEENKUlT_SN_SO_SP_E_clISG_PjSI_PS9_EESM_S12_SN_SO_SP_EUlS12_E1_NS1_11comp_targetILNS1_3genE4ELNS1_11target_archE910ELNS1_3gpuE8ELNS1_3repE0EEENS1_36merge_oddeven_config_static_selectorELNS0_4arch9wavefront6targetE0EEEvSO_.has_indirect_call, 0
	.section	.AMDGPU.csdata,"",@progbits
; Kernel info:
; codeLenInByte = 0
; TotalNumSgprs: 0
; NumVgprs: 0
; ScratchSize: 0
; MemoryBound: 0
; FloatMode: 240
; IeeeMode: 1
; LDSByteSize: 0 bytes/workgroup (compile time only)
; SGPRBlocks: 0
; VGPRBlocks: 0
; NumSGPRsForWavesPerEU: 1
; NumVGPRsForWavesPerEU: 1
; Occupancy: 16
; WaveLimiterHint : 0
; COMPUTE_PGM_RSRC2:SCRATCH_EN: 0
; COMPUTE_PGM_RSRC2:USER_SGPR: 2
; COMPUTE_PGM_RSRC2:TRAP_HANDLER: 0
; COMPUTE_PGM_RSRC2:TGID_X_EN: 1
; COMPUTE_PGM_RSRC2:TGID_Y_EN: 0
; COMPUTE_PGM_RSRC2:TGID_Z_EN: 0
; COMPUTE_PGM_RSRC2:TIDIG_COMP_CNT: 0
	.section	.text._ZN7rocprim17ROCPRIM_400000_NS6detail17trampoline_kernelINS0_14default_configENS1_38merge_sort_block_merge_config_selectorIjN6thrust23THRUST_200600_302600_NS5tupleIffNS6_9null_typeES8_S8_S8_S8_S8_S8_S8_EEEEZZNS1_27merge_sort_block_merge_implIS3_NS6_6detail15normal_iteratorINS6_10device_ptrIjEEEENSD_INSE_IS9_EEEEjNS1_19radix_merge_compareILb0ELb0EjNS0_19identity_decomposerEEEEE10hipError_tT0_T1_T2_jT3_P12ihipStream_tbPNSt15iterator_traitsISN_E10value_typeEPNST_ISO_E10value_typeEPSP_NS1_7vsmem_tEENKUlT_SN_SO_SP_E_clISG_PjSI_PS9_EESM_S12_SN_SO_SP_EUlS12_E1_NS1_11comp_targetILNS1_3genE3ELNS1_11target_archE908ELNS1_3gpuE7ELNS1_3repE0EEENS1_36merge_oddeven_config_static_selectorELNS0_4arch9wavefront6targetE0EEEvSO_,"axG",@progbits,_ZN7rocprim17ROCPRIM_400000_NS6detail17trampoline_kernelINS0_14default_configENS1_38merge_sort_block_merge_config_selectorIjN6thrust23THRUST_200600_302600_NS5tupleIffNS6_9null_typeES8_S8_S8_S8_S8_S8_S8_EEEEZZNS1_27merge_sort_block_merge_implIS3_NS6_6detail15normal_iteratorINS6_10device_ptrIjEEEENSD_INSE_IS9_EEEEjNS1_19radix_merge_compareILb0ELb0EjNS0_19identity_decomposerEEEEE10hipError_tT0_T1_T2_jT3_P12ihipStream_tbPNSt15iterator_traitsISN_E10value_typeEPNST_ISO_E10value_typeEPSP_NS1_7vsmem_tEENKUlT_SN_SO_SP_E_clISG_PjSI_PS9_EESM_S12_SN_SO_SP_EUlS12_E1_NS1_11comp_targetILNS1_3genE3ELNS1_11target_archE908ELNS1_3gpuE7ELNS1_3repE0EEENS1_36merge_oddeven_config_static_selectorELNS0_4arch9wavefront6targetE0EEEvSO_,comdat
	.protected	_ZN7rocprim17ROCPRIM_400000_NS6detail17trampoline_kernelINS0_14default_configENS1_38merge_sort_block_merge_config_selectorIjN6thrust23THRUST_200600_302600_NS5tupleIffNS6_9null_typeES8_S8_S8_S8_S8_S8_S8_EEEEZZNS1_27merge_sort_block_merge_implIS3_NS6_6detail15normal_iteratorINS6_10device_ptrIjEEEENSD_INSE_IS9_EEEEjNS1_19radix_merge_compareILb0ELb0EjNS0_19identity_decomposerEEEEE10hipError_tT0_T1_T2_jT3_P12ihipStream_tbPNSt15iterator_traitsISN_E10value_typeEPNST_ISO_E10value_typeEPSP_NS1_7vsmem_tEENKUlT_SN_SO_SP_E_clISG_PjSI_PS9_EESM_S12_SN_SO_SP_EUlS12_E1_NS1_11comp_targetILNS1_3genE3ELNS1_11target_archE908ELNS1_3gpuE7ELNS1_3repE0EEENS1_36merge_oddeven_config_static_selectorELNS0_4arch9wavefront6targetE0EEEvSO_ ; -- Begin function _ZN7rocprim17ROCPRIM_400000_NS6detail17trampoline_kernelINS0_14default_configENS1_38merge_sort_block_merge_config_selectorIjN6thrust23THRUST_200600_302600_NS5tupleIffNS6_9null_typeES8_S8_S8_S8_S8_S8_S8_EEEEZZNS1_27merge_sort_block_merge_implIS3_NS6_6detail15normal_iteratorINS6_10device_ptrIjEEEENSD_INSE_IS9_EEEEjNS1_19radix_merge_compareILb0ELb0EjNS0_19identity_decomposerEEEEE10hipError_tT0_T1_T2_jT3_P12ihipStream_tbPNSt15iterator_traitsISN_E10value_typeEPNST_ISO_E10value_typeEPSP_NS1_7vsmem_tEENKUlT_SN_SO_SP_E_clISG_PjSI_PS9_EESM_S12_SN_SO_SP_EUlS12_E1_NS1_11comp_targetILNS1_3genE3ELNS1_11target_archE908ELNS1_3gpuE7ELNS1_3repE0EEENS1_36merge_oddeven_config_static_selectorELNS0_4arch9wavefront6targetE0EEEvSO_
	.globl	_ZN7rocprim17ROCPRIM_400000_NS6detail17trampoline_kernelINS0_14default_configENS1_38merge_sort_block_merge_config_selectorIjN6thrust23THRUST_200600_302600_NS5tupleIffNS6_9null_typeES8_S8_S8_S8_S8_S8_S8_EEEEZZNS1_27merge_sort_block_merge_implIS3_NS6_6detail15normal_iteratorINS6_10device_ptrIjEEEENSD_INSE_IS9_EEEEjNS1_19radix_merge_compareILb0ELb0EjNS0_19identity_decomposerEEEEE10hipError_tT0_T1_T2_jT3_P12ihipStream_tbPNSt15iterator_traitsISN_E10value_typeEPNST_ISO_E10value_typeEPSP_NS1_7vsmem_tEENKUlT_SN_SO_SP_E_clISG_PjSI_PS9_EESM_S12_SN_SO_SP_EUlS12_E1_NS1_11comp_targetILNS1_3genE3ELNS1_11target_archE908ELNS1_3gpuE7ELNS1_3repE0EEENS1_36merge_oddeven_config_static_selectorELNS0_4arch9wavefront6targetE0EEEvSO_
	.p2align	8
	.type	_ZN7rocprim17ROCPRIM_400000_NS6detail17trampoline_kernelINS0_14default_configENS1_38merge_sort_block_merge_config_selectorIjN6thrust23THRUST_200600_302600_NS5tupleIffNS6_9null_typeES8_S8_S8_S8_S8_S8_S8_EEEEZZNS1_27merge_sort_block_merge_implIS3_NS6_6detail15normal_iteratorINS6_10device_ptrIjEEEENSD_INSE_IS9_EEEEjNS1_19radix_merge_compareILb0ELb0EjNS0_19identity_decomposerEEEEE10hipError_tT0_T1_T2_jT3_P12ihipStream_tbPNSt15iterator_traitsISN_E10value_typeEPNST_ISO_E10value_typeEPSP_NS1_7vsmem_tEENKUlT_SN_SO_SP_E_clISG_PjSI_PS9_EESM_S12_SN_SO_SP_EUlS12_E1_NS1_11comp_targetILNS1_3genE3ELNS1_11target_archE908ELNS1_3gpuE7ELNS1_3repE0EEENS1_36merge_oddeven_config_static_selectorELNS0_4arch9wavefront6targetE0EEEvSO_,@function
_ZN7rocprim17ROCPRIM_400000_NS6detail17trampoline_kernelINS0_14default_configENS1_38merge_sort_block_merge_config_selectorIjN6thrust23THRUST_200600_302600_NS5tupleIffNS6_9null_typeES8_S8_S8_S8_S8_S8_S8_EEEEZZNS1_27merge_sort_block_merge_implIS3_NS6_6detail15normal_iteratorINS6_10device_ptrIjEEEENSD_INSE_IS9_EEEEjNS1_19radix_merge_compareILb0ELb0EjNS0_19identity_decomposerEEEEE10hipError_tT0_T1_T2_jT3_P12ihipStream_tbPNSt15iterator_traitsISN_E10value_typeEPNST_ISO_E10value_typeEPSP_NS1_7vsmem_tEENKUlT_SN_SO_SP_E_clISG_PjSI_PS9_EESM_S12_SN_SO_SP_EUlS12_E1_NS1_11comp_targetILNS1_3genE3ELNS1_11target_archE908ELNS1_3gpuE7ELNS1_3repE0EEENS1_36merge_oddeven_config_static_selectorELNS0_4arch9wavefront6targetE0EEEvSO_: ; @_ZN7rocprim17ROCPRIM_400000_NS6detail17trampoline_kernelINS0_14default_configENS1_38merge_sort_block_merge_config_selectorIjN6thrust23THRUST_200600_302600_NS5tupleIffNS6_9null_typeES8_S8_S8_S8_S8_S8_S8_EEEEZZNS1_27merge_sort_block_merge_implIS3_NS6_6detail15normal_iteratorINS6_10device_ptrIjEEEENSD_INSE_IS9_EEEEjNS1_19radix_merge_compareILb0ELb0EjNS0_19identity_decomposerEEEEE10hipError_tT0_T1_T2_jT3_P12ihipStream_tbPNSt15iterator_traitsISN_E10value_typeEPNST_ISO_E10value_typeEPSP_NS1_7vsmem_tEENKUlT_SN_SO_SP_E_clISG_PjSI_PS9_EESM_S12_SN_SO_SP_EUlS12_E1_NS1_11comp_targetILNS1_3genE3ELNS1_11target_archE908ELNS1_3gpuE7ELNS1_3repE0EEENS1_36merge_oddeven_config_static_selectorELNS0_4arch9wavefront6targetE0EEEvSO_
; %bb.0:
	.section	.rodata,"a",@progbits
	.p2align	6, 0x0
	.amdhsa_kernel _ZN7rocprim17ROCPRIM_400000_NS6detail17trampoline_kernelINS0_14default_configENS1_38merge_sort_block_merge_config_selectorIjN6thrust23THRUST_200600_302600_NS5tupleIffNS6_9null_typeES8_S8_S8_S8_S8_S8_S8_EEEEZZNS1_27merge_sort_block_merge_implIS3_NS6_6detail15normal_iteratorINS6_10device_ptrIjEEEENSD_INSE_IS9_EEEEjNS1_19radix_merge_compareILb0ELb0EjNS0_19identity_decomposerEEEEE10hipError_tT0_T1_T2_jT3_P12ihipStream_tbPNSt15iterator_traitsISN_E10value_typeEPNST_ISO_E10value_typeEPSP_NS1_7vsmem_tEENKUlT_SN_SO_SP_E_clISG_PjSI_PS9_EESM_S12_SN_SO_SP_EUlS12_E1_NS1_11comp_targetILNS1_3genE3ELNS1_11target_archE908ELNS1_3gpuE7ELNS1_3repE0EEENS1_36merge_oddeven_config_static_selectorELNS0_4arch9wavefront6targetE0EEEvSO_
		.amdhsa_group_segment_fixed_size 0
		.amdhsa_private_segment_fixed_size 0
		.amdhsa_kernarg_size 48
		.amdhsa_user_sgpr_count 2
		.amdhsa_user_sgpr_dispatch_ptr 0
		.amdhsa_user_sgpr_queue_ptr 0
		.amdhsa_user_sgpr_kernarg_segment_ptr 1
		.amdhsa_user_sgpr_dispatch_id 0
		.amdhsa_user_sgpr_private_segment_size 0
		.amdhsa_wavefront_size32 1
		.amdhsa_uses_dynamic_stack 0
		.amdhsa_enable_private_segment 0
		.amdhsa_system_sgpr_workgroup_id_x 1
		.amdhsa_system_sgpr_workgroup_id_y 0
		.amdhsa_system_sgpr_workgroup_id_z 0
		.amdhsa_system_sgpr_workgroup_info 0
		.amdhsa_system_vgpr_workitem_id 0
		.amdhsa_next_free_vgpr 1
		.amdhsa_next_free_sgpr 1
		.amdhsa_reserve_vcc 0
		.amdhsa_float_round_mode_32 0
		.amdhsa_float_round_mode_16_64 0
		.amdhsa_float_denorm_mode_32 3
		.amdhsa_float_denorm_mode_16_64 3
		.amdhsa_fp16_overflow 0
		.amdhsa_workgroup_processor_mode 1
		.amdhsa_memory_ordered 1
		.amdhsa_forward_progress 1
		.amdhsa_inst_pref_size 0
		.amdhsa_round_robin_scheduling 0
		.amdhsa_exception_fp_ieee_invalid_op 0
		.amdhsa_exception_fp_denorm_src 0
		.amdhsa_exception_fp_ieee_div_zero 0
		.amdhsa_exception_fp_ieee_overflow 0
		.amdhsa_exception_fp_ieee_underflow 0
		.amdhsa_exception_fp_ieee_inexact 0
		.amdhsa_exception_int_div_zero 0
	.end_amdhsa_kernel
	.section	.text._ZN7rocprim17ROCPRIM_400000_NS6detail17trampoline_kernelINS0_14default_configENS1_38merge_sort_block_merge_config_selectorIjN6thrust23THRUST_200600_302600_NS5tupleIffNS6_9null_typeES8_S8_S8_S8_S8_S8_S8_EEEEZZNS1_27merge_sort_block_merge_implIS3_NS6_6detail15normal_iteratorINS6_10device_ptrIjEEEENSD_INSE_IS9_EEEEjNS1_19radix_merge_compareILb0ELb0EjNS0_19identity_decomposerEEEEE10hipError_tT0_T1_T2_jT3_P12ihipStream_tbPNSt15iterator_traitsISN_E10value_typeEPNST_ISO_E10value_typeEPSP_NS1_7vsmem_tEENKUlT_SN_SO_SP_E_clISG_PjSI_PS9_EESM_S12_SN_SO_SP_EUlS12_E1_NS1_11comp_targetILNS1_3genE3ELNS1_11target_archE908ELNS1_3gpuE7ELNS1_3repE0EEENS1_36merge_oddeven_config_static_selectorELNS0_4arch9wavefront6targetE0EEEvSO_,"axG",@progbits,_ZN7rocprim17ROCPRIM_400000_NS6detail17trampoline_kernelINS0_14default_configENS1_38merge_sort_block_merge_config_selectorIjN6thrust23THRUST_200600_302600_NS5tupleIffNS6_9null_typeES8_S8_S8_S8_S8_S8_S8_EEEEZZNS1_27merge_sort_block_merge_implIS3_NS6_6detail15normal_iteratorINS6_10device_ptrIjEEEENSD_INSE_IS9_EEEEjNS1_19radix_merge_compareILb0ELb0EjNS0_19identity_decomposerEEEEE10hipError_tT0_T1_T2_jT3_P12ihipStream_tbPNSt15iterator_traitsISN_E10value_typeEPNST_ISO_E10value_typeEPSP_NS1_7vsmem_tEENKUlT_SN_SO_SP_E_clISG_PjSI_PS9_EESM_S12_SN_SO_SP_EUlS12_E1_NS1_11comp_targetILNS1_3genE3ELNS1_11target_archE908ELNS1_3gpuE7ELNS1_3repE0EEENS1_36merge_oddeven_config_static_selectorELNS0_4arch9wavefront6targetE0EEEvSO_,comdat
.Lfunc_end69:
	.size	_ZN7rocprim17ROCPRIM_400000_NS6detail17trampoline_kernelINS0_14default_configENS1_38merge_sort_block_merge_config_selectorIjN6thrust23THRUST_200600_302600_NS5tupleIffNS6_9null_typeES8_S8_S8_S8_S8_S8_S8_EEEEZZNS1_27merge_sort_block_merge_implIS3_NS6_6detail15normal_iteratorINS6_10device_ptrIjEEEENSD_INSE_IS9_EEEEjNS1_19radix_merge_compareILb0ELb0EjNS0_19identity_decomposerEEEEE10hipError_tT0_T1_T2_jT3_P12ihipStream_tbPNSt15iterator_traitsISN_E10value_typeEPNST_ISO_E10value_typeEPSP_NS1_7vsmem_tEENKUlT_SN_SO_SP_E_clISG_PjSI_PS9_EESM_S12_SN_SO_SP_EUlS12_E1_NS1_11comp_targetILNS1_3genE3ELNS1_11target_archE908ELNS1_3gpuE7ELNS1_3repE0EEENS1_36merge_oddeven_config_static_selectorELNS0_4arch9wavefront6targetE0EEEvSO_, .Lfunc_end69-_ZN7rocprim17ROCPRIM_400000_NS6detail17trampoline_kernelINS0_14default_configENS1_38merge_sort_block_merge_config_selectorIjN6thrust23THRUST_200600_302600_NS5tupleIffNS6_9null_typeES8_S8_S8_S8_S8_S8_S8_EEEEZZNS1_27merge_sort_block_merge_implIS3_NS6_6detail15normal_iteratorINS6_10device_ptrIjEEEENSD_INSE_IS9_EEEEjNS1_19radix_merge_compareILb0ELb0EjNS0_19identity_decomposerEEEEE10hipError_tT0_T1_T2_jT3_P12ihipStream_tbPNSt15iterator_traitsISN_E10value_typeEPNST_ISO_E10value_typeEPSP_NS1_7vsmem_tEENKUlT_SN_SO_SP_E_clISG_PjSI_PS9_EESM_S12_SN_SO_SP_EUlS12_E1_NS1_11comp_targetILNS1_3genE3ELNS1_11target_archE908ELNS1_3gpuE7ELNS1_3repE0EEENS1_36merge_oddeven_config_static_selectorELNS0_4arch9wavefront6targetE0EEEvSO_
                                        ; -- End function
	.set _ZN7rocprim17ROCPRIM_400000_NS6detail17trampoline_kernelINS0_14default_configENS1_38merge_sort_block_merge_config_selectorIjN6thrust23THRUST_200600_302600_NS5tupleIffNS6_9null_typeES8_S8_S8_S8_S8_S8_S8_EEEEZZNS1_27merge_sort_block_merge_implIS3_NS6_6detail15normal_iteratorINS6_10device_ptrIjEEEENSD_INSE_IS9_EEEEjNS1_19radix_merge_compareILb0ELb0EjNS0_19identity_decomposerEEEEE10hipError_tT0_T1_T2_jT3_P12ihipStream_tbPNSt15iterator_traitsISN_E10value_typeEPNST_ISO_E10value_typeEPSP_NS1_7vsmem_tEENKUlT_SN_SO_SP_E_clISG_PjSI_PS9_EESM_S12_SN_SO_SP_EUlS12_E1_NS1_11comp_targetILNS1_3genE3ELNS1_11target_archE908ELNS1_3gpuE7ELNS1_3repE0EEENS1_36merge_oddeven_config_static_selectorELNS0_4arch9wavefront6targetE0EEEvSO_.num_vgpr, 0
	.set _ZN7rocprim17ROCPRIM_400000_NS6detail17trampoline_kernelINS0_14default_configENS1_38merge_sort_block_merge_config_selectorIjN6thrust23THRUST_200600_302600_NS5tupleIffNS6_9null_typeES8_S8_S8_S8_S8_S8_S8_EEEEZZNS1_27merge_sort_block_merge_implIS3_NS6_6detail15normal_iteratorINS6_10device_ptrIjEEEENSD_INSE_IS9_EEEEjNS1_19radix_merge_compareILb0ELb0EjNS0_19identity_decomposerEEEEE10hipError_tT0_T1_T2_jT3_P12ihipStream_tbPNSt15iterator_traitsISN_E10value_typeEPNST_ISO_E10value_typeEPSP_NS1_7vsmem_tEENKUlT_SN_SO_SP_E_clISG_PjSI_PS9_EESM_S12_SN_SO_SP_EUlS12_E1_NS1_11comp_targetILNS1_3genE3ELNS1_11target_archE908ELNS1_3gpuE7ELNS1_3repE0EEENS1_36merge_oddeven_config_static_selectorELNS0_4arch9wavefront6targetE0EEEvSO_.num_agpr, 0
	.set _ZN7rocprim17ROCPRIM_400000_NS6detail17trampoline_kernelINS0_14default_configENS1_38merge_sort_block_merge_config_selectorIjN6thrust23THRUST_200600_302600_NS5tupleIffNS6_9null_typeES8_S8_S8_S8_S8_S8_S8_EEEEZZNS1_27merge_sort_block_merge_implIS3_NS6_6detail15normal_iteratorINS6_10device_ptrIjEEEENSD_INSE_IS9_EEEEjNS1_19radix_merge_compareILb0ELb0EjNS0_19identity_decomposerEEEEE10hipError_tT0_T1_T2_jT3_P12ihipStream_tbPNSt15iterator_traitsISN_E10value_typeEPNST_ISO_E10value_typeEPSP_NS1_7vsmem_tEENKUlT_SN_SO_SP_E_clISG_PjSI_PS9_EESM_S12_SN_SO_SP_EUlS12_E1_NS1_11comp_targetILNS1_3genE3ELNS1_11target_archE908ELNS1_3gpuE7ELNS1_3repE0EEENS1_36merge_oddeven_config_static_selectorELNS0_4arch9wavefront6targetE0EEEvSO_.numbered_sgpr, 0
	.set _ZN7rocprim17ROCPRIM_400000_NS6detail17trampoline_kernelINS0_14default_configENS1_38merge_sort_block_merge_config_selectorIjN6thrust23THRUST_200600_302600_NS5tupleIffNS6_9null_typeES8_S8_S8_S8_S8_S8_S8_EEEEZZNS1_27merge_sort_block_merge_implIS3_NS6_6detail15normal_iteratorINS6_10device_ptrIjEEEENSD_INSE_IS9_EEEEjNS1_19radix_merge_compareILb0ELb0EjNS0_19identity_decomposerEEEEE10hipError_tT0_T1_T2_jT3_P12ihipStream_tbPNSt15iterator_traitsISN_E10value_typeEPNST_ISO_E10value_typeEPSP_NS1_7vsmem_tEENKUlT_SN_SO_SP_E_clISG_PjSI_PS9_EESM_S12_SN_SO_SP_EUlS12_E1_NS1_11comp_targetILNS1_3genE3ELNS1_11target_archE908ELNS1_3gpuE7ELNS1_3repE0EEENS1_36merge_oddeven_config_static_selectorELNS0_4arch9wavefront6targetE0EEEvSO_.num_named_barrier, 0
	.set _ZN7rocprim17ROCPRIM_400000_NS6detail17trampoline_kernelINS0_14default_configENS1_38merge_sort_block_merge_config_selectorIjN6thrust23THRUST_200600_302600_NS5tupleIffNS6_9null_typeES8_S8_S8_S8_S8_S8_S8_EEEEZZNS1_27merge_sort_block_merge_implIS3_NS6_6detail15normal_iteratorINS6_10device_ptrIjEEEENSD_INSE_IS9_EEEEjNS1_19radix_merge_compareILb0ELb0EjNS0_19identity_decomposerEEEEE10hipError_tT0_T1_T2_jT3_P12ihipStream_tbPNSt15iterator_traitsISN_E10value_typeEPNST_ISO_E10value_typeEPSP_NS1_7vsmem_tEENKUlT_SN_SO_SP_E_clISG_PjSI_PS9_EESM_S12_SN_SO_SP_EUlS12_E1_NS1_11comp_targetILNS1_3genE3ELNS1_11target_archE908ELNS1_3gpuE7ELNS1_3repE0EEENS1_36merge_oddeven_config_static_selectorELNS0_4arch9wavefront6targetE0EEEvSO_.private_seg_size, 0
	.set _ZN7rocprim17ROCPRIM_400000_NS6detail17trampoline_kernelINS0_14default_configENS1_38merge_sort_block_merge_config_selectorIjN6thrust23THRUST_200600_302600_NS5tupleIffNS6_9null_typeES8_S8_S8_S8_S8_S8_S8_EEEEZZNS1_27merge_sort_block_merge_implIS3_NS6_6detail15normal_iteratorINS6_10device_ptrIjEEEENSD_INSE_IS9_EEEEjNS1_19radix_merge_compareILb0ELb0EjNS0_19identity_decomposerEEEEE10hipError_tT0_T1_T2_jT3_P12ihipStream_tbPNSt15iterator_traitsISN_E10value_typeEPNST_ISO_E10value_typeEPSP_NS1_7vsmem_tEENKUlT_SN_SO_SP_E_clISG_PjSI_PS9_EESM_S12_SN_SO_SP_EUlS12_E1_NS1_11comp_targetILNS1_3genE3ELNS1_11target_archE908ELNS1_3gpuE7ELNS1_3repE0EEENS1_36merge_oddeven_config_static_selectorELNS0_4arch9wavefront6targetE0EEEvSO_.uses_vcc, 0
	.set _ZN7rocprim17ROCPRIM_400000_NS6detail17trampoline_kernelINS0_14default_configENS1_38merge_sort_block_merge_config_selectorIjN6thrust23THRUST_200600_302600_NS5tupleIffNS6_9null_typeES8_S8_S8_S8_S8_S8_S8_EEEEZZNS1_27merge_sort_block_merge_implIS3_NS6_6detail15normal_iteratorINS6_10device_ptrIjEEEENSD_INSE_IS9_EEEEjNS1_19radix_merge_compareILb0ELb0EjNS0_19identity_decomposerEEEEE10hipError_tT0_T1_T2_jT3_P12ihipStream_tbPNSt15iterator_traitsISN_E10value_typeEPNST_ISO_E10value_typeEPSP_NS1_7vsmem_tEENKUlT_SN_SO_SP_E_clISG_PjSI_PS9_EESM_S12_SN_SO_SP_EUlS12_E1_NS1_11comp_targetILNS1_3genE3ELNS1_11target_archE908ELNS1_3gpuE7ELNS1_3repE0EEENS1_36merge_oddeven_config_static_selectorELNS0_4arch9wavefront6targetE0EEEvSO_.uses_flat_scratch, 0
	.set _ZN7rocprim17ROCPRIM_400000_NS6detail17trampoline_kernelINS0_14default_configENS1_38merge_sort_block_merge_config_selectorIjN6thrust23THRUST_200600_302600_NS5tupleIffNS6_9null_typeES8_S8_S8_S8_S8_S8_S8_EEEEZZNS1_27merge_sort_block_merge_implIS3_NS6_6detail15normal_iteratorINS6_10device_ptrIjEEEENSD_INSE_IS9_EEEEjNS1_19radix_merge_compareILb0ELb0EjNS0_19identity_decomposerEEEEE10hipError_tT0_T1_T2_jT3_P12ihipStream_tbPNSt15iterator_traitsISN_E10value_typeEPNST_ISO_E10value_typeEPSP_NS1_7vsmem_tEENKUlT_SN_SO_SP_E_clISG_PjSI_PS9_EESM_S12_SN_SO_SP_EUlS12_E1_NS1_11comp_targetILNS1_3genE3ELNS1_11target_archE908ELNS1_3gpuE7ELNS1_3repE0EEENS1_36merge_oddeven_config_static_selectorELNS0_4arch9wavefront6targetE0EEEvSO_.has_dyn_sized_stack, 0
	.set _ZN7rocprim17ROCPRIM_400000_NS6detail17trampoline_kernelINS0_14default_configENS1_38merge_sort_block_merge_config_selectorIjN6thrust23THRUST_200600_302600_NS5tupleIffNS6_9null_typeES8_S8_S8_S8_S8_S8_S8_EEEEZZNS1_27merge_sort_block_merge_implIS3_NS6_6detail15normal_iteratorINS6_10device_ptrIjEEEENSD_INSE_IS9_EEEEjNS1_19radix_merge_compareILb0ELb0EjNS0_19identity_decomposerEEEEE10hipError_tT0_T1_T2_jT3_P12ihipStream_tbPNSt15iterator_traitsISN_E10value_typeEPNST_ISO_E10value_typeEPSP_NS1_7vsmem_tEENKUlT_SN_SO_SP_E_clISG_PjSI_PS9_EESM_S12_SN_SO_SP_EUlS12_E1_NS1_11comp_targetILNS1_3genE3ELNS1_11target_archE908ELNS1_3gpuE7ELNS1_3repE0EEENS1_36merge_oddeven_config_static_selectorELNS0_4arch9wavefront6targetE0EEEvSO_.has_recursion, 0
	.set _ZN7rocprim17ROCPRIM_400000_NS6detail17trampoline_kernelINS0_14default_configENS1_38merge_sort_block_merge_config_selectorIjN6thrust23THRUST_200600_302600_NS5tupleIffNS6_9null_typeES8_S8_S8_S8_S8_S8_S8_EEEEZZNS1_27merge_sort_block_merge_implIS3_NS6_6detail15normal_iteratorINS6_10device_ptrIjEEEENSD_INSE_IS9_EEEEjNS1_19radix_merge_compareILb0ELb0EjNS0_19identity_decomposerEEEEE10hipError_tT0_T1_T2_jT3_P12ihipStream_tbPNSt15iterator_traitsISN_E10value_typeEPNST_ISO_E10value_typeEPSP_NS1_7vsmem_tEENKUlT_SN_SO_SP_E_clISG_PjSI_PS9_EESM_S12_SN_SO_SP_EUlS12_E1_NS1_11comp_targetILNS1_3genE3ELNS1_11target_archE908ELNS1_3gpuE7ELNS1_3repE0EEENS1_36merge_oddeven_config_static_selectorELNS0_4arch9wavefront6targetE0EEEvSO_.has_indirect_call, 0
	.section	.AMDGPU.csdata,"",@progbits
; Kernel info:
; codeLenInByte = 0
; TotalNumSgprs: 0
; NumVgprs: 0
; ScratchSize: 0
; MemoryBound: 0
; FloatMode: 240
; IeeeMode: 1
; LDSByteSize: 0 bytes/workgroup (compile time only)
; SGPRBlocks: 0
; VGPRBlocks: 0
; NumSGPRsForWavesPerEU: 1
; NumVGPRsForWavesPerEU: 1
; Occupancy: 16
; WaveLimiterHint : 0
; COMPUTE_PGM_RSRC2:SCRATCH_EN: 0
; COMPUTE_PGM_RSRC2:USER_SGPR: 2
; COMPUTE_PGM_RSRC2:TRAP_HANDLER: 0
; COMPUTE_PGM_RSRC2:TGID_X_EN: 1
; COMPUTE_PGM_RSRC2:TGID_Y_EN: 0
; COMPUTE_PGM_RSRC2:TGID_Z_EN: 0
; COMPUTE_PGM_RSRC2:TIDIG_COMP_CNT: 0
	.section	.text._ZN7rocprim17ROCPRIM_400000_NS6detail17trampoline_kernelINS0_14default_configENS1_38merge_sort_block_merge_config_selectorIjN6thrust23THRUST_200600_302600_NS5tupleIffNS6_9null_typeES8_S8_S8_S8_S8_S8_S8_EEEEZZNS1_27merge_sort_block_merge_implIS3_NS6_6detail15normal_iteratorINS6_10device_ptrIjEEEENSD_INSE_IS9_EEEEjNS1_19radix_merge_compareILb0ELb0EjNS0_19identity_decomposerEEEEE10hipError_tT0_T1_T2_jT3_P12ihipStream_tbPNSt15iterator_traitsISN_E10value_typeEPNST_ISO_E10value_typeEPSP_NS1_7vsmem_tEENKUlT_SN_SO_SP_E_clISG_PjSI_PS9_EESM_S12_SN_SO_SP_EUlS12_E1_NS1_11comp_targetILNS1_3genE2ELNS1_11target_archE906ELNS1_3gpuE6ELNS1_3repE0EEENS1_36merge_oddeven_config_static_selectorELNS0_4arch9wavefront6targetE0EEEvSO_,"axG",@progbits,_ZN7rocprim17ROCPRIM_400000_NS6detail17trampoline_kernelINS0_14default_configENS1_38merge_sort_block_merge_config_selectorIjN6thrust23THRUST_200600_302600_NS5tupleIffNS6_9null_typeES8_S8_S8_S8_S8_S8_S8_EEEEZZNS1_27merge_sort_block_merge_implIS3_NS6_6detail15normal_iteratorINS6_10device_ptrIjEEEENSD_INSE_IS9_EEEEjNS1_19radix_merge_compareILb0ELb0EjNS0_19identity_decomposerEEEEE10hipError_tT0_T1_T2_jT3_P12ihipStream_tbPNSt15iterator_traitsISN_E10value_typeEPNST_ISO_E10value_typeEPSP_NS1_7vsmem_tEENKUlT_SN_SO_SP_E_clISG_PjSI_PS9_EESM_S12_SN_SO_SP_EUlS12_E1_NS1_11comp_targetILNS1_3genE2ELNS1_11target_archE906ELNS1_3gpuE6ELNS1_3repE0EEENS1_36merge_oddeven_config_static_selectorELNS0_4arch9wavefront6targetE0EEEvSO_,comdat
	.protected	_ZN7rocprim17ROCPRIM_400000_NS6detail17trampoline_kernelINS0_14default_configENS1_38merge_sort_block_merge_config_selectorIjN6thrust23THRUST_200600_302600_NS5tupleIffNS6_9null_typeES8_S8_S8_S8_S8_S8_S8_EEEEZZNS1_27merge_sort_block_merge_implIS3_NS6_6detail15normal_iteratorINS6_10device_ptrIjEEEENSD_INSE_IS9_EEEEjNS1_19radix_merge_compareILb0ELb0EjNS0_19identity_decomposerEEEEE10hipError_tT0_T1_T2_jT3_P12ihipStream_tbPNSt15iterator_traitsISN_E10value_typeEPNST_ISO_E10value_typeEPSP_NS1_7vsmem_tEENKUlT_SN_SO_SP_E_clISG_PjSI_PS9_EESM_S12_SN_SO_SP_EUlS12_E1_NS1_11comp_targetILNS1_3genE2ELNS1_11target_archE906ELNS1_3gpuE6ELNS1_3repE0EEENS1_36merge_oddeven_config_static_selectorELNS0_4arch9wavefront6targetE0EEEvSO_ ; -- Begin function _ZN7rocprim17ROCPRIM_400000_NS6detail17trampoline_kernelINS0_14default_configENS1_38merge_sort_block_merge_config_selectorIjN6thrust23THRUST_200600_302600_NS5tupleIffNS6_9null_typeES8_S8_S8_S8_S8_S8_S8_EEEEZZNS1_27merge_sort_block_merge_implIS3_NS6_6detail15normal_iteratorINS6_10device_ptrIjEEEENSD_INSE_IS9_EEEEjNS1_19radix_merge_compareILb0ELb0EjNS0_19identity_decomposerEEEEE10hipError_tT0_T1_T2_jT3_P12ihipStream_tbPNSt15iterator_traitsISN_E10value_typeEPNST_ISO_E10value_typeEPSP_NS1_7vsmem_tEENKUlT_SN_SO_SP_E_clISG_PjSI_PS9_EESM_S12_SN_SO_SP_EUlS12_E1_NS1_11comp_targetILNS1_3genE2ELNS1_11target_archE906ELNS1_3gpuE6ELNS1_3repE0EEENS1_36merge_oddeven_config_static_selectorELNS0_4arch9wavefront6targetE0EEEvSO_
	.globl	_ZN7rocprim17ROCPRIM_400000_NS6detail17trampoline_kernelINS0_14default_configENS1_38merge_sort_block_merge_config_selectorIjN6thrust23THRUST_200600_302600_NS5tupleIffNS6_9null_typeES8_S8_S8_S8_S8_S8_S8_EEEEZZNS1_27merge_sort_block_merge_implIS3_NS6_6detail15normal_iteratorINS6_10device_ptrIjEEEENSD_INSE_IS9_EEEEjNS1_19radix_merge_compareILb0ELb0EjNS0_19identity_decomposerEEEEE10hipError_tT0_T1_T2_jT3_P12ihipStream_tbPNSt15iterator_traitsISN_E10value_typeEPNST_ISO_E10value_typeEPSP_NS1_7vsmem_tEENKUlT_SN_SO_SP_E_clISG_PjSI_PS9_EESM_S12_SN_SO_SP_EUlS12_E1_NS1_11comp_targetILNS1_3genE2ELNS1_11target_archE906ELNS1_3gpuE6ELNS1_3repE0EEENS1_36merge_oddeven_config_static_selectorELNS0_4arch9wavefront6targetE0EEEvSO_
	.p2align	8
	.type	_ZN7rocprim17ROCPRIM_400000_NS6detail17trampoline_kernelINS0_14default_configENS1_38merge_sort_block_merge_config_selectorIjN6thrust23THRUST_200600_302600_NS5tupleIffNS6_9null_typeES8_S8_S8_S8_S8_S8_S8_EEEEZZNS1_27merge_sort_block_merge_implIS3_NS6_6detail15normal_iteratorINS6_10device_ptrIjEEEENSD_INSE_IS9_EEEEjNS1_19radix_merge_compareILb0ELb0EjNS0_19identity_decomposerEEEEE10hipError_tT0_T1_T2_jT3_P12ihipStream_tbPNSt15iterator_traitsISN_E10value_typeEPNST_ISO_E10value_typeEPSP_NS1_7vsmem_tEENKUlT_SN_SO_SP_E_clISG_PjSI_PS9_EESM_S12_SN_SO_SP_EUlS12_E1_NS1_11comp_targetILNS1_3genE2ELNS1_11target_archE906ELNS1_3gpuE6ELNS1_3repE0EEENS1_36merge_oddeven_config_static_selectorELNS0_4arch9wavefront6targetE0EEEvSO_,@function
_ZN7rocprim17ROCPRIM_400000_NS6detail17trampoline_kernelINS0_14default_configENS1_38merge_sort_block_merge_config_selectorIjN6thrust23THRUST_200600_302600_NS5tupleIffNS6_9null_typeES8_S8_S8_S8_S8_S8_S8_EEEEZZNS1_27merge_sort_block_merge_implIS3_NS6_6detail15normal_iteratorINS6_10device_ptrIjEEEENSD_INSE_IS9_EEEEjNS1_19radix_merge_compareILb0ELb0EjNS0_19identity_decomposerEEEEE10hipError_tT0_T1_T2_jT3_P12ihipStream_tbPNSt15iterator_traitsISN_E10value_typeEPNST_ISO_E10value_typeEPSP_NS1_7vsmem_tEENKUlT_SN_SO_SP_E_clISG_PjSI_PS9_EESM_S12_SN_SO_SP_EUlS12_E1_NS1_11comp_targetILNS1_3genE2ELNS1_11target_archE906ELNS1_3gpuE6ELNS1_3repE0EEENS1_36merge_oddeven_config_static_selectorELNS0_4arch9wavefront6targetE0EEEvSO_: ; @_ZN7rocprim17ROCPRIM_400000_NS6detail17trampoline_kernelINS0_14default_configENS1_38merge_sort_block_merge_config_selectorIjN6thrust23THRUST_200600_302600_NS5tupleIffNS6_9null_typeES8_S8_S8_S8_S8_S8_S8_EEEEZZNS1_27merge_sort_block_merge_implIS3_NS6_6detail15normal_iteratorINS6_10device_ptrIjEEEENSD_INSE_IS9_EEEEjNS1_19radix_merge_compareILb0ELb0EjNS0_19identity_decomposerEEEEE10hipError_tT0_T1_T2_jT3_P12ihipStream_tbPNSt15iterator_traitsISN_E10value_typeEPNST_ISO_E10value_typeEPSP_NS1_7vsmem_tEENKUlT_SN_SO_SP_E_clISG_PjSI_PS9_EESM_S12_SN_SO_SP_EUlS12_E1_NS1_11comp_targetILNS1_3genE2ELNS1_11target_archE906ELNS1_3gpuE6ELNS1_3repE0EEENS1_36merge_oddeven_config_static_selectorELNS0_4arch9wavefront6targetE0EEEvSO_
; %bb.0:
	.section	.rodata,"a",@progbits
	.p2align	6, 0x0
	.amdhsa_kernel _ZN7rocprim17ROCPRIM_400000_NS6detail17trampoline_kernelINS0_14default_configENS1_38merge_sort_block_merge_config_selectorIjN6thrust23THRUST_200600_302600_NS5tupleIffNS6_9null_typeES8_S8_S8_S8_S8_S8_S8_EEEEZZNS1_27merge_sort_block_merge_implIS3_NS6_6detail15normal_iteratorINS6_10device_ptrIjEEEENSD_INSE_IS9_EEEEjNS1_19radix_merge_compareILb0ELb0EjNS0_19identity_decomposerEEEEE10hipError_tT0_T1_T2_jT3_P12ihipStream_tbPNSt15iterator_traitsISN_E10value_typeEPNST_ISO_E10value_typeEPSP_NS1_7vsmem_tEENKUlT_SN_SO_SP_E_clISG_PjSI_PS9_EESM_S12_SN_SO_SP_EUlS12_E1_NS1_11comp_targetILNS1_3genE2ELNS1_11target_archE906ELNS1_3gpuE6ELNS1_3repE0EEENS1_36merge_oddeven_config_static_selectorELNS0_4arch9wavefront6targetE0EEEvSO_
		.amdhsa_group_segment_fixed_size 0
		.amdhsa_private_segment_fixed_size 0
		.amdhsa_kernarg_size 48
		.amdhsa_user_sgpr_count 2
		.amdhsa_user_sgpr_dispatch_ptr 0
		.amdhsa_user_sgpr_queue_ptr 0
		.amdhsa_user_sgpr_kernarg_segment_ptr 1
		.amdhsa_user_sgpr_dispatch_id 0
		.amdhsa_user_sgpr_private_segment_size 0
		.amdhsa_wavefront_size32 1
		.amdhsa_uses_dynamic_stack 0
		.amdhsa_enable_private_segment 0
		.amdhsa_system_sgpr_workgroup_id_x 1
		.amdhsa_system_sgpr_workgroup_id_y 0
		.amdhsa_system_sgpr_workgroup_id_z 0
		.amdhsa_system_sgpr_workgroup_info 0
		.amdhsa_system_vgpr_workitem_id 0
		.amdhsa_next_free_vgpr 1
		.amdhsa_next_free_sgpr 1
		.amdhsa_reserve_vcc 0
		.amdhsa_float_round_mode_32 0
		.amdhsa_float_round_mode_16_64 0
		.amdhsa_float_denorm_mode_32 3
		.amdhsa_float_denorm_mode_16_64 3
		.amdhsa_fp16_overflow 0
		.amdhsa_workgroup_processor_mode 1
		.amdhsa_memory_ordered 1
		.amdhsa_forward_progress 1
		.amdhsa_inst_pref_size 0
		.amdhsa_round_robin_scheduling 0
		.amdhsa_exception_fp_ieee_invalid_op 0
		.amdhsa_exception_fp_denorm_src 0
		.amdhsa_exception_fp_ieee_div_zero 0
		.amdhsa_exception_fp_ieee_overflow 0
		.amdhsa_exception_fp_ieee_underflow 0
		.amdhsa_exception_fp_ieee_inexact 0
		.amdhsa_exception_int_div_zero 0
	.end_amdhsa_kernel
	.section	.text._ZN7rocprim17ROCPRIM_400000_NS6detail17trampoline_kernelINS0_14default_configENS1_38merge_sort_block_merge_config_selectorIjN6thrust23THRUST_200600_302600_NS5tupleIffNS6_9null_typeES8_S8_S8_S8_S8_S8_S8_EEEEZZNS1_27merge_sort_block_merge_implIS3_NS6_6detail15normal_iteratorINS6_10device_ptrIjEEEENSD_INSE_IS9_EEEEjNS1_19radix_merge_compareILb0ELb0EjNS0_19identity_decomposerEEEEE10hipError_tT0_T1_T2_jT3_P12ihipStream_tbPNSt15iterator_traitsISN_E10value_typeEPNST_ISO_E10value_typeEPSP_NS1_7vsmem_tEENKUlT_SN_SO_SP_E_clISG_PjSI_PS9_EESM_S12_SN_SO_SP_EUlS12_E1_NS1_11comp_targetILNS1_3genE2ELNS1_11target_archE906ELNS1_3gpuE6ELNS1_3repE0EEENS1_36merge_oddeven_config_static_selectorELNS0_4arch9wavefront6targetE0EEEvSO_,"axG",@progbits,_ZN7rocprim17ROCPRIM_400000_NS6detail17trampoline_kernelINS0_14default_configENS1_38merge_sort_block_merge_config_selectorIjN6thrust23THRUST_200600_302600_NS5tupleIffNS6_9null_typeES8_S8_S8_S8_S8_S8_S8_EEEEZZNS1_27merge_sort_block_merge_implIS3_NS6_6detail15normal_iteratorINS6_10device_ptrIjEEEENSD_INSE_IS9_EEEEjNS1_19radix_merge_compareILb0ELb0EjNS0_19identity_decomposerEEEEE10hipError_tT0_T1_T2_jT3_P12ihipStream_tbPNSt15iterator_traitsISN_E10value_typeEPNST_ISO_E10value_typeEPSP_NS1_7vsmem_tEENKUlT_SN_SO_SP_E_clISG_PjSI_PS9_EESM_S12_SN_SO_SP_EUlS12_E1_NS1_11comp_targetILNS1_3genE2ELNS1_11target_archE906ELNS1_3gpuE6ELNS1_3repE0EEENS1_36merge_oddeven_config_static_selectorELNS0_4arch9wavefront6targetE0EEEvSO_,comdat
.Lfunc_end70:
	.size	_ZN7rocprim17ROCPRIM_400000_NS6detail17trampoline_kernelINS0_14default_configENS1_38merge_sort_block_merge_config_selectorIjN6thrust23THRUST_200600_302600_NS5tupleIffNS6_9null_typeES8_S8_S8_S8_S8_S8_S8_EEEEZZNS1_27merge_sort_block_merge_implIS3_NS6_6detail15normal_iteratorINS6_10device_ptrIjEEEENSD_INSE_IS9_EEEEjNS1_19radix_merge_compareILb0ELb0EjNS0_19identity_decomposerEEEEE10hipError_tT0_T1_T2_jT3_P12ihipStream_tbPNSt15iterator_traitsISN_E10value_typeEPNST_ISO_E10value_typeEPSP_NS1_7vsmem_tEENKUlT_SN_SO_SP_E_clISG_PjSI_PS9_EESM_S12_SN_SO_SP_EUlS12_E1_NS1_11comp_targetILNS1_3genE2ELNS1_11target_archE906ELNS1_3gpuE6ELNS1_3repE0EEENS1_36merge_oddeven_config_static_selectorELNS0_4arch9wavefront6targetE0EEEvSO_, .Lfunc_end70-_ZN7rocprim17ROCPRIM_400000_NS6detail17trampoline_kernelINS0_14default_configENS1_38merge_sort_block_merge_config_selectorIjN6thrust23THRUST_200600_302600_NS5tupleIffNS6_9null_typeES8_S8_S8_S8_S8_S8_S8_EEEEZZNS1_27merge_sort_block_merge_implIS3_NS6_6detail15normal_iteratorINS6_10device_ptrIjEEEENSD_INSE_IS9_EEEEjNS1_19radix_merge_compareILb0ELb0EjNS0_19identity_decomposerEEEEE10hipError_tT0_T1_T2_jT3_P12ihipStream_tbPNSt15iterator_traitsISN_E10value_typeEPNST_ISO_E10value_typeEPSP_NS1_7vsmem_tEENKUlT_SN_SO_SP_E_clISG_PjSI_PS9_EESM_S12_SN_SO_SP_EUlS12_E1_NS1_11comp_targetILNS1_3genE2ELNS1_11target_archE906ELNS1_3gpuE6ELNS1_3repE0EEENS1_36merge_oddeven_config_static_selectorELNS0_4arch9wavefront6targetE0EEEvSO_
                                        ; -- End function
	.set _ZN7rocprim17ROCPRIM_400000_NS6detail17trampoline_kernelINS0_14default_configENS1_38merge_sort_block_merge_config_selectorIjN6thrust23THRUST_200600_302600_NS5tupleIffNS6_9null_typeES8_S8_S8_S8_S8_S8_S8_EEEEZZNS1_27merge_sort_block_merge_implIS3_NS6_6detail15normal_iteratorINS6_10device_ptrIjEEEENSD_INSE_IS9_EEEEjNS1_19radix_merge_compareILb0ELb0EjNS0_19identity_decomposerEEEEE10hipError_tT0_T1_T2_jT3_P12ihipStream_tbPNSt15iterator_traitsISN_E10value_typeEPNST_ISO_E10value_typeEPSP_NS1_7vsmem_tEENKUlT_SN_SO_SP_E_clISG_PjSI_PS9_EESM_S12_SN_SO_SP_EUlS12_E1_NS1_11comp_targetILNS1_3genE2ELNS1_11target_archE906ELNS1_3gpuE6ELNS1_3repE0EEENS1_36merge_oddeven_config_static_selectorELNS0_4arch9wavefront6targetE0EEEvSO_.num_vgpr, 0
	.set _ZN7rocprim17ROCPRIM_400000_NS6detail17trampoline_kernelINS0_14default_configENS1_38merge_sort_block_merge_config_selectorIjN6thrust23THRUST_200600_302600_NS5tupleIffNS6_9null_typeES8_S8_S8_S8_S8_S8_S8_EEEEZZNS1_27merge_sort_block_merge_implIS3_NS6_6detail15normal_iteratorINS6_10device_ptrIjEEEENSD_INSE_IS9_EEEEjNS1_19radix_merge_compareILb0ELb0EjNS0_19identity_decomposerEEEEE10hipError_tT0_T1_T2_jT3_P12ihipStream_tbPNSt15iterator_traitsISN_E10value_typeEPNST_ISO_E10value_typeEPSP_NS1_7vsmem_tEENKUlT_SN_SO_SP_E_clISG_PjSI_PS9_EESM_S12_SN_SO_SP_EUlS12_E1_NS1_11comp_targetILNS1_3genE2ELNS1_11target_archE906ELNS1_3gpuE6ELNS1_3repE0EEENS1_36merge_oddeven_config_static_selectorELNS0_4arch9wavefront6targetE0EEEvSO_.num_agpr, 0
	.set _ZN7rocprim17ROCPRIM_400000_NS6detail17trampoline_kernelINS0_14default_configENS1_38merge_sort_block_merge_config_selectorIjN6thrust23THRUST_200600_302600_NS5tupleIffNS6_9null_typeES8_S8_S8_S8_S8_S8_S8_EEEEZZNS1_27merge_sort_block_merge_implIS3_NS6_6detail15normal_iteratorINS6_10device_ptrIjEEEENSD_INSE_IS9_EEEEjNS1_19radix_merge_compareILb0ELb0EjNS0_19identity_decomposerEEEEE10hipError_tT0_T1_T2_jT3_P12ihipStream_tbPNSt15iterator_traitsISN_E10value_typeEPNST_ISO_E10value_typeEPSP_NS1_7vsmem_tEENKUlT_SN_SO_SP_E_clISG_PjSI_PS9_EESM_S12_SN_SO_SP_EUlS12_E1_NS1_11comp_targetILNS1_3genE2ELNS1_11target_archE906ELNS1_3gpuE6ELNS1_3repE0EEENS1_36merge_oddeven_config_static_selectorELNS0_4arch9wavefront6targetE0EEEvSO_.numbered_sgpr, 0
	.set _ZN7rocprim17ROCPRIM_400000_NS6detail17trampoline_kernelINS0_14default_configENS1_38merge_sort_block_merge_config_selectorIjN6thrust23THRUST_200600_302600_NS5tupleIffNS6_9null_typeES8_S8_S8_S8_S8_S8_S8_EEEEZZNS1_27merge_sort_block_merge_implIS3_NS6_6detail15normal_iteratorINS6_10device_ptrIjEEEENSD_INSE_IS9_EEEEjNS1_19radix_merge_compareILb0ELb0EjNS0_19identity_decomposerEEEEE10hipError_tT0_T1_T2_jT3_P12ihipStream_tbPNSt15iterator_traitsISN_E10value_typeEPNST_ISO_E10value_typeEPSP_NS1_7vsmem_tEENKUlT_SN_SO_SP_E_clISG_PjSI_PS9_EESM_S12_SN_SO_SP_EUlS12_E1_NS1_11comp_targetILNS1_3genE2ELNS1_11target_archE906ELNS1_3gpuE6ELNS1_3repE0EEENS1_36merge_oddeven_config_static_selectorELNS0_4arch9wavefront6targetE0EEEvSO_.num_named_barrier, 0
	.set _ZN7rocprim17ROCPRIM_400000_NS6detail17trampoline_kernelINS0_14default_configENS1_38merge_sort_block_merge_config_selectorIjN6thrust23THRUST_200600_302600_NS5tupleIffNS6_9null_typeES8_S8_S8_S8_S8_S8_S8_EEEEZZNS1_27merge_sort_block_merge_implIS3_NS6_6detail15normal_iteratorINS6_10device_ptrIjEEEENSD_INSE_IS9_EEEEjNS1_19radix_merge_compareILb0ELb0EjNS0_19identity_decomposerEEEEE10hipError_tT0_T1_T2_jT3_P12ihipStream_tbPNSt15iterator_traitsISN_E10value_typeEPNST_ISO_E10value_typeEPSP_NS1_7vsmem_tEENKUlT_SN_SO_SP_E_clISG_PjSI_PS9_EESM_S12_SN_SO_SP_EUlS12_E1_NS1_11comp_targetILNS1_3genE2ELNS1_11target_archE906ELNS1_3gpuE6ELNS1_3repE0EEENS1_36merge_oddeven_config_static_selectorELNS0_4arch9wavefront6targetE0EEEvSO_.private_seg_size, 0
	.set _ZN7rocprim17ROCPRIM_400000_NS6detail17trampoline_kernelINS0_14default_configENS1_38merge_sort_block_merge_config_selectorIjN6thrust23THRUST_200600_302600_NS5tupleIffNS6_9null_typeES8_S8_S8_S8_S8_S8_S8_EEEEZZNS1_27merge_sort_block_merge_implIS3_NS6_6detail15normal_iteratorINS6_10device_ptrIjEEEENSD_INSE_IS9_EEEEjNS1_19radix_merge_compareILb0ELb0EjNS0_19identity_decomposerEEEEE10hipError_tT0_T1_T2_jT3_P12ihipStream_tbPNSt15iterator_traitsISN_E10value_typeEPNST_ISO_E10value_typeEPSP_NS1_7vsmem_tEENKUlT_SN_SO_SP_E_clISG_PjSI_PS9_EESM_S12_SN_SO_SP_EUlS12_E1_NS1_11comp_targetILNS1_3genE2ELNS1_11target_archE906ELNS1_3gpuE6ELNS1_3repE0EEENS1_36merge_oddeven_config_static_selectorELNS0_4arch9wavefront6targetE0EEEvSO_.uses_vcc, 0
	.set _ZN7rocprim17ROCPRIM_400000_NS6detail17trampoline_kernelINS0_14default_configENS1_38merge_sort_block_merge_config_selectorIjN6thrust23THRUST_200600_302600_NS5tupleIffNS6_9null_typeES8_S8_S8_S8_S8_S8_S8_EEEEZZNS1_27merge_sort_block_merge_implIS3_NS6_6detail15normal_iteratorINS6_10device_ptrIjEEEENSD_INSE_IS9_EEEEjNS1_19radix_merge_compareILb0ELb0EjNS0_19identity_decomposerEEEEE10hipError_tT0_T1_T2_jT3_P12ihipStream_tbPNSt15iterator_traitsISN_E10value_typeEPNST_ISO_E10value_typeEPSP_NS1_7vsmem_tEENKUlT_SN_SO_SP_E_clISG_PjSI_PS9_EESM_S12_SN_SO_SP_EUlS12_E1_NS1_11comp_targetILNS1_3genE2ELNS1_11target_archE906ELNS1_3gpuE6ELNS1_3repE0EEENS1_36merge_oddeven_config_static_selectorELNS0_4arch9wavefront6targetE0EEEvSO_.uses_flat_scratch, 0
	.set _ZN7rocprim17ROCPRIM_400000_NS6detail17trampoline_kernelINS0_14default_configENS1_38merge_sort_block_merge_config_selectorIjN6thrust23THRUST_200600_302600_NS5tupleIffNS6_9null_typeES8_S8_S8_S8_S8_S8_S8_EEEEZZNS1_27merge_sort_block_merge_implIS3_NS6_6detail15normal_iteratorINS6_10device_ptrIjEEEENSD_INSE_IS9_EEEEjNS1_19radix_merge_compareILb0ELb0EjNS0_19identity_decomposerEEEEE10hipError_tT0_T1_T2_jT3_P12ihipStream_tbPNSt15iterator_traitsISN_E10value_typeEPNST_ISO_E10value_typeEPSP_NS1_7vsmem_tEENKUlT_SN_SO_SP_E_clISG_PjSI_PS9_EESM_S12_SN_SO_SP_EUlS12_E1_NS1_11comp_targetILNS1_3genE2ELNS1_11target_archE906ELNS1_3gpuE6ELNS1_3repE0EEENS1_36merge_oddeven_config_static_selectorELNS0_4arch9wavefront6targetE0EEEvSO_.has_dyn_sized_stack, 0
	.set _ZN7rocprim17ROCPRIM_400000_NS6detail17trampoline_kernelINS0_14default_configENS1_38merge_sort_block_merge_config_selectorIjN6thrust23THRUST_200600_302600_NS5tupleIffNS6_9null_typeES8_S8_S8_S8_S8_S8_S8_EEEEZZNS1_27merge_sort_block_merge_implIS3_NS6_6detail15normal_iteratorINS6_10device_ptrIjEEEENSD_INSE_IS9_EEEEjNS1_19radix_merge_compareILb0ELb0EjNS0_19identity_decomposerEEEEE10hipError_tT0_T1_T2_jT3_P12ihipStream_tbPNSt15iterator_traitsISN_E10value_typeEPNST_ISO_E10value_typeEPSP_NS1_7vsmem_tEENKUlT_SN_SO_SP_E_clISG_PjSI_PS9_EESM_S12_SN_SO_SP_EUlS12_E1_NS1_11comp_targetILNS1_3genE2ELNS1_11target_archE906ELNS1_3gpuE6ELNS1_3repE0EEENS1_36merge_oddeven_config_static_selectorELNS0_4arch9wavefront6targetE0EEEvSO_.has_recursion, 0
	.set _ZN7rocprim17ROCPRIM_400000_NS6detail17trampoline_kernelINS0_14default_configENS1_38merge_sort_block_merge_config_selectorIjN6thrust23THRUST_200600_302600_NS5tupleIffNS6_9null_typeES8_S8_S8_S8_S8_S8_S8_EEEEZZNS1_27merge_sort_block_merge_implIS3_NS6_6detail15normal_iteratorINS6_10device_ptrIjEEEENSD_INSE_IS9_EEEEjNS1_19radix_merge_compareILb0ELb0EjNS0_19identity_decomposerEEEEE10hipError_tT0_T1_T2_jT3_P12ihipStream_tbPNSt15iterator_traitsISN_E10value_typeEPNST_ISO_E10value_typeEPSP_NS1_7vsmem_tEENKUlT_SN_SO_SP_E_clISG_PjSI_PS9_EESM_S12_SN_SO_SP_EUlS12_E1_NS1_11comp_targetILNS1_3genE2ELNS1_11target_archE906ELNS1_3gpuE6ELNS1_3repE0EEENS1_36merge_oddeven_config_static_selectorELNS0_4arch9wavefront6targetE0EEEvSO_.has_indirect_call, 0
	.section	.AMDGPU.csdata,"",@progbits
; Kernel info:
; codeLenInByte = 0
; TotalNumSgprs: 0
; NumVgprs: 0
; ScratchSize: 0
; MemoryBound: 0
; FloatMode: 240
; IeeeMode: 1
; LDSByteSize: 0 bytes/workgroup (compile time only)
; SGPRBlocks: 0
; VGPRBlocks: 0
; NumSGPRsForWavesPerEU: 1
; NumVGPRsForWavesPerEU: 1
; Occupancy: 16
; WaveLimiterHint : 0
; COMPUTE_PGM_RSRC2:SCRATCH_EN: 0
; COMPUTE_PGM_RSRC2:USER_SGPR: 2
; COMPUTE_PGM_RSRC2:TRAP_HANDLER: 0
; COMPUTE_PGM_RSRC2:TGID_X_EN: 1
; COMPUTE_PGM_RSRC2:TGID_Y_EN: 0
; COMPUTE_PGM_RSRC2:TGID_Z_EN: 0
; COMPUTE_PGM_RSRC2:TIDIG_COMP_CNT: 0
	.section	.text._ZN7rocprim17ROCPRIM_400000_NS6detail17trampoline_kernelINS0_14default_configENS1_38merge_sort_block_merge_config_selectorIjN6thrust23THRUST_200600_302600_NS5tupleIffNS6_9null_typeES8_S8_S8_S8_S8_S8_S8_EEEEZZNS1_27merge_sort_block_merge_implIS3_NS6_6detail15normal_iteratorINS6_10device_ptrIjEEEENSD_INSE_IS9_EEEEjNS1_19radix_merge_compareILb0ELb0EjNS0_19identity_decomposerEEEEE10hipError_tT0_T1_T2_jT3_P12ihipStream_tbPNSt15iterator_traitsISN_E10value_typeEPNST_ISO_E10value_typeEPSP_NS1_7vsmem_tEENKUlT_SN_SO_SP_E_clISG_PjSI_PS9_EESM_S12_SN_SO_SP_EUlS12_E1_NS1_11comp_targetILNS1_3genE9ELNS1_11target_archE1100ELNS1_3gpuE3ELNS1_3repE0EEENS1_36merge_oddeven_config_static_selectorELNS0_4arch9wavefront6targetE0EEEvSO_,"axG",@progbits,_ZN7rocprim17ROCPRIM_400000_NS6detail17trampoline_kernelINS0_14default_configENS1_38merge_sort_block_merge_config_selectorIjN6thrust23THRUST_200600_302600_NS5tupleIffNS6_9null_typeES8_S8_S8_S8_S8_S8_S8_EEEEZZNS1_27merge_sort_block_merge_implIS3_NS6_6detail15normal_iteratorINS6_10device_ptrIjEEEENSD_INSE_IS9_EEEEjNS1_19radix_merge_compareILb0ELb0EjNS0_19identity_decomposerEEEEE10hipError_tT0_T1_T2_jT3_P12ihipStream_tbPNSt15iterator_traitsISN_E10value_typeEPNST_ISO_E10value_typeEPSP_NS1_7vsmem_tEENKUlT_SN_SO_SP_E_clISG_PjSI_PS9_EESM_S12_SN_SO_SP_EUlS12_E1_NS1_11comp_targetILNS1_3genE9ELNS1_11target_archE1100ELNS1_3gpuE3ELNS1_3repE0EEENS1_36merge_oddeven_config_static_selectorELNS0_4arch9wavefront6targetE0EEEvSO_,comdat
	.protected	_ZN7rocprim17ROCPRIM_400000_NS6detail17trampoline_kernelINS0_14default_configENS1_38merge_sort_block_merge_config_selectorIjN6thrust23THRUST_200600_302600_NS5tupleIffNS6_9null_typeES8_S8_S8_S8_S8_S8_S8_EEEEZZNS1_27merge_sort_block_merge_implIS3_NS6_6detail15normal_iteratorINS6_10device_ptrIjEEEENSD_INSE_IS9_EEEEjNS1_19radix_merge_compareILb0ELb0EjNS0_19identity_decomposerEEEEE10hipError_tT0_T1_T2_jT3_P12ihipStream_tbPNSt15iterator_traitsISN_E10value_typeEPNST_ISO_E10value_typeEPSP_NS1_7vsmem_tEENKUlT_SN_SO_SP_E_clISG_PjSI_PS9_EESM_S12_SN_SO_SP_EUlS12_E1_NS1_11comp_targetILNS1_3genE9ELNS1_11target_archE1100ELNS1_3gpuE3ELNS1_3repE0EEENS1_36merge_oddeven_config_static_selectorELNS0_4arch9wavefront6targetE0EEEvSO_ ; -- Begin function _ZN7rocprim17ROCPRIM_400000_NS6detail17trampoline_kernelINS0_14default_configENS1_38merge_sort_block_merge_config_selectorIjN6thrust23THRUST_200600_302600_NS5tupleIffNS6_9null_typeES8_S8_S8_S8_S8_S8_S8_EEEEZZNS1_27merge_sort_block_merge_implIS3_NS6_6detail15normal_iteratorINS6_10device_ptrIjEEEENSD_INSE_IS9_EEEEjNS1_19radix_merge_compareILb0ELb0EjNS0_19identity_decomposerEEEEE10hipError_tT0_T1_T2_jT3_P12ihipStream_tbPNSt15iterator_traitsISN_E10value_typeEPNST_ISO_E10value_typeEPSP_NS1_7vsmem_tEENKUlT_SN_SO_SP_E_clISG_PjSI_PS9_EESM_S12_SN_SO_SP_EUlS12_E1_NS1_11comp_targetILNS1_3genE9ELNS1_11target_archE1100ELNS1_3gpuE3ELNS1_3repE0EEENS1_36merge_oddeven_config_static_selectorELNS0_4arch9wavefront6targetE0EEEvSO_
	.globl	_ZN7rocprim17ROCPRIM_400000_NS6detail17trampoline_kernelINS0_14default_configENS1_38merge_sort_block_merge_config_selectorIjN6thrust23THRUST_200600_302600_NS5tupleIffNS6_9null_typeES8_S8_S8_S8_S8_S8_S8_EEEEZZNS1_27merge_sort_block_merge_implIS3_NS6_6detail15normal_iteratorINS6_10device_ptrIjEEEENSD_INSE_IS9_EEEEjNS1_19radix_merge_compareILb0ELb0EjNS0_19identity_decomposerEEEEE10hipError_tT0_T1_T2_jT3_P12ihipStream_tbPNSt15iterator_traitsISN_E10value_typeEPNST_ISO_E10value_typeEPSP_NS1_7vsmem_tEENKUlT_SN_SO_SP_E_clISG_PjSI_PS9_EESM_S12_SN_SO_SP_EUlS12_E1_NS1_11comp_targetILNS1_3genE9ELNS1_11target_archE1100ELNS1_3gpuE3ELNS1_3repE0EEENS1_36merge_oddeven_config_static_selectorELNS0_4arch9wavefront6targetE0EEEvSO_
	.p2align	8
	.type	_ZN7rocprim17ROCPRIM_400000_NS6detail17trampoline_kernelINS0_14default_configENS1_38merge_sort_block_merge_config_selectorIjN6thrust23THRUST_200600_302600_NS5tupleIffNS6_9null_typeES8_S8_S8_S8_S8_S8_S8_EEEEZZNS1_27merge_sort_block_merge_implIS3_NS6_6detail15normal_iteratorINS6_10device_ptrIjEEEENSD_INSE_IS9_EEEEjNS1_19radix_merge_compareILb0ELb0EjNS0_19identity_decomposerEEEEE10hipError_tT0_T1_T2_jT3_P12ihipStream_tbPNSt15iterator_traitsISN_E10value_typeEPNST_ISO_E10value_typeEPSP_NS1_7vsmem_tEENKUlT_SN_SO_SP_E_clISG_PjSI_PS9_EESM_S12_SN_SO_SP_EUlS12_E1_NS1_11comp_targetILNS1_3genE9ELNS1_11target_archE1100ELNS1_3gpuE3ELNS1_3repE0EEENS1_36merge_oddeven_config_static_selectorELNS0_4arch9wavefront6targetE0EEEvSO_,@function
_ZN7rocprim17ROCPRIM_400000_NS6detail17trampoline_kernelINS0_14default_configENS1_38merge_sort_block_merge_config_selectorIjN6thrust23THRUST_200600_302600_NS5tupleIffNS6_9null_typeES8_S8_S8_S8_S8_S8_S8_EEEEZZNS1_27merge_sort_block_merge_implIS3_NS6_6detail15normal_iteratorINS6_10device_ptrIjEEEENSD_INSE_IS9_EEEEjNS1_19radix_merge_compareILb0ELb0EjNS0_19identity_decomposerEEEEE10hipError_tT0_T1_T2_jT3_P12ihipStream_tbPNSt15iterator_traitsISN_E10value_typeEPNST_ISO_E10value_typeEPSP_NS1_7vsmem_tEENKUlT_SN_SO_SP_E_clISG_PjSI_PS9_EESM_S12_SN_SO_SP_EUlS12_E1_NS1_11comp_targetILNS1_3genE9ELNS1_11target_archE1100ELNS1_3gpuE3ELNS1_3repE0EEENS1_36merge_oddeven_config_static_selectorELNS0_4arch9wavefront6targetE0EEEvSO_: ; @_ZN7rocprim17ROCPRIM_400000_NS6detail17trampoline_kernelINS0_14default_configENS1_38merge_sort_block_merge_config_selectorIjN6thrust23THRUST_200600_302600_NS5tupleIffNS6_9null_typeES8_S8_S8_S8_S8_S8_S8_EEEEZZNS1_27merge_sort_block_merge_implIS3_NS6_6detail15normal_iteratorINS6_10device_ptrIjEEEENSD_INSE_IS9_EEEEjNS1_19radix_merge_compareILb0ELb0EjNS0_19identity_decomposerEEEEE10hipError_tT0_T1_T2_jT3_P12ihipStream_tbPNSt15iterator_traitsISN_E10value_typeEPNST_ISO_E10value_typeEPSP_NS1_7vsmem_tEENKUlT_SN_SO_SP_E_clISG_PjSI_PS9_EESM_S12_SN_SO_SP_EUlS12_E1_NS1_11comp_targetILNS1_3genE9ELNS1_11target_archE1100ELNS1_3gpuE3ELNS1_3repE0EEENS1_36merge_oddeven_config_static_selectorELNS0_4arch9wavefront6targetE0EEEvSO_
; %bb.0:
	.section	.rodata,"a",@progbits
	.p2align	6, 0x0
	.amdhsa_kernel _ZN7rocprim17ROCPRIM_400000_NS6detail17trampoline_kernelINS0_14default_configENS1_38merge_sort_block_merge_config_selectorIjN6thrust23THRUST_200600_302600_NS5tupleIffNS6_9null_typeES8_S8_S8_S8_S8_S8_S8_EEEEZZNS1_27merge_sort_block_merge_implIS3_NS6_6detail15normal_iteratorINS6_10device_ptrIjEEEENSD_INSE_IS9_EEEEjNS1_19radix_merge_compareILb0ELb0EjNS0_19identity_decomposerEEEEE10hipError_tT0_T1_T2_jT3_P12ihipStream_tbPNSt15iterator_traitsISN_E10value_typeEPNST_ISO_E10value_typeEPSP_NS1_7vsmem_tEENKUlT_SN_SO_SP_E_clISG_PjSI_PS9_EESM_S12_SN_SO_SP_EUlS12_E1_NS1_11comp_targetILNS1_3genE9ELNS1_11target_archE1100ELNS1_3gpuE3ELNS1_3repE0EEENS1_36merge_oddeven_config_static_selectorELNS0_4arch9wavefront6targetE0EEEvSO_
		.amdhsa_group_segment_fixed_size 0
		.amdhsa_private_segment_fixed_size 0
		.amdhsa_kernarg_size 48
		.amdhsa_user_sgpr_count 2
		.amdhsa_user_sgpr_dispatch_ptr 0
		.amdhsa_user_sgpr_queue_ptr 0
		.amdhsa_user_sgpr_kernarg_segment_ptr 1
		.amdhsa_user_sgpr_dispatch_id 0
		.amdhsa_user_sgpr_private_segment_size 0
		.amdhsa_wavefront_size32 1
		.amdhsa_uses_dynamic_stack 0
		.amdhsa_enable_private_segment 0
		.amdhsa_system_sgpr_workgroup_id_x 1
		.amdhsa_system_sgpr_workgroup_id_y 0
		.amdhsa_system_sgpr_workgroup_id_z 0
		.amdhsa_system_sgpr_workgroup_info 0
		.amdhsa_system_vgpr_workitem_id 0
		.amdhsa_next_free_vgpr 1
		.amdhsa_next_free_sgpr 1
		.amdhsa_reserve_vcc 0
		.amdhsa_float_round_mode_32 0
		.amdhsa_float_round_mode_16_64 0
		.amdhsa_float_denorm_mode_32 3
		.amdhsa_float_denorm_mode_16_64 3
		.amdhsa_fp16_overflow 0
		.amdhsa_workgroup_processor_mode 1
		.amdhsa_memory_ordered 1
		.amdhsa_forward_progress 1
		.amdhsa_inst_pref_size 0
		.amdhsa_round_robin_scheduling 0
		.amdhsa_exception_fp_ieee_invalid_op 0
		.amdhsa_exception_fp_denorm_src 0
		.amdhsa_exception_fp_ieee_div_zero 0
		.amdhsa_exception_fp_ieee_overflow 0
		.amdhsa_exception_fp_ieee_underflow 0
		.amdhsa_exception_fp_ieee_inexact 0
		.amdhsa_exception_int_div_zero 0
	.end_amdhsa_kernel
	.section	.text._ZN7rocprim17ROCPRIM_400000_NS6detail17trampoline_kernelINS0_14default_configENS1_38merge_sort_block_merge_config_selectorIjN6thrust23THRUST_200600_302600_NS5tupleIffNS6_9null_typeES8_S8_S8_S8_S8_S8_S8_EEEEZZNS1_27merge_sort_block_merge_implIS3_NS6_6detail15normal_iteratorINS6_10device_ptrIjEEEENSD_INSE_IS9_EEEEjNS1_19radix_merge_compareILb0ELb0EjNS0_19identity_decomposerEEEEE10hipError_tT0_T1_T2_jT3_P12ihipStream_tbPNSt15iterator_traitsISN_E10value_typeEPNST_ISO_E10value_typeEPSP_NS1_7vsmem_tEENKUlT_SN_SO_SP_E_clISG_PjSI_PS9_EESM_S12_SN_SO_SP_EUlS12_E1_NS1_11comp_targetILNS1_3genE9ELNS1_11target_archE1100ELNS1_3gpuE3ELNS1_3repE0EEENS1_36merge_oddeven_config_static_selectorELNS0_4arch9wavefront6targetE0EEEvSO_,"axG",@progbits,_ZN7rocprim17ROCPRIM_400000_NS6detail17trampoline_kernelINS0_14default_configENS1_38merge_sort_block_merge_config_selectorIjN6thrust23THRUST_200600_302600_NS5tupleIffNS6_9null_typeES8_S8_S8_S8_S8_S8_S8_EEEEZZNS1_27merge_sort_block_merge_implIS3_NS6_6detail15normal_iteratorINS6_10device_ptrIjEEEENSD_INSE_IS9_EEEEjNS1_19radix_merge_compareILb0ELb0EjNS0_19identity_decomposerEEEEE10hipError_tT0_T1_T2_jT3_P12ihipStream_tbPNSt15iterator_traitsISN_E10value_typeEPNST_ISO_E10value_typeEPSP_NS1_7vsmem_tEENKUlT_SN_SO_SP_E_clISG_PjSI_PS9_EESM_S12_SN_SO_SP_EUlS12_E1_NS1_11comp_targetILNS1_3genE9ELNS1_11target_archE1100ELNS1_3gpuE3ELNS1_3repE0EEENS1_36merge_oddeven_config_static_selectorELNS0_4arch9wavefront6targetE0EEEvSO_,comdat
.Lfunc_end71:
	.size	_ZN7rocprim17ROCPRIM_400000_NS6detail17trampoline_kernelINS0_14default_configENS1_38merge_sort_block_merge_config_selectorIjN6thrust23THRUST_200600_302600_NS5tupleIffNS6_9null_typeES8_S8_S8_S8_S8_S8_S8_EEEEZZNS1_27merge_sort_block_merge_implIS3_NS6_6detail15normal_iteratorINS6_10device_ptrIjEEEENSD_INSE_IS9_EEEEjNS1_19radix_merge_compareILb0ELb0EjNS0_19identity_decomposerEEEEE10hipError_tT0_T1_T2_jT3_P12ihipStream_tbPNSt15iterator_traitsISN_E10value_typeEPNST_ISO_E10value_typeEPSP_NS1_7vsmem_tEENKUlT_SN_SO_SP_E_clISG_PjSI_PS9_EESM_S12_SN_SO_SP_EUlS12_E1_NS1_11comp_targetILNS1_3genE9ELNS1_11target_archE1100ELNS1_3gpuE3ELNS1_3repE0EEENS1_36merge_oddeven_config_static_selectorELNS0_4arch9wavefront6targetE0EEEvSO_, .Lfunc_end71-_ZN7rocprim17ROCPRIM_400000_NS6detail17trampoline_kernelINS0_14default_configENS1_38merge_sort_block_merge_config_selectorIjN6thrust23THRUST_200600_302600_NS5tupleIffNS6_9null_typeES8_S8_S8_S8_S8_S8_S8_EEEEZZNS1_27merge_sort_block_merge_implIS3_NS6_6detail15normal_iteratorINS6_10device_ptrIjEEEENSD_INSE_IS9_EEEEjNS1_19radix_merge_compareILb0ELb0EjNS0_19identity_decomposerEEEEE10hipError_tT0_T1_T2_jT3_P12ihipStream_tbPNSt15iterator_traitsISN_E10value_typeEPNST_ISO_E10value_typeEPSP_NS1_7vsmem_tEENKUlT_SN_SO_SP_E_clISG_PjSI_PS9_EESM_S12_SN_SO_SP_EUlS12_E1_NS1_11comp_targetILNS1_3genE9ELNS1_11target_archE1100ELNS1_3gpuE3ELNS1_3repE0EEENS1_36merge_oddeven_config_static_selectorELNS0_4arch9wavefront6targetE0EEEvSO_
                                        ; -- End function
	.set _ZN7rocprim17ROCPRIM_400000_NS6detail17trampoline_kernelINS0_14default_configENS1_38merge_sort_block_merge_config_selectorIjN6thrust23THRUST_200600_302600_NS5tupleIffNS6_9null_typeES8_S8_S8_S8_S8_S8_S8_EEEEZZNS1_27merge_sort_block_merge_implIS3_NS6_6detail15normal_iteratorINS6_10device_ptrIjEEEENSD_INSE_IS9_EEEEjNS1_19radix_merge_compareILb0ELb0EjNS0_19identity_decomposerEEEEE10hipError_tT0_T1_T2_jT3_P12ihipStream_tbPNSt15iterator_traitsISN_E10value_typeEPNST_ISO_E10value_typeEPSP_NS1_7vsmem_tEENKUlT_SN_SO_SP_E_clISG_PjSI_PS9_EESM_S12_SN_SO_SP_EUlS12_E1_NS1_11comp_targetILNS1_3genE9ELNS1_11target_archE1100ELNS1_3gpuE3ELNS1_3repE0EEENS1_36merge_oddeven_config_static_selectorELNS0_4arch9wavefront6targetE0EEEvSO_.num_vgpr, 0
	.set _ZN7rocprim17ROCPRIM_400000_NS6detail17trampoline_kernelINS0_14default_configENS1_38merge_sort_block_merge_config_selectorIjN6thrust23THRUST_200600_302600_NS5tupleIffNS6_9null_typeES8_S8_S8_S8_S8_S8_S8_EEEEZZNS1_27merge_sort_block_merge_implIS3_NS6_6detail15normal_iteratorINS6_10device_ptrIjEEEENSD_INSE_IS9_EEEEjNS1_19radix_merge_compareILb0ELb0EjNS0_19identity_decomposerEEEEE10hipError_tT0_T1_T2_jT3_P12ihipStream_tbPNSt15iterator_traitsISN_E10value_typeEPNST_ISO_E10value_typeEPSP_NS1_7vsmem_tEENKUlT_SN_SO_SP_E_clISG_PjSI_PS9_EESM_S12_SN_SO_SP_EUlS12_E1_NS1_11comp_targetILNS1_3genE9ELNS1_11target_archE1100ELNS1_3gpuE3ELNS1_3repE0EEENS1_36merge_oddeven_config_static_selectorELNS0_4arch9wavefront6targetE0EEEvSO_.num_agpr, 0
	.set _ZN7rocprim17ROCPRIM_400000_NS6detail17trampoline_kernelINS0_14default_configENS1_38merge_sort_block_merge_config_selectorIjN6thrust23THRUST_200600_302600_NS5tupleIffNS6_9null_typeES8_S8_S8_S8_S8_S8_S8_EEEEZZNS1_27merge_sort_block_merge_implIS3_NS6_6detail15normal_iteratorINS6_10device_ptrIjEEEENSD_INSE_IS9_EEEEjNS1_19radix_merge_compareILb0ELb0EjNS0_19identity_decomposerEEEEE10hipError_tT0_T1_T2_jT3_P12ihipStream_tbPNSt15iterator_traitsISN_E10value_typeEPNST_ISO_E10value_typeEPSP_NS1_7vsmem_tEENKUlT_SN_SO_SP_E_clISG_PjSI_PS9_EESM_S12_SN_SO_SP_EUlS12_E1_NS1_11comp_targetILNS1_3genE9ELNS1_11target_archE1100ELNS1_3gpuE3ELNS1_3repE0EEENS1_36merge_oddeven_config_static_selectorELNS0_4arch9wavefront6targetE0EEEvSO_.numbered_sgpr, 0
	.set _ZN7rocprim17ROCPRIM_400000_NS6detail17trampoline_kernelINS0_14default_configENS1_38merge_sort_block_merge_config_selectorIjN6thrust23THRUST_200600_302600_NS5tupleIffNS6_9null_typeES8_S8_S8_S8_S8_S8_S8_EEEEZZNS1_27merge_sort_block_merge_implIS3_NS6_6detail15normal_iteratorINS6_10device_ptrIjEEEENSD_INSE_IS9_EEEEjNS1_19radix_merge_compareILb0ELb0EjNS0_19identity_decomposerEEEEE10hipError_tT0_T1_T2_jT3_P12ihipStream_tbPNSt15iterator_traitsISN_E10value_typeEPNST_ISO_E10value_typeEPSP_NS1_7vsmem_tEENKUlT_SN_SO_SP_E_clISG_PjSI_PS9_EESM_S12_SN_SO_SP_EUlS12_E1_NS1_11comp_targetILNS1_3genE9ELNS1_11target_archE1100ELNS1_3gpuE3ELNS1_3repE0EEENS1_36merge_oddeven_config_static_selectorELNS0_4arch9wavefront6targetE0EEEvSO_.num_named_barrier, 0
	.set _ZN7rocprim17ROCPRIM_400000_NS6detail17trampoline_kernelINS0_14default_configENS1_38merge_sort_block_merge_config_selectorIjN6thrust23THRUST_200600_302600_NS5tupleIffNS6_9null_typeES8_S8_S8_S8_S8_S8_S8_EEEEZZNS1_27merge_sort_block_merge_implIS3_NS6_6detail15normal_iteratorINS6_10device_ptrIjEEEENSD_INSE_IS9_EEEEjNS1_19radix_merge_compareILb0ELb0EjNS0_19identity_decomposerEEEEE10hipError_tT0_T1_T2_jT3_P12ihipStream_tbPNSt15iterator_traitsISN_E10value_typeEPNST_ISO_E10value_typeEPSP_NS1_7vsmem_tEENKUlT_SN_SO_SP_E_clISG_PjSI_PS9_EESM_S12_SN_SO_SP_EUlS12_E1_NS1_11comp_targetILNS1_3genE9ELNS1_11target_archE1100ELNS1_3gpuE3ELNS1_3repE0EEENS1_36merge_oddeven_config_static_selectorELNS0_4arch9wavefront6targetE0EEEvSO_.private_seg_size, 0
	.set _ZN7rocprim17ROCPRIM_400000_NS6detail17trampoline_kernelINS0_14default_configENS1_38merge_sort_block_merge_config_selectorIjN6thrust23THRUST_200600_302600_NS5tupleIffNS6_9null_typeES8_S8_S8_S8_S8_S8_S8_EEEEZZNS1_27merge_sort_block_merge_implIS3_NS6_6detail15normal_iteratorINS6_10device_ptrIjEEEENSD_INSE_IS9_EEEEjNS1_19radix_merge_compareILb0ELb0EjNS0_19identity_decomposerEEEEE10hipError_tT0_T1_T2_jT3_P12ihipStream_tbPNSt15iterator_traitsISN_E10value_typeEPNST_ISO_E10value_typeEPSP_NS1_7vsmem_tEENKUlT_SN_SO_SP_E_clISG_PjSI_PS9_EESM_S12_SN_SO_SP_EUlS12_E1_NS1_11comp_targetILNS1_3genE9ELNS1_11target_archE1100ELNS1_3gpuE3ELNS1_3repE0EEENS1_36merge_oddeven_config_static_selectorELNS0_4arch9wavefront6targetE0EEEvSO_.uses_vcc, 0
	.set _ZN7rocprim17ROCPRIM_400000_NS6detail17trampoline_kernelINS0_14default_configENS1_38merge_sort_block_merge_config_selectorIjN6thrust23THRUST_200600_302600_NS5tupleIffNS6_9null_typeES8_S8_S8_S8_S8_S8_S8_EEEEZZNS1_27merge_sort_block_merge_implIS3_NS6_6detail15normal_iteratorINS6_10device_ptrIjEEEENSD_INSE_IS9_EEEEjNS1_19radix_merge_compareILb0ELb0EjNS0_19identity_decomposerEEEEE10hipError_tT0_T1_T2_jT3_P12ihipStream_tbPNSt15iterator_traitsISN_E10value_typeEPNST_ISO_E10value_typeEPSP_NS1_7vsmem_tEENKUlT_SN_SO_SP_E_clISG_PjSI_PS9_EESM_S12_SN_SO_SP_EUlS12_E1_NS1_11comp_targetILNS1_3genE9ELNS1_11target_archE1100ELNS1_3gpuE3ELNS1_3repE0EEENS1_36merge_oddeven_config_static_selectorELNS0_4arch9wavefront6targetE0EEEvSO_.uses_flat_scratch, 0
	.set _ZN7rocprim17ROCPRIM_400000_NS6detail17trampoline_kernelINS0_14default_configENS1_38merge_sort_block_merge_config_selectorIjN6thrust23THRUST_200600_302600_NS5tupleIffNS6_9null_typeES8_S8_S8_S8_S8_S8_S8_EEEEZZNS1_27merge_sort_block_merge_implIS3_NS6_6detail15normal_iteratorINS6_10device_ptrIjEEEENSD_INSE_IS9_EEEEjNS1_19radix_merge_compareILb0ELb0EjNS0_19identity_decomposerEEEEE10hipError_tT0_T1_T2_jT3_P12ihipStream_tbPNSt15iterator_traitsISN_E10value_typeEPNST_ISO_E10value_typeEPSP_NS1_7vsmem_tEENKUlT_SN_SO_SP_E_clISG_PjSI_PS9_EESM_S12_SN_SO_SP_EUlS12_E1_NS1_11comp_targetILNS1_3genE9ELNS1_11target_archE1100ELNS1_3gpuE3ELNS1_3repE0EEENS1_36merge_oddeven_config_static_selectorELNS0_4arch9wavefront6targetE0EEEvSO_.has_dyn_sized_stack, 0
	.set _ZN7rocprim17ROCPRIM_400000_NS6detail17trampoline_kernelINS0_14default_configENS1_38merge_sort_block_merge_config_selectorIjN6thrust23THRUST_200600_302600_NS5tupleIffNS6_9null_typeES8_S8_S8_S8_S8_S8_S8_EEEEZZNS1_27merge_sort_block_merge_implIS3_NS6_6detail15normal_iteratorINS6_10device_ptrIjEEEENSD_INSE_IS9_EEEEjNS1_19radix_merge_compareILb0ELb0EjNS0_19identity_decomposerEEEEE10hipError_tT0_T1_T2_jT3_P12ihipStream_tbPNSt15iterator_traitsISN_E10value_typeEPNST_ISO_E10value_typeEPSP_NS1_7vsmem_tEENKUlT_SN_SO_SP_E_clISG_PjSI_PS9_EESM_S12_SN_SO_SP_EUlS12_E1_NS1_11comp_targetILNS1_3genE9ELNS1_11target_archE1100ELNS1_3gpuE3ELNS1_3repE0EEENS1_36merge_oddeven_config_static_selectorELNS0_4arch9wavefront6targetE0EEEvSO_.has_recursion, 0
	.set _ZN7rocprim17ROCPRIM_400000_NS6detail17trampoline_kernelINS0_14default_configENS1_38merge_sort_block_merge_config_selectorIjN6thrust23THRUST_200600_302600_NS5tupleIffNS6_9null_typeES8_S8_S8_S8_S8_S8_S8_EEEEZZNS1_27merge_sort_block_merge_implIS3_NS6_6detail15normal_iteratorINS6_10device_ptrIjEEEENSD_INSE_IS9_EEEEjNS1_19radix_merge_compareILb0ELb0EjNS0_19identity_decomposerEEEEE10hipError_tT0_T1_T2_jT3_P12ihipStream_tbPNSt15iterator_traitsISN_E10value_typeEPNST_ISO_E10value_typeEPSP_NS1_7vsmem_tEENKUlT_SN_SO_SP_E_clISG_PjSI_PS9_EESM_S12_SN_SO_SP_EUlS12_E1_NS1_11comp_targetILNS1_3genE9ELNS1_11target_archE1100ELNS1_3gpuE3ELNS1_3repE0EEENS1_36merge_oddeven_config_static_selectorELNS0_4arch9wavefront6targetE0EEEvSO_.has_indirect_call, 0
	.section	.AMDGPU.csdata,"",@progbits
; Kernel info:
; codeLenInByte = 0
; TotalNumSgprs: 0
; NumVgprs: 0
; ScratchSize: 0
; MemoryBound: 0
; FloatMode: 240
; IeeeMode: 1
; LDSByteSize: 0 bytes/workgroup (compile time only)
; SGPRBlocks: 0
; VGPRBlocks: 0
; NumSGPRsForWavesPerEU: 1
; NumVGPRsForWavesPerEU: 1
; Occupancy: 16
; WaveLimiterHint : 0
; COMPUTE_PGM_RSRC2:SCRATCH_EN: 0
; COMPUTE_PGM_RSRC2:USER_SGPR: 2
; COMPUTE_PGM_RSRC2:TRAP_HANDLER: 0
; COMPUTE_PGM_RSRC2:TGID_X_EN: 1
; COMPUTE_PGM_RSRC2:TGID_Y_EN: 0
; COMPUTE_PGM_RSRC2:TGID_Z_EN: 0
; COMPUTE_PGM_RSRC2:TIDIG_COMP_CNT: 0
	.section	.text._ZN7rocprim17ROCPRIM_400000_NS6detail17trampoline_kernelINS0_14default_configENS1_38merge_sort_block_merge_config_selectorIjN6thrust23THRUST_200600_302600_NS5tupleIffNS6_9null_typeES8_S8_S8_S8_S8_S8_S8_EEEEZZNS1_27merge_sort_block_merge_implIS3_NS6_6detail15normal_iteratorINS6_10device_ptrIjEEEENSD_INSE_IS9_EEEEjNS1_19radix_merge_compareILb0ELb0EjNS0_19identity_decomposerEEEEE10hipError_tT0_T1_T2_jT3_P12ihipStream_tbPNSt15iterator_traitsISN_E10value_typeEPNST_ISO_E10value_typeEPSP_NS1_7vsmem_tEENKUlT_SN_SO_SP_E_clISG_PjSI_PS9_EESM_S12_SN_SO_SP_EUlS12_E1_NS1_11comp_targetILNS1_3genE8ELNS1_11target_archE1030ELNS1_3gpuE2ELNS1_3repE0EEENS1_36merge_oddeven_config_static_selectorELNS0_4arch9wavefront6targetE0EEEvSO_,"axG",@progbits,_ZN7rocprim17ROCPRIM_400000_NS6detail17trampoline_kernelINS0_14default_configENS1_38merge_sort_block_merge_config_selectorIjN6thrust23THRUST_200600_302600_NS5tupleIffNS6_9null_typeES8_S8_S8_S8_S8_S8_S8_EEEEZZNS1_27merge_sort_block_merge_implIS3_NS6_6detail15normal_iteratorINS6_10device_ptrIjEEEENSD_INSE_IS9_EEEEjNS1_19radix_merge_compareILb0ELb0EjNS0_19identity_decomposerEEEEE10hipError_tT0_T1_T2_jT3_P12ihipStream_tbPNSt15iterator_traitsISN_E10value_typeEPNST_ISO_E10value_typeEPSP_NS1_7vsmem_tEENKUlT_SN_SO_SP_E_clISG_PjSI_PS9_EESM_S12_SN_SO_SP_EUlS12_E1_NS1_11comp_targetILNS1_3genE8ELNS1_11target_archE1030ELNS1_3gpuE2ELNS1_3repE0EEENS1_36merge_oddeven_config_static_selectorELNS0_4arch9wavefront6targetE0EEEvSO_,comdat
	.protected	_ZN7rocprim17ROCPRIM_400000_NS6detail17trampoline_kernelINS0_14default_configENS1_38merge_sort_block_merge_config_selectorIjN6thrust23THRUST_200600_302600_NS5tupleIffNS6_9null_typeES8_S8_S8_S8_S8_S8_S8_EEEEZZNS1_27merge_sort_block_merge_implIS3_NS6_6detail15normal_iteratorINS6_10device_ptrIjEEEENSD_INSE_IS9_EEEEjNS1_19radix_merge_compareILb0ELb0EjNS0_19identity_decomposerEEEEE10hipError_tT0_T1_T2_jT3_P12ihipStream_tbPNSt15iterator_traitsISN_E10value_typeEPNST_ISO_E10value_typeEPSP_NS1_7vsmem_tEENKUlT_SN_SO_SP_E_clISG_PjSI_PS9_EESM_S12_SN_SO_SP_EUlS12_E1_NS1_11comp_targetILNS1_3genE8ELNS1_11target_archE1030ELNS1_3gpuE2ELNS1_3repE0EEENS1_36merge_oddeven_config_static_selectorELNS0_4arch9wavefront6targetE0EEEvSO_ ; -- Begin function _ZN7rocprim17ROCPRIM_400000_NS6detail17trampoline_kernelINS0_14default_configENS1_38merge_sort_block_merge_config_selectorIjN6thrust23THRUST_200600_302600_NS5tupleIffNS6_9null_typeES8_S8_S8_S8_S8_S8_S8_EEEEZZNS1_27merge_sort_block_merge_implIS3_NS6_6detail15normal_iteratorINS6_10device_ptrIjEEEENSD_INSE_IS9_EEEEjNS1_19radix_merge_compareILb0ELb0EjNS0_19identity_decomposerEEEEE10hipError_tT0_T1_T2_jT3_P12ihipStream_tbPNSt15iterator_traitsISN_E10value_typeEPNST_ISO_E10value_typeEPSP_NS1_7vsmem_tEENKUlT_SN_SO_SP_E_clISG_PjSI_PS9_EESM_S12_SN_SO_SP_EUlS12_E1_NS1_11comp_targetILNS1_3genE8ELNS1_11target_archE1030ELNS1_3gpuE2ELNS1_3repE0EEENS1_36merge_oddeven_config_static_selectorELNS0_4arch9wavefront6targetE0EEEvSO_
	.globl	_ZN7rocprim17ROCPRIM_400000_NS6detail17trampoline_kernelINS0_14default_configENS1_38merge_sort_block_merge_config_selectorIjN6thrust23THRUST_200600_302600_NS5tupleIffNS6_9null_typeES8_S8_S8_S8_S8_S8_S8_EEEEZZNS1_27merge_sort_block_merge_implIS3_NS6_6detail15normal_iteratorINS6_10device_ptrIjEEEENSD_INSE_IS9_EEEEjNS1_19radix_merge_compareILb0ELb0EjNS0_19identity_decomposerEEEEE10hipError_tT0_T1_T2_jT3_P12ihipStream_tbPNSt15iterator_traitsISN_E10value_typeEPNST_ISO_E10value_typeEPSP_NS1_7vsmem_tEENKUlT_SN_SO_SP_E_clISG_PjSI_PS9_EESM_S12_SN_SO_SP_EUlS12_E1_NS1_11comp_targetILNS1_3genE8ELNS1_11target_archE1030ELNS1_3gpuE2ELNS1_3repE0EEENS1_36merge_oddeven_config_static_selectorELNS0_4arch9wavefront6targetE0EEEvSO_
	.p2align	8
	.type	_ZN7rocprim17ROCPRIM_400000_NS6detail17trampoline_kernelINS0_14default_configENS1_38merge_sort_block_merge_config_selectorIjN6thrust23THRUST_200600_302600_NS5tupleIffNS6_9null_typeES8_S8_S8_S8_S8_S8_S8_EEEEZZNS1_27merge_sort_block_merge_implIS3_NS6_6detail15normal_iteratorINS6_10device_ptrIjEEEENSD_INSE_IS9_EEEEjNS1_19radix_merge_compareILb0ELb0EjNS0_19identity_decomposerEEEEE10hipError_tT0_T1_T2_jT3_P12ihipStream_tbPNSt15iterator_traitsISN_E10value_typeEPNST_ISO_E10value_typeEPSP_NS1_7vsmem_tEENKUlT_SN_SO_SP_E_clISG_PjSI_PS9_EESM_S12_SN_SO_SP_EUlS12_E1_NS1_11comp_targetILNS1_3genE8ELNS1_11target_archE1030ELNS1_3gpuE2ELNS1_3repE0EEENS1_36merge_oddeven_config_static_selectorELNS0_4arch9wavefront6targetE0EEEvSO_,@function
_ZN7rocprim17ROCPRIM_400000_NS6detail17trampoline_kernelINS0_14default_configENS1_38merge_sort_block_merge_config_selectorIjN6thrust23THRUST_200600_302600_NS5tupleIffNS6_9null_typeES8_S8_S8_S8_S8_S8_S8_EEEEZZNS1_27merge_sort_block_merge_implIS3_NS6_6detail15normal_iteratorINS6_10device_ptrIjEEEENSD_INSE_IS9_EEEEjNS1_19radix_merge_compareILb0ELb0EjNS0_19identity_decomposerEEEEE10hipError_tT0_T1_T2_jT3_P12ihipStream_tbPNSt15iterator_traitsISN_E10value_typeEPNST_ISO_E10value_typeEPSP_NS1_7vsmem_tEENKUlT_SN_SO_SP_E_clISG_PjSI_PS9_EESM_S12_SN_SO_SP_EUlS12_E1_NS1_11comp_targetILNS1_3genE8ELNS1_11target_archE1030ELNS1_3gpuE2ELNS1_3repE0EEENS1_36merge_oddeven_config_static_selectorELNS0_4arch9wavefront6targetE0EEEvSO_: ; @_ZN7rocprim17ROCPRIM_400000_NS6detail17trampoline_kernelINS0_14default_configENS1_38merge_sort_block_merge_config_selectorIjN6thrust23THRUST_200600_302600_NS5tupleIffNS6_9null_typeES8_S8_S8_S8_S8_S8_S8_EEEEZZNS1_27merge_sort_block_merge_implIS3_NS6_6detail15normal_iteratorINS6_10device_ptrIjEEEENSD_INSE_IS9_EEEEjNS1_19radix_merge_compareILb0ELb0EjNS0_19identity_decomposerEEEEE10hipError_tT0_T1_T2_jT3_P12ihipStream_tbPNSt15iterator_traitsISN_E10value_typeEPNST_ISO_E10value_typeEPSP_NS1_7vsmem_tEENKUlT_SN_SO_SP_E_clISG_PjSI_PS9_EESM_S12_SN_SO_SP_EUlS12_E1_NS1_11comp_targetILNS1_3genE8ELNS1_11target_archE1030ELNS1_3gpuE2ELNS1_3repE0EEENS1_36merge_oddeven_config_static_selectorELNS0_4arch9wavefront6targetE0EEEvSO_
; %bb.0:
	.section	.rodata,"a",@progbits
	.p2align	6, 0x0
	.amdhsa_kernel _ZN7rocprim17ROCPRIM_400000_NS6detail17trampoline_kernelINS0_14default_configENS1_38merge_sort_block_merge_config_selectorIjN6thrust23THRUST_200600_302600_NS5tupleIffNS6_9null_typeES8_S8_S8_S8_S8_S8_S8_EEEEZZNS1_27merge_sort_block_merge_implIS3_NS6_6detail15normal_iteratorINS6_10device_ptrIjEEEENSD_INSE_IS9_EEEEjNS1_19radix_merge_compareILb0ELb0EjNS0_19identity_decomposerEEEEE10hipError_tT0_T1_T2_jT3_P12ihipStream_tbPNSt15iterator_traitsISN_E10value_typeEPNST_ISO_E10value_typeEPSP_NS1_7vsmem_tEENKUlT_SN_SO_SP_E_clISG_PjSI_PS9_EESM_S12_SN_SO_SP_EUlS12_E1_NS1_11comp_targetILNS1_3genE8ELNS1_11target_archE1030ELNS1_3gpuE2ELNS1_3repE0EEENS1_36merge_oddeven_config_static_selectorELNS0_4arch9wavefront6targetE0EEEvSO_
		.amdhsa_group_segment_fixed_size 0
		.amdhsa_private_segment_fixed_size 0
		.amdhsa_kernarg_size 48
		.amdhsa_user_sgpr_count 2
		.amdhsa_user_sgpr_dispatch_ptr 0
		.amdhsa_user_sgpr_queue_ptr 0
		.amdhsa_user_sgpr_kernarg_segment_ptr 1
		.amdhsa_user_sgpr_dispatch_id 0
		.amdhsa_user_sgpr_private_segment_size 0
		.amdhsa_wavefront_size32 1
		.amdhsa_uses_dynamic_stack 0
		.amdhsa_enable_private_segment 0
		.amdhsa_system_sgpr_workgroup_id_x 1
		.amdhsa_system_sgpr_workgroup_id_y 0
		.amdhsa_system_sgpr_workgroup_id_z 0
		.amdhsa_system_sgpr_workgroup_info 0
		.amdhsa_system_vgpr_workitem_id 0
		.amdhsa_next_free_vgpr 1
		.amdhsa_next_free_sgpr 1
		.amdhsa_reserve_vcc 0
		.amdhsa_float_round_mode_32 0
		.amdhsa_float_round_mode_16_64 0
		.amdhsa_float_denorm_mode_32 3
		.amdhsa_float_denorm_mode_16_64 3
		.amdhsa_fp16_overflow 0
		.amdhsa_workgroup_processor_mode 1
		.amdhsa_memory_ordered 1
		.amdhsa_forward_progress 1
		.amdhsa_inst_pref_size 0
		.amdhsa_round_robin_scheduling 0
		.amdhsa_exception_fp_ieee_invalid_op 0
		.amdhsa_exception_fp_denorm_src 0
		.amdhsa_exception_fp_ieee_div_zero 0
		.amdhsa_exception_fp_ieee_overflow 0
		.amdhsa_exception_fp_ieee_underflow 0
		.amdhsa_exception_fp_ieee_inexact 0
		.amdhsa_exception_int_div_zero 0
	.end_amdhsa_kernel
	.section	.text._ZN7rocprim17ROCPRIM_400000_NS6detail17trampoline_kernelINS0_14default_configENS1_38merge_sort_block_merge_config_selectorIjN6thrust23THRUST_200600_302600_NS5tupleIffNS6_9null_typeES8_S8_S8_S8_S8_S8_S8_EEEEZZNS1_27merge_sort_block_merge_implIS3_NS6_6detail15normal_iteratorINS6_10device_ptrIjEEEENSD_INSE_IS9_EEEEjNS1_19radix_merge_compareILb0ELb0EjNS0_19identity_decomposerEEEEE10hipError_tT0_T1_T2_jT3_P12ihipStream_tbPNSt15iterator_traitsISN_E10value_typeEPNST_ISO_E10value_typeEPSP_NS1_7vsmem_tEENKUlT_SN_SO_SP_E_clISG_PjSI_PS9_EESM_S12_SN_SO_SP_EUlS12_E1_NS1_11comp_targetILNS1_3genE8ELNS1_11target_archE1030ELNS1_3gpuE2ELNS1_3repE0EEENS1_36merge_oddeven_config_static_selectorELNS0_4arch9wavefront6targetE0EEEvSO_,"axG",@progbits,_ZN7rocprim17ROCPRIM_400000_NS6detail17trampoline_kernelINS0_14default_configENS1_38merge_sort_block_merge_config_selectorIjN6thrust23THRUST_200600_302600_NS5tupleIffNS6_9null_typeES8_S8_S8_S8_S8_S8_S8_EEEEZZNS1_27merge_sort_block_merge_implIS3_NS6_6detail15normal_iteratorINS6_10device_ptrIjEEEENSD_INSE_IS9_EEEEjNS1_19radix_merge_compareILb0ELb0EjNS0_19identity_decomposerEEEEE10hipError_tT0_T1_T2_jT3_P12ihipStream_tbPNSt15iterator_traitsISN_E10value_typeEPNST_ISO_E10value_typeEPSP_NS1_7vsmem_tEENKUlT_SN_SO_SP_E_clISG_PjSI_PS9_EESM_S12_SN_SO_SP_EUlS12_E1_NS1_11comp_targetILNS1_3genE8ELNS1_11target_archE1030ELNS1_3gpuE2ELNS1_3repE0EEENS1_36merge_oddeven_config_static_selectorELNS0_4arch9wavefront6targetE0EEEvSO_,comdat
.Lfunc_end72:
	.size	_ZN7rocprim17ROCPRIM_400000_NS6detail17trampoline_kernelINS0_14default_configENS1_38merge_sort_block_merge_config_selectorIjN6thrust23THRUST_200600_302600_NS5tupleIffNS6_9null_typeES8_S8_S8_S8_S8_S8_S8_EEEEZZNS1_27merge_sort_block_merge_implIS3_NS6_6detail15normal_iteratorINS6_10device_ptrIjEEEENSD_INSE_IS9_EEEEjNS1_19radix_merge_compareILb0ELb0EjNS0_19identity_decomposerEEEEE10hipError_tT0_T1_T2_jT3_P12ihipStream_tbPNSt15iterator_traitsISN_E10value_typeEPNST_ISO_E10value_typeEPSP_NS1_7vsmem_tEENKUlT_SN_SO_SP_E_clISG_PjSI_PS9_EESM_S12_SN_SO_SP_EUlS12_E1_NS1_11comp_targetILNS1_3genE8ELNS1_11target_archE1030ELNS1_3gpuE2ELNS1_3repE0EEENS1_36merge_oddeven_config_static_selectorELNS0_4arch9wavefront6targetE0EEEvSO_, .Lfunc_end72-_ZN7rocprim17ROCPRIM_400000_NS6detail17trampoline_kernelINS0_14default_configENS1_38merge_sort_block_merge_config_selectorIjN6thrust23THRUST_200600_302600_NS5tupleIffNS6_9null_typeES8_S8_S8_S8_S8_S8_S8_EEEEZZNS1_27merge_sort_block_merge_implIS3_NS6_6detail15normal_iteratorINS6_10device_ptrIjEEEENSD_INSE_IS9_EEEEjNS1_19radix_merge_compareILb0ELb0EjNS0_19identity_decomposerEEEEE10hipError_tT0_T1_T2_jT3_P12ihipStream_tbPNSt15iterator_traitsISN_E10value_typeEPNST_ISO_E10value_typeEPSP_NS1_7vsmem_tEENKUlT_SN_SO_SP_E_clISG_PjSI_PS9_EESM_S12_SN_SO_SP_EUlS12_E1_NS1_11comp_targetILNS1_3genE8ELNS1_11target_archE1030ELNS1_3gpuE2ELNS1_3repE0EEENS1_36merge_oddeven_config_static_selectorELNS0_4arch9wavefront6targetE0EEEvSO_
                                        ; -- End function
	.set _ZN7rocprim17ROCPRIM_400000_NS6detail17trampoline_kernelINS0_14default_configENS1_38merge_sort_block_merge_config_selectorIjN6thrust23THRUST_200600_302600_NS5tupleIffNS6_9null_typeES8_S8_S8_S8_S8_S8_S8_EEEEZZNS1_27merge_sort_block_merge_implIS3_NS6_6detail15normal_iteratorINS6_10device_ptrIjEEEENSD_INSE_IS9_EEEEjNS1_19radix_merge_compareILb0ELb0EjNS0_19identity_decomposerEEEEE10hipError_tT0_T1_T2_jT3_P12ihipStream_tbPNSt15iterator_traitsISN_E10value_typeEPNST_ISO_E10value_typeEPSP_NS1_7vsmem_tEENKUlT_SN_SO_SP_E_clISG_PjSI_PS9_EESM_S12_SN_SO_SP_EUlS12_E1_NS1_11comp_targetILNS1_3genE8ELNS1_11target_archE1030ELNS1_3gpuE2ELNS1_3repE0EEENS1_36merge_oddeven_config_static_selectorELNS0_4arch9wavefront6targetE0EEEvSO_.num_vgpr, 0
	.set _ZN7rocprim17ROCPRIM_400000_NS6detail17trampoline_kernelINS0_14default_configENS1_38merge_sort_block_merge_config_selectorIjN6thrust23THRUST_200600_302600_NS5tupleIffNS6_9null_typeES8_S8_S8_S8_S8_S8_S8_EEEEZZNS1_27merge_sort_block_merge_implIS3_NS6_6detail15normal_iteratorINS6_10device_ptrIjEEEENSD_INSE_IS9_EEEEjNS1_19radix_merge_compareILb0ELb0EjNS0_19identity_decomposerEEEEE10hipError_tT0_T1_T2_jT3_P12ihipStream_tbPNSt15iterator_traitsISN_E10value_typeEPNST_ISO_E10value_typeEPSP_NS1_7vsmem_tEENKUlT_SN_SO_SP_E_clISG_PjSI_PS9_EESM_S12_SN_SO_SP_EUlS12_E1_NS1_11comp_targetILNS1_3genE8ELNS1_11target_archE1030ELNS1_3gpuE2ELNS1_3repE0EEENS1_36merge_oddeven_config_static_selectorELNS0_4arch9wavefront6targetE0EEEvSO_.num_agpr, 0
	.set _ZN7rocprim17ROCPRIM_400000_NS6detail17trampoline_kernelINS0_14default_configENS1_38merge_sort_block_merge_config_selectorIjN6thrust23THRUST_200600_302600_NS5tupleIffNS6_9null_typeES8_S8_S8_S8_S8_S8_S8_EEEEZZNS1_27merge_sort_block_merge_implIS3_NS6_6detail15normal_iteratorINS6_10device_ptrIjEEEENSD_INSE_IS9_EEEEjNS1_19radix_merge_compareILb0ELb0EjNS0_19identity_decomposerEEEEE10hipError_tT0_T1_T2_jT3_P12ihipStream_tbPNSt15iterator_traitsISN_E10value_typeEPNST_ISO_E10value_typeEPSP_NS1_7vsmem_tEENKUlT_SN_SO_SP_E_clISG_PjSI_PS9_EESM_S12_SN_SO_SP_EUlS12_E1_NS1_11comp_targetILNS1_3genE8ELNS1_11target_archE1030ELNS1_3gpuE2ELNS1_3repE0EEENS1_36merge_oddeven_config_static_selectorELNS0_4arch9wavefront6targetE0EEEvSO_.numbered_sgpr, 0
	.set _ZN7rocprim17ROCPRIM_400000_NS6detail17trampoline_kernelINS0_14default_configENS1_38merge_sort_block_merge_config_selectorIjN6thrust23THRUST_200600_302600_NS5tupleIffNS6_9null_typeES8_S8_S8_S8_S8_S8_S8_EEEEZZNS1_27merge_sort_block_merge_implIS3_NS6_6detail15normal_iteratorINS6_10device_ptrIjEEEENSD_INSE_IS9_EEEEjNS1_19radix_merge_compareILb0ELb0EjNS0_19identity_decomposerEEEEE10hipError_tT0_T1_T2_jT3_P12ihipStream_tbPNSt15iterator_traitsISN_E10value_typeEPNST_ISO_E10value_typeEPSP_NS1_7vsmem_tEENKUlT_SN_SO_SP_E_clISG_PjSI_PS9_EESM_S12_SN_SO_SP_EUlS12_E1_NS1_11comp_targetILNS1_3genE8ELNS1_11target_archE1030ELNS1_3gpuE2ELNS1_3repE0EEENS1_36merge_oddeven_config_static_selectorELNS0_4arch9wavefront6targetE0EEEvSO_.num_named_barrier, 0
	.set _ZN7rocprim17ROCPRIM_400000_NS6detail17trampoline_kernelINS0_14default_configENS1_38merge_sort_block_merge_config_selectorIjN6thrust23THRUST_200600_302600_NS5tupleIffNS6_9null_typeES8_S8_S8_S8_S8_S8_S8_EEEEZZNS1_27merge_sort_block_merge_implIS3_NS6_6detail15normal_iteratorINS6_10device_ptrIjEEEENSD_INSE_IS9_EEEEjNS1_19radix_merge_compareILb0ELb0EjNS0_19identity_decomposerEEEEE10hipError_tT0_T1_T2_jT3_P12ihipStream_tbPNSt15iterator_traitsISN_E10value_typeEPNST_ISO_E10value_typeEPSP_NS1_7vsmem_tEENKUlT_SN_SO_SP_E_clISG_PjSI_PS9_EESM_S12_SN_SO_SP_EUlS12_E1_NS1_11comp_targetILNS1_3genE8ELNS1_11target_archE1030ELNS1_3gpuE2ELNS1_3repE0EEENS1_36merge_oddeven_config_static_selectorELNS0_4arch9wavefront6targetE0EEEvSO_.private_seg_size, 0
	.set _ZN7rocprim17ROCPRIM_400000_NS6detail17trampoline_kernelINS0_14default_configENS1_38merge_sort_block_merge_config_selectorIjN6thrust23THRUST_200600_302600_NS5tupleIffNS6_9null_typeES8_S8_S8_S8_S8_S8_S8_EEEEZZNS1_27merge_sort_block_merge_implIS3_NS6_6detail15normal_iteratorINS6_10device_ptrIjEEEENSD_INSE_IS9_EEEEjNS1_19radix_merge_compareILb0ELb0EjNS0_19identity_decomposerEEEEE10hipError_tT0_T1_T2_jT3_P12ihipStream_tbPNSt15iterator_traitsISN_E10value_typeEPNST_ISO_E10value_typeEPSP_NS1_7vsmem_tEENKUlT_SN_SO_SP_E_clISG_PjSI_PS9_EESM_S12_SN_SO_SP_EUlS12_E1_NS1_11comp_targetILNS1_3genE8ELNS1_11target_archE1030ELNS1_3gpuE2ELNS1_3repE0EEENS1_36merge_oddeven_config_static_selectorELNS0_4arch9wavefront6targetE0EEEvSO_.uses_vcc, 0
	.set _ZN7rocprim17ROCPRIM_400000_NS6detail17trampoline_kernelINS0_14default_configENS1_38merge_sort_block_merge_config_selectorIjN6thrust23THRUST_200600_302600_NS5tupleIffNS6_9null_typeES8_S8_S8_S8_S8_S8_S8_EEEEZZNS1_27merge_sort_block_merge_implIS3_NS6_6detail15normal_iteratorINS6_10device_ptrIjEEEENSD_INSE_IS9_EEEEjNS1_19radix_merge_compareILb0ELb0EjNS0_19identity_decomposerEEEEE10hipError_tT0_T1_T2_jT3_P12ihipStream_tbPNSt15iterator_traitsISN_E10value_typeEPNST_ISO_E10value_typeEPSP_NS1_7vsmem_tEENKUlT_SN_SO_SP_E_clISG_PjSI_PS9_EESM_S12_SN_SO_SP_EUlS12_E1_NS1_11comp_targetILNS1_3genE8ELNS1_11target_archE1030ELNS1_3gpuE2ELNS1_3repE0EEENS1_36merge_oddeven_config_static_selectorELNS0_4arch9wavefront6targetE0EEEvSO_.uses_flat_scratch, 0
	.set _ZN7rocprim17ROCPRIM_400000_NS6detail17trampoline_kernelINS0_14default_configENS1_38merge_sort_block_merge_config_selectorIjN6thrust23THRUST_200600_302600_NS5tupleIffNS6_9null_typeES8_S8_S8_S8_S8_S8_S8_EEEEZZNS1_27merge_sort_block_merge_implIS3_NS6_6detail15normal_iteratorINS6_10device_ptrIjEEEENSD_INSE_IS9_EEEEjNS1_19radix_merge_compareILb0ELb0EjNS0_19identity_decomposerEEEEE10hipError_tT0_T1_T2_jT3_P12ihipStream_tbPNSt15iterator_traitsISN_E10value_typeEPNST_ISO_E10value_typeEPSP_NS1_7vsmem_tEENKUlT_SN_SO_SP_E_clISG_PjSI_PS9_EESM_S12_SN_SO_SP_EUlS12_E1_NS1_11comp_targetILNS1_3genE8ELNS1_11target_archE1030ELNS1_3gpuE2ELNS1_3repE0EEENS1_36merge_oddeven_config_static_selectorELNS0_4arch9wavefront6targetE0EEEvSO_.has_dyn_sized_stack, 0
	.set _ZN7rocprim17ROCPRIM_400000_NS6detail17trampoline_kernelINS0_14default_configENS1_38merge_sort_block_merge_config_selectorIjN6thrust23THRUST_200600_302600_NS5tupleIffNS6_9null_typeES8_S8_S8_S8_S8_S8_S8_EEEEZZNS1_27merge_sort_block_merge_implIS3_NS6_6detail15normal_iteratorINS6_10device_ptrIjEEEENSD_INSE_IS9_EEEEjNS1_19radix_merge_compareILb0ELb0EjNS0_19identity_decomposerEEEEE10hipError_tT0_T1_T2_jT3_P12ihipStream_tbPNSt15iterator_traitsISN_E10value_typeEPNST_ISO_E10value_typeEPSP_NS1_7vsmem_tEENKUlT_SN_SO_SP_E_clISG_PjSI_PS9_EESM_S12_SN_SO_SP_EUlS12_E1_NS1_11comp_targetILNS1_3genE8ELNS1_11target_archE1030ELNS1_3gpuE2ELNS1_3repE0EEENS1_36merge_oddeven_config_static_selectorELNS0_4arch9wavefront6targetE0EEEvSO_.has_recursion, 0
	.set _ZN7rocprim17ROCPRIM_400000_NS6detail17trampoline_kernelINS0_14default_configENS1_38merge_sort_block_merge_config_selectorIjN6thrust23THRUST_200600_302600_NS5tupleIffNS6_9null_typeES8_S8_S8_S8_S8_S8_S8_EEEEZZNS1_27merge_sort_block_merge_implIS3_NS6_6detail15normal_iteratorINS6_10device_ptrIjEEEENSD_INSE_IS9_EEEEjNS1_19radix_merge_compareILb0ELb0EjNS0_19identity_decomposerEEEEE10hipError_tT0_T1_T2_jT3_P12ihipStream_tbPNSt15iterator_traitsISN_E10value_typeEPNST_ISO_E10value_typeEPSP_NS1_7vsmem_tEENKUlT_SN_SO_SP_E_clISG_PjSI_PS9_EESM_S12_SN_SO_SP_EUlS12_E1_NS1_11comp_targetILNS1_3genE8ELNS1_11target_archE1030ELNS1_3gpuE2ELNS1_3repE0EEENS1_36merge_oddeven_config_static_selectorELNS0_4arch9wavefront6targetE0EEEvSO_.has_indirect_call, 0
	.section	.AMDGPU.csdata,"",@progbits
; Kernel info:
; codeLenInByte = 0
; TotalNumSgprs: 0
; NumVgprs: 0
; ScratchSize: 0
; MemoryBound: 0
; FloatMode: 240
; IeeeMode: 1
; LDSByteSize: 0 bytes/workgroup (compile time only)
; SGPRBlocks: 0
; VGPRBlocks: 0
; NumSGPRsForWavesPerEU: 1
; NumVGPRsForWavesPerEU: 1
; Occupancy: 16
; WaveLimiterHint : 0
; COMPUTE_PGM_RSRC2:SCRATCH_EN: 0
; COMPUTE_PGM_RSRC2:USER_SGPR: 2
; COMPUTE_PGM_RSRC2:TRAP_HANDLER: 0
; COMPUTE_PGM_RSRC2:TGID_X_EN: 1
; COMPUTE_PGM_RSRC2:TGID_Y_EN: 0
; COMPUTE_PGM_RSRC2:TGID_Z_EN: 0
; COMPUTE_PGM_RSRC2:TIDIG_COMP_CNT: 0
	.section	.text._ZN7rocprim17ROCPRIM_400000_NS6detail17trampoline_kernelINS0_14default_configENS1_25transform_config_selectorIjLb0EEEZNS1_14transform_implILb0ES3_S5_PjN6thrust23THRUST_200600_302600_NS6detail15normal_iteratorINS9_10device_ptrIjEEEENS0_8identityIjEEEE10hipError_tT2_T3_mT4_P12ihipStream_tbEUlT_E_NS1_11comp_targetILNS1_3genE0ELNS1_11target_archE4294967295ELNS1_3gpuE0ELNS1_3repE0EEENS1_30default_config_static_selectorELNS0_4arch9wavefront6targetE0EEEvT1_,"axG",@progbits,_ZN7rocprim17ROCPRIM_400000_NS6detail17trampoline_kernelINS0_14default_configENS1_25transform_config_selectorIjLb0EEEZNS1_14transform_implILb0ES3_S5_PjN6thrust23THRUST_200600_302600_NS6detail15normal_iteratorINS9_10device_ptrIjEEEENS0_8identityIjEEEE10hipError_tT2_T3_mT4_P12ihipStream_tbEUlT_E_NS1_11comp_targetILNS1_3genE0ELNS1_11target_archE4294967295ELNS1_3gpuE0ELNS1_3repE0EEENS1_30default_config_static_selectorELNS0_4arch9wavefront6targetE0EEEvT1_,comdat
	.protected	_ZN7rocprim17ROCPRIM_400000_NS6detail17trampoline_kernelINS0_14default_configENS1_25transform_config_selectorIjLb0EEEZNS1_14transform_implILb0ES3_S5_PjN6thrust23THRUST_200600_302600_NS6detail15normal_iteratorINS9_10device_ptrIjEEEENS0_8identityIjEEEE10hipError_tT2_T3_mT4_P12ihipStream_tbEUlT_E_NS1_11comp_targetILNS1_3genE0ELNS1_11target_archE4294967295ELNS1_3gpuE0ELNS1_3repE0EEENS1_30default_config_static_selectorELNS0_4arch9wavefront6targetE0EEEvT1_ ; -- Begin function _ZN7rocprim17ROCPRIM_400000_NS6detail17trampoline_kernelINS0_14default_configENS1_25transform_config_selectorIjLb0EEEZNS1_14transform_implILb0ES3_S5_PjN6thrust23THRUST_200600_302600_NS6detail15normal_iteratorINS9_10device_ptrIjEEEENS0_8identityIjEEEE10hipError_tT2_T3_mT4_P12ihipStream_tbEUlT_E_NS1_11comp_targetILNS1_3genE0ELNS1_11target_archE4294967295ELNS1_3gpuE0ELNS1_3repE0EEENS1_30default_config_static_selectorELNS0_4arch9wavefront6targetE0EEEvT1_
	.globl	_ZN7rocprim17ROCPRIM_400000_NS6detail17trampoline_kernelINS0_14default_configENS1_25transform_config_selectorIjLb0EEEZNS1_14transform_implILb0ES3_S5_PjN6thrust23THRUST_200600_302600_NS6detail15normal_iteratorINS9_10device_ptrIjEEEENS0_8identityIjEEEE10hipError_tT2_T3_mT4_P12ihipStream_tbEUlT_E_NS1_11comp_targetILNS1_3genE0ELNS1_11target_archE4294967295ELNS1_3gpuE0ELNS1_3repE0EEENS1_30default_config_static_selectorELNS0_4arch9wavefront6targetE0EEEvT1_
	.p2align	8
	.type	_ZN7rocprim17ROCPRIM_400000_NS6detail17trampoline_kernelINS0_14default_configENS1_25transform_config_selectorIjLb0EEEZNS1_14transform_implILb0ES3_S5_PjN6thrust23THRUST_200600_302600_NS6detail15normal_iteratorINS9_10device_ptrIjEEEENS0_8identityIjEEEE10hipError_tT2_T3_mT4_P12ihipStream_tbEUlT_E_NS1_11comp_targetILNS1_3genE0ELNS1_11target_archE4294967295ELNS1_3gpuE0ELNS1_3repE0EEENS1_30default_config_static_selectorELNS0_4arch9wavefront6targetE0EEEvT1_,@function
_ZN7rocprim17ROCPRIM_400000_NS6detail17trampoline_kernelINS0_14default_configENS1_25transform_config_selectorIjLb0EEEZNS1_14transform_implILb0ES3_S5_PjN6thrust23THRUST_200600_302600_NS6detail15normal_iteratorINS9_10device_ptrIjEEEENS0_8identityIjEEEE10hipError_tT2_T3_mT4_P12ihipStream_tbEUlT_E_NS1_11comp_targetILNS1_3genE0ELNS1_11target_archE4294967295ELNS1_3gpuE0ELNS1_3repE0EEENS1_30default_config_static_selectorELNS0_4arch9wavefront6targetE0EEEvT1_: ; @_ZN7rocprim17ROCPRIM_400000_NS6detail17trampoline_kernelINS0_14default_configENS1_25transform_config_selectorIjLb0EEEZNS1_14transform_implILb0ES3_S5_PjN6thrust23THRUST_200600_302600_NS6detail15normal_iteratorINS9_10device_ptrIjEEEENS0_8identityIjEEEE10hipError_tT2_T3_mT4_P12ihipStream_tbEUlT_E_NS1_11comp_targetILNS1_3genE0ELNS1_11target_archE4294967295ELNS1_3gpuE0ELNS1_3repE0EEENS1_30default_config_static_selectorELNS0_4arch9wavefront6targetE0EEEvT1_
; %bb.0:
	.section	.rodata,"a",@progbits
	.p2align	6, 0x0
	.amdhsa_kernel _ZN7rocprim17ROCPRIM_400000_NS6detail17trampoline_kernelINS0_14default_configENS1_25transform_config_selectorIjLb0EEEZNS1_14transform_implILb0ES3_S5_PjN6thrust23THRUST_200600_302600_NS6detail15normal_iteratorINS9_10device_ptrIjEEEENS0_8identityIjEEEE10hipError_tT2_T3_mT4_P12ihipStream_tbEUlT_E_NS1_11comp_targetILNS1_3genE0ELNS1_11target_archE4294967295ELNS1_3gpuE0ELNS1_3repE0EEENS1_30default_config_static_selectorELNS0_4arch9wavefront6targetE0EEEvT1_
		.amdhsa_group_segment_fixed_size 0
		.amdhsa_private_segment_fixed_size 0
		.amdhsa_kernarg_size 40
		.amdhsa_user_sgpr_count 2
		.amdhsa_user_sgpr_dispatch_ptr 0
		.amdhsa_user_sgpr_queue_ptr 0
		.amdhsa_user_sgpr_kernarg_segment_ptr 1
		.amdhsa_user_sgpr_dispatch_id 0
		.amdhsa_user_sgpr_private_segment_size 0
		.amdhsa_wavefront_size32 1
		.amdhsa_uses_dynamic_stack 0
		.amdhsa_enable_private_segment 0
		.amdhsa_system_sgpr_workgroup_id_x 1
		.amdhsa_system_sgpr_workgroup_id_y 0
		.amdhsa_system_sgpr_workgroup_id_z 0
		.amdhsa_system_sgpr_workgroup_info 0
		.amdhsa_system_vgpr_workitem_id 0
		.amdhsa_next_free_vgpr 1
		.amdhsa_next_free_sgpr 1
		.amdhsa_reserve_vcc 0
		.amdhsa_float_round_mode_32 0
		.amdhsa_float_round_mode_16_64 0
		.amdhsa_float_denorm_mode_32 3
		.amdhsa_float_denorm_mode_16_64 3
		.amdhsa_fp16_overflow 0
		.amdhsa_workgroup_processor_mode 1
		.amdhsa_memory_ordered 1
		.amdhsa_forward_progress 1
		.amdhsa_inst_pref_size 0
		.amdhsa_round_robin_scheduling 0
		.amdhsa_exception_fp_ieee_invalid_op 0
		.amdhsa_exception_fp_denorm_src 0
		.amdhsa_exception_fp_ieee_div_zero 0
		.amdhsa_exception_fp_ieee_overflow 0
		.amdhsa_exception_fp_ieee_underflow 0
		.amdhsa_exception_fp_ieee_inexact 0
		.amdhsa_exception_int_div_zero 0
	.end_amdhsa_kernel
	.section	.text._ZN7rocprim17ROCPRIM_400000_NS6detail17trampoline_kernelINS0_14default_configENS1_25transform_config_selectorIjLb0EEEZNS1_14transform_implILb0ES3_S5_PjN6thrust23THRUST_200600_302600_NS6detail15normal_iteratorINS9_10device_ptrIjEEEENS0_8identityIjEEEE10hipError_tT2_T3_mT4_P12ihipStream_tbEUlT_E_NS1_11comp_targetILNS1_3genE0ELNS1_11target_archE4294967295ELNS1_3gpuE0ELNS1_3repE0EEENS1_30default_config_static_selectorELNS0_4arch9wavefront6targetE0EEEvT1_,"axG",@progbits,_ZN7rocprim17ROCPRIM_400000_NS6detail17trampoline_kernelINS0_14default_configENS1_25transform_config_selectorIjLb0EEEZNS1_14transform_implILb0ES3_S5_PjN6thrust23THRUST_200600_302600_NS6detail15normal_iteratorINS9_10device_ptrIjEEEENS0_8identityIjEEEE10hipError_tT2_T3_mT4_P12ihipStream_tbEUlT_E_NS1_11comp_targetILNS1_3genE0ELNS1_11target_archE4294967295ELNS1_3gpuE0ELNS1_3repE0EEENS1_30default_config_static_selectorELNS0_4arch9wavefront6targetE0EEEvT1_,comdat
.Lfunc_end73:
	.size	_ZN7rocprim17ROCPRIM_400000_NS6detail17trampoline_kernelINS0_14default_configENS1_25transform_config_selectorIjLb0EEEZNS1_14transform_implILb0ES3_S5_PjN6thrust23THRUST_200600_302600_NS6detail15normal_iteratorINS9_10device_ptrIjEEEENS0_8identityIjEEEE10hipError_tT2_T3_mT4_P12ihipStream_tbEUlT_E_NS1_11comp_targetILNS1_3genE0ELNS1_11target_archE4294967295ELNS1_3gpuE0ELNS1_3repE0EEENS1_30default_config_static_selectorELNS0_4arch9wavefront6targetE0EEEvT1_, .Lfunc_end73-_ZN7rocprim17ROCPRIM_400000_NS6detail17trampoline_kernelINS0_14default_configENS1_25transform_config_selectorIjLb0EEEZNS1_14transform_implILb0ES3_S5_PjN6thrust23THRUST_200600_302600_NS6detail15normal_iteratorINS9_10device_ptrIjEEEENS0_8identityIjEEEE10hipError_tT2_T3_mT4_P12ihipStream_tbEUlT_E_NS1_11comp_targetILNS1_3genE0ELNS1_11target_archE4294967295ELNS1_3gpuE0ELNS1_3repE0EEENS1_30default_config_static_selectorELNS0_4arch9wavefront6targetE0EEEvT1_
                                        ; -- End function
	.set _ZN7rocprim17ROCPRIM_400000_NS6detail17trampoline_kernelINS0_14default_configENS1_25transform_config_selectorIjLb0EEEZNS1_14transform_implILb0ES3_S5_PjN6thrust23THRUST_200600_302600_NS6detail15normal_iteratorINS9_10device_ptrIjEEEENS0_8identityIjEEEE10hipError_tT2_T3_mT4_P12ihipStream_tbEUlT_E_NS1_11comp_targetILNS1_3genE0ELNS1_11target_archE4294967295ELNS1_3gpuE0ELNS1_3repE0EEENS1_30default_config_static_selectorELNS0_4arch9wavefront6targetE0EEEvT1_.num_vgpr, 0
	.set _ZN7rocprim17ROCPRIM_400000_NS6detail17trampoline_kernelINS0_14default_configENS1_25transform_config_selectorIjLb0EEEZNS1_14transform_implILb0ES3_S5_PjN6thrust23THRUST_200600_302600_NS6detail15normal_iteratorINS9_10device_ptrIjEEEENS0_8identityIjEEEE10hipError_tT2_T3_mT4_P12ihipStream_tbEUlT_E_NS1_11comp_targetILNS1_3genE0ELNS1_11target_archE4294967295ELNS1_3gpuE0ELNS1_3repE0EEENS1_30default_config_static_selectorELNS0_4arch9wavefront6targetE0EEEvT1_.num_agpr, 0
	.set _ZN7rocprim17ROCPRIM_400000_NS6detail17trampoline_kernelINS0_14default_configENS1_25transform_config_selectorIjLb0EEEZNS1_14transform_implILb0ES3_S5_PjN6thrust23THRUST_200600_302600_NS6detail15normal_iteratorINS9_10device_ptrIjEEEENS0_8identityIjEEEE10hipError_tT2_T3_mT4_P12ihipStream_tbEUlT_E_NS1_11comp_targetILNS1_3genE0ELNS1_11target_archE4294967295ELNS1_3gpuE0ELNS1_3repE0EEENS1_30default_config_static_selectorELNS0_4arch9wavefront6targetE0EEEvT1_.numbered_sgpr, 0
	.set _ZN7rocprim17ROCPRIM_400000_NS6detail17trampoline_kernelINS0_14default_configENS1_25transform_config_selectorIjLb0EEEZNS1_14transform_implILb0ES3_S5_PjN6thrust23THRUST_200600_302600_NS6detail15normal_iteratorINS9_10device_ptrIjEEEENS0_8identityIjEEEE10hipError_tT2_T3_mT4_P12ihipStream_tbEUlT_E_NS1_11comp_targetILNS1_3genE0ELNS1_11target_archE4294967295ELNS1_3gpuE0ELNS1_3repE0EEENS1_30default_config_static_selectorELNS0_4arch9wavefront6targetE0EEEvT1_.num_named_barrier, 0
	.set _ZN7rocprim17ROCPRIM_400000_NS6detail17trampoline_kernelINS0_14default_configENS1_25transform_config_selectorIjLb0EEEZNS1_14transform_implILb0ES3_S5_PjN6thrust23THRUST_200600_302600_NS6detail15normal_iteratorINS9_10device_ptrIjEEEENS0_8identityIjEEEE10hipError_tT2_T3_mT4_P12ihipStream_tbEUlT_E_NS1_11comp_targetILNS1_3genE0ELNS1_11target_archE4294967295ELNS1_3gpuE0ELNS1_3repE0EEENS1_30default_config_static_selectorELNS0_4arch9wavefront6targetE0EEEvT1_.private_seg_size, 0
	.set _ZN7rocprim17ROCPRIM_400000_NS6detail17trampoline_kernelINS0_14default_configENS1_25transform_config_selectorIjLb0EEEZNS1_14transform_implILb0ES3_S5_PjN6thrust23THRUST_200600_302600_NS6detail15normal_iteratorINS9_10device_ptrIjEEEENS0_8identityIjEEEE10hipError_tT2_T3_mT4_P12ihipStream_tbEUlT_E_NS1_11comp_targetILNS1_3genE0ELNS1_11target_archE4294967295ELNS1_3gpuE0ELNS1_3repE0EEENS1_30default_config_static_selectorELNS0_4arch9wavefront6targetE0EEEvT1_.uses_vcc, 0
	.set _ZN7rocprim17ROCPRIM_400000_NS6detail17trampoline_kernelINS0_14default_configENS1_25transform_config_selectorIjLb0EEEZNS1_14transform_implILb0ES3_S5_PjN6thrust23THRUST_200600_302600_NS6detail15normal_iteratorINS9_10device_ptrIjEEEENS0_8identityIjEEEE10hipError_tT2_T3_mT4_P12ihipStream_tbEUlT_E_NS1_11comp_targetILNS1_3genE0ELNS1_11target_archE4294967295ELNS1_3gpuE0ELNS1_3repE0EEENS1_30default_config_static_selectorELNS0_4arch9wavefront6targetE0EEEvT1_.uses_flat_scratch, 0
	.set _ZN7rocprim17ROCPRIM_400000_NS6detail17trampoline_kernelINS0_14default_configENS1_25transform_config_selectorIjLb0EEEZNS1_14transform_implILb0ES3_S5_PjN6thrust23THRUST_200600_302600_NS6detail15normal_iteratorINS9_10device_ptrIjEEEENS0_8identityIjEEEE10hipError_tT2_T3_mT4_P12ihipStream_tbEUlT_E_NS1_11comp_targetILNS1_3genE0ELNS1_11target_archE4294967295ELNS1_3gpuE0ELNS1_3repE0EEENS1_30default_config_static_selectorELNS0_4arch9wavefront6targetE0EEEvT1_.has_dyn_sized_stack, 0
	.set _ZN7rocprim17ROCPRIM_400000_NS6detail17trampoline_kernelINS0_14default_configENS1_25transform_config_selectorIjLb0EEEZNS1_14transform_implILb0ES3_S5_PjN6thrust23THRUST_200600_302600_NS6detail15normal_iteratorINS9_10device_ptrIjEEEENS0_8identityIjEEEE10hipError_tT2_T3_mT4_P12ihipStream_tbEUlT_E_NS1_11comp_targetILNS1_3genE0ELNS1_11target_archE4294967295ELNS1_3gpuE0ELNS1_3repE0EEENS1_30default_config_static_selectorELNS0_4arch9wavefront6targetE0EEEvT1_.has_recursion, 0
	.set _ZN7rocprim17ROCPRIM_400000_NS6detail17trampoline_kernelINS0_14default_configENS1_25transform_config_selectorIjLb0EEEZNS1_14transform_implILb0ES3_S5_PjN6thrust23THRUST_200600_302600_NS6detail15normal_iteratorINS9_10device_ptrIjEEEENS0_8identityIjEEEE10hipError_tT2_T3_mT4_P12ihipStream_tbEUlT_E_NS1_11comp_targetILNS1_3genE0ELNS1_11target_archE4294967295ELNS1_3gpuE0ELNS1_3repE0EEENS1_30default_config_static_selectorELNS0_4arch9wavefront6targetE0EEEvT1_.has_indirect_call, 0
	.section	.AMDGPU.csdata,"",@progbits
; Kernel info:
; codeLenInByte = 0
; TotalNumSgprs: 0
; NumVgprs: 0
; ScratchSize: 0
; MemoryBound: 0
; FloatMode: 240
; IeeeMode: 1
; LDSByteSize: 0 bytes/workgroup (compile time only)
; SGPRBlocks: 0
; VGPRBlocks: 0
; NumSGPRsForWavesPerEU: 1
; NumVGPRsForWavesPerEU: 1
; Occupancy: 16
; WaveLimiterHint : 0
; COMPUTE_PGM_RSRC2:SCRATCH_EN: 0
; COMPUTE_PGM_RSRC2:USER_SGPR: 2
; COMPUTE_PGM_RSRC2:TRAP_HANDLER: 0
; COMPUTE_PGM_RSRC2:TGID_X_EN: 1
; COMPUTE_PGM_RSRC2:TGID_Y_EN: 0
; COMPUTE_PGM_RSRC2:TGID_Z_EN: 0
; COMPUTE_PGM_RSRC2:TIDIG_COMP_CNT: 0
	.section	.text._ZN7rocprim17ROCPRIM_400000_NS6detail17trampoline_kernelINS0_14default_configENS1_25transform_config_selectorIjLb0EEEZNS1_14transform_implILb0ES3_S5_PjN6thrust23THRUST_200600_302600_NS6detail15normal_iteratorINS9_10device_ptrIjEEEENS0_8identityIjEEEE10hipError_tT2_T3_mT4_P12ihipStream_tbEUlT_E_NS1_11comp_targetILNS1_3genE5ELNS1_11target_archE942ELNS1_3gpuE9ELNS1_3repE0EEENS1_30default_config_static_selectorELNS0_4arch9wavefront6targetE0EEEvT1_,"axG",@progbits,_ZN7rocprim17ROCPRIM_400000_NS6detail17trampoline_kernelINS0_14default_configENS1_25transform_config_selectorIjLb0EEEZNS1_14transform_implILb0ES3_S5_PjN6thrust23THRUST_200600_302600_NS6detail15normal_iteratorINS9_10device_ptrIjEEEENS0_8identityIjEEEE10hipError_tT2_T3_mT4_P12ihipStream_tbEUlT_E_NS1_11comp_targetILNS1_3genE5ELNS1_11target_archE942ELNS1_3gpuE9ELNS1_3repE0EEENS1_30default_config_static_selectorELNS0_4arch9wavefront6targetE0EEEvT1_,comdat
	.protected	_ZN7rocprim17ROCPRIM_400000_NS6detail17trampoline_kernelINS0_14default_configENS1_25transform_config_selectorIjLb0EEEZNS1_14transform_implILb0ES3_S5_PjN6thrust23THRUST_200600_302600_NS6detail15normal_iteratorINS9_10device_ptrIjEEEENS0_8identityIjEEEE10hipError_tT2_T3_mT4_P12ihipStream_tbEUlT_E_NS1_11comp_targetILNS1_3genE5ELNS1_11target_archE942ELNS1_3gpuE9ELNS1_3repE0EEENS1_30default_config_static_selectorELNS0_4arch9wavefront6targetE0EEEvT1_ ; -- Begin function _ZN7rocprim17ROCPRIM_400000_NS6detail17trampoline_kernelINS0_14default_configENS1_25transform_config_selectorIjLb0EEEZNS1_14transform_implILb0ES3_S5_PjN6thrust23THRUST_200600_302600_NS6detail15normal_iteratorINS9_10device_ptrIjEEEENS0_8identityIjEEEE10hipError_tT2_T3_mT4_P12ihipStream_tbEUlT_E_NS1_11comp_targetILNS1_3genE5ELNS1_11target_archE942ELNS1_3gpuE9ELNS1_3repE0EEENS1_30default_config_static_selectorELNS0_4arch9wavefront6targetE0EEEvT1_
	.globl	_ZN7rocprim17ROCPRIM_400000_NS6detail17trampoline_kernelINS0_14default_configENS1_25transform_config_selectorIjLb0EEEZNS1_14transform_implILb0ES3_S5_PjN6thrust23THRUST_200600_302600_NS6detail15normal_iteratorINS9_10device_ptrIjEEEENS0_8identityIjEEEE10hipError_tT2_T3_mT4_P12ihipStream_tbEUlT_E_NS1_11comp_targetILNS1_3genE5ELNS1_11target_archE942ELNS1_3gpuE9ELNS1_3repE0EEENS1_30default_config_static_selectorELNS0_4arch9wavefront6targetE0EEEvT1_
	.p2align	8
	.type	_ZN7rocprim17ROCPRIM_400000_NS6detail17trampoline_kernelINS0_14default_configENS1_25transform_config_selectorIjLb0EEEZNS1_14transform_implILb0ES3_S5_PjN6thrust23THRUST_200600_302600_NS6detail15normal_iteratorINS9_10device_ptrIjEEEENS0_8identityIjEEEE10hipError_tT2_T3_mT4_P12ihipStream_tbEUlT_E_NS1_11comp_targetILNS1_3genE5ELNS1_11target_archE942ELNS1_3gpuE9ELNS1_3repE0EEENS1_30default_config_static_selectorELNS0_4arch9wavefront6targetE0EEEvT1_,@function
_ZN7rocprim17ROCPRIM_400000_NS6detail17trampoline_kernelINS0_14default_configENS1_25transform_config_selectorIjLb0EEEZNS1_14transform_implILb0ES3_S5_PjN6thrust23THRUST_200600_302600_NS6detail15normal_iteratorINS9_10device_ptrIjEEEENS0_8identityIjEEEE10hipError_tT2_T3_mT4_P12ihipStream_tbEUlT_E_NS1_11comp_targetILNS1_3genE5ELNS1_11target_archE942ELNS1_3gpuE9ELNS1_3repE0EEENS1_30default_config_static_selectorELNS0_4arch9wavefront6targetE0EEEvT1_: ; @_ZN7rocprim17ROCPRIM_400000_NS6detail17trampoline_kernelINS0_14default_configENS1_25transform_config_selectorIjLb0EEEZNS1_14transform_implILb0ES3_S5_PjN6thrust23THRUST_200600_302600_NS6detail15normal_iteratorINS9_10device_ptrIjEEEENS0_8identityIjEEEE10hipError_tT2_T3_mT4_P12ihipStream_tbEUlT_E_NS1_11comp_targetILNS1_3genE5ELNS1_11target_archE942ELNS1_3gpuE9ELNS1_3repE0EEENS1_30default_config_static_selectorELNS0_4arch9wavefront6targetE0EEEvT1_
; %bb.0:
	.section	.rodata,"a",@progbits
	.p2align	6, 0x0
	.amdhsa_kernel _ZN7rocprim17ROCPRIM_400000_NS6detail17trampoline_kernelINS0_14default_configENS1_25transform_config_selectorIjLb0EEEZNS1_14transform_implILb0ES3_S5_PjN6thrust23THRUST_200600_302600_NS6detail15normal_iteratorINS9_10device_ptrIjEEEENS0_8identityIjEEEE10hipError_tT2_T3_mT4_P12ihipStream_tbEUlT_E_NS1_11comp_targetILNS1_3genE5ELNS1_11target_archE942ELNS1_3gpuE9ELNS1_3repE0EEENS1_30default_config_static_selectorELNS0_4arch9wavefront6targetE0EEEvT1_
		.amdhsa_group_segment_fixed_size 0
		.amdhsa_private_segment_fixed_size 0
		.amdhsa_kernarg_size 40
		.amdhsa_user_sgpr_count 2
		.amdhsa_user_sgpr_dispatch_ptr 0
		.amdhsa_user_sgpr_queue_ptr 0
		.amdhsa_user_sgpr_kernarg_segment_ptr 1
		.amdhsa_user_sgpr_dispatch_id 0
		.amdhsa_user_sgpr_private_segment_size 0
		.amdhsa_wavefront_size32 1
		.amdhsa_uses_dynamic_stack 0
		.amdhsa_enable_private_segment 0
		.amdhsa_system_sgpr_workgroup_id_x 1
		.amdhsa_system_sgpr_workgroup_id_y 0
		.amdhsa_system_sgpr_workgroup_id_z 0
		.amdhsa_system_sgpr_workgroup_info 0
		.amdhsa_system_vgpr_workitem_id 0
		.amdhsa_next_free_vgpr 1
		.amdhsa_next_free_sgpr 1
		.amdhsa_reserve_vcc 0
		.amdhsa_float_round_mode_32 0
		.amdhsa_float_round_mode_16_64 0
		.amdhsa_float_denorm_mode_32 3
		.amdhsa_float_denorm_mode_16_64 3
		.amdhsa_fp16_overflow 0
		.amdhsa_workgroup_processor_mode 1
		.amdhsa_memory_ordered 1
		.amdhsa_forward_progress 1
		.amdhsa_inst_pref_size 0
		.amdhsa_round_robin_scheduling 0
		.amdhsa_exception_fp_ieee_invalid_op 0
		.amdhsa_exception_fp_denorm_src 0
		.amdhsa_exception_fp_ieee_div_zero 0
		.amdhsa_exception_fp_ieee_overflow 0
		.amdhsa_exception_fp_ieee_underflow 0
		.amdhsa_exception_fp_ieee_inexact 0
		.amdhsa_exception_int_div_zero 0
	.end_amdhsa_kernel
	.section	.text._ZN7rocprim17ROCPRIM_400000_NS6detail17trampoline_kernelINS0_14default_configENS1_25transform_config_selectorIjLb0EEEZNS1_14transform_implILb0ES3_S5_PjN6thrust23THRUST_200600_302600_NS6detail15normal_iteratorINS9_10device_ptrIjEEEENS0_8identityIjEEEE10hipError_tT2_T3_mT4_P12ihipStream_tbEUlT_E_NS1_11comp_targetILNS1_3genE5ELNS1_11target_archE942ELNS1_3gpuE9ELNS1_3repE0EEENS1_30default_config_static_selectorELNS0_4arch9wavefront6targetE0EEEvT1_,"axG",@progbits,_ZN7rocprim17ROCPRIM_400000_NS6detail17trampoline_kernelINS0_14default_configENS1_25transform_config_selectorIjLb0EEEZNS1_14transform_implILb0ES3_S5_PjN6thrust23THRUST_200600_302600_NS6detail15normal_iteratorINS9_10device_ptrIjEEEENS0_8identityIjEEEE10hipError_tT2_T3_mT4_P12ihipStream_tbEUlT_E_NS1_11comp_targetILNS1_3genE5ELNS1_11target_archE942ELNS1_3gpuE9ELNS1_3repE0EEENS1_30default_config_static_selectorELNS0_4arch9wavefront6targetE0EEEvT1_,comdat
.Lfunc_end74:
	.size	_ZN7rocprim17ROCPRIM_400000_NS6detail17trampoline_kernelINS0_14default_configENS1_25transform_config_selectorIjLb0EEEZNS1_14transform_implILb0ES3_S5_PjN6thrust23THRUST_200600_302600_NS6detail15normal_iteratorINS9_10device_ptrIjEEEENS0_8identityIjEEEE10hipError_tT2_T3_mT4_P12ihipStream_tbEUlT_E_NS1_11comp_targetILNS1_3genE5ELNS1_11target_archE942ELNS1_3gpuE9ELNS1_3repE0EEENS1_30default_config_static_selectorELNS0_4arch9wavefront6targetE0EEEvT1_, .Lfunc_end74-_ZN7rocprim17ROCPRIM_400000_NS6detail17trampoline_kernelINS0_14default_configENS1_25transform_config_selectorIjLb0EEEZNS1_14transform_implILb0ES3_S5_PjN6thrust23THRUST_200600_302600_NS6detail15normal_iteratorINS9_10device_ptrIjEEEENS0_8identityIjEEEE10hipError_tT2_T3_mT4_P12ihipStream_tbEUlT_E_NS1_11comp_targetILNS1_3genE5ELNS1_11target_archE942ELNS1_3gpuE9ELNS1_3repE0EEENS1_30default_config_static_selectorELNS0_4arch9wavefront6targetE0EEEvT1_
                                        ; -- End function
	.set _ZN7rocprim17ROCPRIM_400000_NS6detail17trampoline_kernelINS0_14default_configENS1_25transform_config_selectorIjLb0EEEZNS1_14transform_implILb0ES3_S5_PjN6thrust23THRUST_200600_302600_NS6detail15normal_iteratorINS9_10device_ptrIjEEEENS0_8identityIjEEEE10hipError_tT2_T3_mT4_P12ihipStream_tbEUlT_E_NS1_11comp_targetILNS1_3genE5ELNS1_11target_archE942ELNS1_3gpuE9ELNS1_3repE0EEENS1_30default_config_static_selectorELNS0_4arch9wavefront6targetE0EEEvT1_.num_vgpr, 0
	.set _ZN7rocprim17ROCPRIM_400000_NS6detail17trampoline_kernelINS0_14default_configENS1_25transform_config_selectorIjLb0EEEZNS1_14transform_implILb0ES3_S5_PjN6thrust23THRUST_200600_302600_NS6detail15normal_iteratorINS9_10device_ptrIjEEEENS0_8identityIjEEEE10hipError_tT2_T3_mT4_P12ihipStream_tbEUlT_E_NS1_11comp_targetILNS1_3genE5ELNS1_11target_archE942ELNS1_3gpuE9ELNS1_3repE0EEENS1_30default_config_static_selectorELNS0_4arch9wavefront6targetE0EEEvT1_.num_agpr, 0
	.set _ZN7rocprim17ROCPRIM_400000_NS6detail17trampoline_kernelINS0_14default_configENS1_25transform_config_selectorIjLb0EEEZNS1_14transform_implILb0ES3_S5_PjN6thrust23THRUST_200600_302600_NS6detail15normal_iteratorINS9_10device_ptrIjEEEENS0_8identityIjEEEE10hipError_tT2_T3_mT4_P12ihipStream_tbEUlT_E_NS1_11comp_targetILNS1_3genE5ELNS1_11target_archE942ELNS1_3gpuE9ELNS1_3repE0EEENS1_30default_config_static_selectorELNS0_4arch9wavefront6targetE0EEEvT1_.numbered_sgpr, 0
	.set _ZN7rocprim17ROCPRIM_400000_NS6detail17trampoline_kernelINS0_14default_configENS1_25transform_config_selectorIjLb0EEEZNS1_14transform_implILb0ES3_S5_PjN6thrust23THRUST_200600_302600_NS6detail15normal_iteratorINS9_10device_ptrIjEEEENS0_8identityIjEEEE10hipError_tT2_T3_mT4_P12ihipStream_tbEUlT_E_NS1_11comp_targetILNS1_3genE5ELNS1_11target_archE942ELNS1_3gpuE9ELNS1_3repE0EEENS1_30default_config_static_selectorELNS0_4arch9wavefront6targetE0EEEvT1_.num_named_barrier, 0
	.set _ZN7rocprim17ROCPRIM_400000_NS6detail17trampoline_kernelINS0_14default_configENS1_25transform_config_selectorIjLb0EEEZNS1_14transform_implILb0ES3_S5_PjN6thrust23THRUST_200600_302600_NS6detail15normal_iteratorINS9_10device_ptrIjEEEENS0_8identityIjEEEE10hipError_tT2_T3_mT4_P12ihipStream_tbEUlT_E_NS1_11comp_targetILNS1_3genE5ELNS1_11target_archE942ELNS1_3gpuE9ELNS1_3repE0EEENS1_30default_config_static_selectorELNS0_4arch9wavefront6targetE0EEEvT1_.private_seg_size, 0
	.set _ZN7rocprim17ROCPRIM_400000_NS6detail17trampoline_kernelINS0_14default_configENS1_25transform_config_selectorIjLb0EEEZNS1_14transform_implILb0ES3_S5_PjN6thrust23THRUST_200600_302600_NS6detail15normal_iteratorINS9_10device_ptrIjEEEENS0_8identityIjEEEE10hipError_tT2_T3_mT4_P12ihipStream_tbEUlT_E_NS1_11comp_targetILNS1_3genE5ELNS1_11target_archE942ELNS1_3gpuE9ELNS1_3repE0EEENS1_30default_config_static_selectorELNS0_4arch9wavefront6targetE0EEEvT1_.uses_vcc, 0
	.set _ZN7rocprim17ROCPRIM_400000_NS6detail17trampoline_kernelINS0_14default_configENS1_25transform_config_selectorIjLb0EEEZNS1_14transform_implILb0ES3_S5_PjN6thrust23THRUST_200600_302600_NS6detail15normal_iteratorINS9_10device_ptrIjEEEENS0_8identityIjEEEE10hipError_tT2_T3_mT4_P12ihipStream_tbEUlT_E_NS1_11comp_targetILNS1_3genE5ELNS1_11target_archE942ELNS1_3gpuE9ELNS1_3repE0EEENS1_30default_config_static_selectorELNS0_4arch9wavefront6targetE0EEEvT1_.uses_flat_scratch, 0
	.set _ZN7rocprim17ROCPRIM_400000_NS6detail17trampoline_kernelINS0_14default_configENS1_25transform_config_selectorIjLb0EEEZNS1_14transform_implILb0ES3_S5_PjN6thrust23THRUST_200600_302600_NS6detail15normal_iteratorINS9_10device_ptrIjEEEENS0_8identityIjEEEE10hipError_tT2_T3_mT4_P12ihipStream_tbEUlT_E_NS1_11comp_targetILNS1_3genE5ELNS1_11target_archE942ELNS1_3gpuE9ELNS1_3repE0EEENS1_30default_config_static_selectorELNS0_4arch9wavefront6targetE0EEEvT1_.has_dyn_sized_stack, 0
	.set _ZN7rocprim17ROCPRIM_400000_NS6detail17trampoline_kernelINS0_14default_configENS1_25transform_config_selectorIjLb0EEEZNS1_14transform_implILb0ES3_S5_PjN6thrust23THRUST_200600_302600_NS6detail15normal_iteratorINS9_10device_ptrIjEEEENS0_8identityIjEEEE10hipError_tT2_T3_mT4_P12ihipStream_tbEUlT_E_NS1_11comp_targetILNS1_3genE5ELNS1_11target_archE942ELNS1_3gpuE9ELNS1_3repE0EEENS1_30default_config_static_selectorELNS0_4arch9wavefront6targetE0EEEvT1_.has_recursion, 0
	.set _ZN7rocprim17ROCPRIM_400000_NS6detail17trampoline_kernelINS0_14default_configENS1_25transform_config_selectorIjLb0EEEZNS1_14transform_implILb0ES3_S5_PjN6thrust23THRUST_200600_302600_NS6detail15normal_iteratorINS9_10device_ptrIjEEEENS0_8identityIjEEEE10hipError_tT2_T3_mT4_P12ihipStream_tbEUlT_E_NS1_11comp_targetILNS1_3genE5ELNS1_11target_archE942ELNS1_3gpuE9ELNS1_3repE0EEENS1_30default_config_static_selectorELNS0_4arch9wavefront6targetE0EEEvT1_.has_indirect_call, 0
	.section	.AMDGPU.csdata,"",@progbits
; Kernel info:
; codeLenInByte = 0
; TotalNumSgprs: 0
; NumVgprs: 0
; ScratchSize: 0
; MemoryBound: 0
; FloatMode: 240
; IeeeMode: 1
; LDSByteSize: 0 bytes/workgroup (compile time only)
; SGPRBlocks: 0
; VGPRBlocks: 0
; NumSGPRsForWavesPerEU: 1
; NumVGPRsForWavesPerEU: 1
; Occupancy: 16
; WaveLimiterHint : 0
; COMPUTE_PGM_RSRC2:SCRATCH_EN: 0
; COMPUTE_PGM_RSRC2:USER_SGPR: 2
; COMPUTE_PGM_RSRC2:TRAP_HANDLER: 0
; COMPUTE_PGM_RSRC2:TGID_X_EN: 1
; COMPUTE_PGM_RSRC2:TGID_Y_EN: 0
; COMPUTE_PGM_RSRC2:TGID_Z_EN: 0
; COMPUTE_PGM_RSRC2:TIDIG_COMP_CNT: 0
	.section	.text._ZN7rocprim17ROCPRIM_400000_NS6detail17trampoline_kernelINS0_14default_configENS1_25transform_config_selectorIjLb0EEEZNS1_14transform_implILb0ES3_S5_PjN6thrust23THRUST_200600_302600_NS6detail15normal_iteratorINS9_10device_ptrIjEEEENS0_8identityIjEEEE10hipError_tT2_T3_mT4_P12ihipStream_tbEUlT_E_NS1_11comp_targetILNS1_3genE4ELNS1_11target_archE910ELNS1_3gpuE8ELNS1_3repE0EEENS1_30default_config_static_selectorELNS0_4arch9wavefront6targetE0EEEvT1_,"axG",@progbits,_ZN7rocprim17ROCPRIM_400000_NS6detail17trampoline_kernelINS0_14default_configENS1_25transform_config_selectorIjLb0EEEZNS1_14transform_implILb0ES3_S5_PjN6thrust23THRUST_200600_302600_NS6detail15normal_iteratorINS9_10device_ptrIjEEEENS0_8identityIjEEEE10hipError_tT2_T3_mT4_P12ihipStream_tbEUlT_E_NS1_11comp_targetILNS1_3genE4ELNS1_11target_archE910ELNS1_3gpuE8ELNS1_3repE0EEENS1_30default_config_static_selectorELNS0_4arch9wavefront6targetE0EEEvT1_,comdat
	.protected	_ZN7rocprim17ROCPRIM_400000_NS6detail17trampoline_kernelINS0_14default_configENS1_25transform_config_selectorIjLb0EEEZNS1_14transform_implILb0ES3_S5_PjN6thrust23THRUST_200600_302600_NS6detail15normal_iteratorINS9_10device_ptrIjEEEENS0_8identityIjEEEE10hipError_tT2_T3_mT4_P12ihipStream_tbEUlT_E_NS1_11comp_targetILNS1_3genE4ELNS1_11target_archE910ELNS1_3gpuE8ELNS1_3repE0EEENS1_30default_config_static_selectorELNS0_4arch9wavefront6targetE0EEEvT1_ ; -- Begin function _ZN7rocprim17ROCPRIM_400000_NS6detail17trampoline_kernelINS0_14default_configENS1_25transform_config_selectorIjLb0EEEZNS1_14transform_implILb0ES3_S5_PjN6thrust23THRUST_200600_302600_NS6detail15normal_iteratorINS9_10device_ptrIjEEEENS0_8identityIjEEEE10hipError_tT2_T3_mT4_P12ihipStream_tbEUlT_E_NS1_11comp_targetILNS1_3genE4ELNS1_11target_archE910ELNS1_3gpuE8ELNS1_3repE0EEENS1_30default_config_static_selectorELNS0_4arch9wavefront6targetE0EEEvT1_
	.globl	_ZN7rocprim17ROCPRIM_400000_NS6detail17trampoline_kernelINS0_14default_configENS1_25transform_config_selectorIjLb0EEEZNS1_14transform_implILb0ES3_S5_PjN6thrust23THRUST_200600_302600_NS6detail15normal_iteratorINS9_10device_ptrIjEEEENS0_8identityIjEEEE10hipError_tT2_T3_mT4_P12ihipStream_tbEUlT_E_NS1_11comp_targetILNS1_3genE4ELNS1_11target_archE910ELNS1_3gpuE8ELNS1_3repE0EEENS1_30default_config_static_selectorELNS0_4arch9wavefront6targetE0EEEvT1_
	.p2align	8
	.type	_ZN7rocprim17ROCPRIM_400000_NS6detail17trampoline_kernelINS0_14default_configENS1_25transform_config_selectorIjLb0EEEZNS1_14transform_implILb0ES3_S5_PjN6thrust23THRUST_200600_302600_NS6detail15normal_iteratorINS9_10device_ptrIjEEEENS0_8identityIjEEEE10hipError_tT2_T3_mT4_P12ihipStream_tbEUlT_E_NS1_11comp_targetILNS1_3genE4ELNS1_11target_archE910ELNS1_3gpuE8ELNS1_3repE0EEENS1_30default_config_static_selectorELNS0_4arch9wavefront6targetE0EEEvT1_,@function
_ZN7rocprim17ROCPRIM_400000_NS6detail17trampoline_kernelINS0_14default_configENS1_25transform_config_selectorIjLb0EEEZNS1_14transform_implILb0ES3_S5_PjN6thrust23THRUST_200600_302600_NS6detail15normal_iteratorINS9_10device_ptrIjEEEENS0_8identityIjEEEE10hipError_tT2_T3_mT4_P12ihipStream_tbEUlT_E_NS1_11comp_targetILNS1_3genE4ELNS1_11target_archE910ELNS1_3gpuE8ELNS1_3repE0EEENS1_30default_config_static_selectorELNS0_4arch9wavefront6targetE0EEEvT1_: ; @_ZN7rocprim17ROCPRIM_400000_NS6detail17trampoline_kernelINS0_14default_configENS1_25transform_config_selectorIjLb0EEEZNS1_14transform_implILb0ES3_S5_PjN6thrust23THRUST_200600_302600_NS6detail15normal_iteratorINS9_10device_ptrIjEEEENS0_8identityIjEEEE10hipError_tT2_T3_mT4_P12ihipStream_tbEUlT_E_NS1_11comp_targetILNS1_3genE4ELNS1_11target_archE910ELNS1_3gpuE8ELNS1_3repE0EEENS1_30default_config_static_selectorELNS0_4arch9wavefront6targetE0EEEvT1_
; %bb.0:
	.section	.rodata,"a",@progbits
	.p2align	6, 0x0
	.amdhsa_kernel _ZN7rocprim17ROCPRIM_400000_NS6detail17trampoline_kernelINS0_14default_configENS1_25transform_config_selectorIjLb0EEEZNS1_14transform_implILb0ES3_S5_PjN6thrust23THRUST_200600_302600_NS6detail15normal_iteratorINS9_10device_ptrIjEEEENS0_8identityIjEEEE10hipError_tT2_T3_mT4_P12ihipStream_tbEUlT_E_NS1_11comp_targetILNS1_3genE4ELNS1_11target_archE910ELNS1_3gpuE8ELNS1_3repE0EEENS1_30default_config_static_selectorELNS0_4arch9wavefront6targetE0EEEvT1_
		.amdhsa_group_segment_fixed_size 0
		.amdhsa_private_segment_fixed_size 0
		.amdhsa_kernarg_size 40
		.amdhsa_user_sgpr_count 2
		.amdhsa_user_sgpr_dispatch_ptr 0
		.amdhsa_user_sgpr_queue_ptr 0
		.amdhsa_user_sgpr_kernarg_segment_ptr 1
		.amdhsa_user_sgpr_dispatch_id 0
		.amdhsa_user_sgpr_private_segment_size 0
		.amdhsa_wavefront_size32 1
		.amdhsa_uses_dynamic_stack 0
		.amdhsa_enable_private_segment 0
		.amdhsa_system_sgpr_workgroup_id_x 1
		.amdhsa_system_sgpr_workgroup_id_y 0
		.amdhsa_system_sgpr_workgroup_id_z 0
		.amdhsa_system_sgpr_workgroup_info 0
		.amdhsa_system_vgpr_workitem_id 0
		.amdhsa_next_free_vgpr 1
		.amdhsa_next_free_sgpr 1
		.amdhsa_reserve_vcc 0
		.amdhsa_float_round_mode_32 0
		.amdhsa_float_round_mode_16_64 0
		.amdhsa_float_denorm_mode_32 3
		.amdhsa_float_denorm_mode_16_64 3
		.amdhsa_fp16_overflow 0
		.amdhsa_workgroup_processor_mode 1
		.amdhsa_memory_ordered 1
		.amdhsa_forward_progress 1
		.amdhsa_inst_pref_size 0
		.amdhsa_round_robin_scheduling 0
		.amdhsa_exception_fp_ieee_invalid_op 0
		.amdhsa_exception_fp_denorm_src 0
		.amdhsa_exception_fp_ieee_div_zero 0
		.amdhsa_exception_fp_ieee_overflow 0
		.amdhsa_exception_fp_ieee_underflow 0
		.amdhsa_exception_fp_ieee_inexact 0
		.amdhsa_exception_int_div_zero 0
	.end_amdhsa_kernel
	.section	.text._ZN7rocprim17ROCPRIM_400000_NS6detail17trampoline_kernelINS0_14default_configENS1_25transform_config_selectorIjLb0EEEZNS1_14transform_implILb0ES3_S5_PjN6thrust23THRUST_200600_302600_NS6detail15normal_iteratorINS9_10device_ptrIjEEEENS0_8identityIjEEEE10hipError_tT2_T3_mT4_P12ihipStream_tbEUlT_E_NS1_11comp_targetILNS1_3genE4ELNS1_11target_archE910ELNS1_3gpuE8ELNS1_3repE0EEENS1_30default_config_static_selectorELNS0_4arch9wavefront6targetE0EEEvT1_,"axG",@progbits,_ZN7rocprim17ROCPRIM_400000_NS6detail17trampoline_kernelINS0_14default_configENS1_25transform_config_selectorIjLb0EEEZNS1_14transform_implILb0ES3_S5_PjN6thrust23THRUST_200600_302600_NS6detail15normal_iteratorINS9_10device_ptrIjEEEENS0_8identityIjEEEE10hipError_tT2_T3_mT4_P12ihipStream_tbEUlT_E_NS1_11comp_targetILNS1_3genE4ELNS1_11target_archE910ELNS1_3gpuE8ELNS1_3repE0EEENS1_30default_config_static_selectorELNS0_4arch9wavefront6targetE0EEEvT1_,comdat
.Lfunc_end75:
	.size	_ZN7rocprim17ROCPRIM_400000_NS6detail17trampoline_kernelINS0_14default_configENS1_25transform_config_selectorIjLb0EEEZNS1_14transform_implILb0ES3_S5_PjN6thrust23THRUST_200600_302600_NS6detail15normal_iteratorINS9_10device_ptrIjEEEENS0_8identityIjEEEE10hipError_tT2_T3_mT4_P12ihipStream_tbEUlT_E_NS1_11comp_targetILNS1_3genE4ELNS1_11target_archE910ELNS1_3gpuE8ELNS1_3repE0EEENS1_30default_config_static_selectorELNS0_4arch9wavefront6targetE0EEEvT1_, .Lfunc_end75-_ZN7rocprim17ROCPRIM_400000_NS6detail17trampoline_kernelINS0_14default_configENS1_25transform_config_selectorIjLb0EEEZNS1_14transform_implILb0ES3_S5_PjN6thrust23THRUST_200600_302600_NS6detail15normal_iteratorINS9_10device_ptrIjEEEENS0_8identityIjEEEE10hipError_tT2_T3_mT4_P12ihipStream_tbEUlT_E_NS1_11comp_targetILNS1_3genE4ELNS1_11target_archE910ELNS1_3gpuE8ELNS1_3repE0EEENS1_30default_config_static_selectorELNS0_4arch9wavefront6targetE0EEEvT1_
                                        ; -- End function
	.set _ZN7rocprim17ROCPRIM_400000_NS6detail17trampoline_kernelINS0_14default_configENS1_25transform_config_selectorIjLb0EEEZNS1_14transform_implILb0ES3_S5_PjN6thrust23THRUST_200600_302600_NS6detail15normal_iteratorINS9_10device_ptrIjEEEENS0_8identityIjEEEE10hipError_tT2_T3_mT4_P12ihipStream_tbEUlT_E_NS1_11comp_targetILNS1_3genE4ELNS1_11target_archE910ELNS1_3gpuE8ELNS1_3repE0EEENS1_30default_config_static_selectorELNS0_4arch9wavefront6targetE0EEEvT1_.num_vgpr, 0
	.set _ZN7rocprim17ROCPRIM_400000_NS6detail17trampoline_kernelINS0_14default_configENS1_25transform_config_selectorIjLb0EEEZNS1_14transform_implILb0ES3_S5_PjN6thrust23THRUST_200600_302600_NS6detail15normal_iteratorINS9_10device_ptrIjEEEENS0_8identityIjEEEE10hipError_tT2_T3_mT4_P12ihipStream_tbEUlT_E_NS1_11comp_targetILNS1_3genE4ELNS1_11target_archE910ELNS1_3gpuE8ELNS1_3repE0EEENS1_30default_config_static_selectorELNS0_4arch9wavefront6targetE0EEEvT1_.num_agpr, 0
	.set _ZN7rocprim17ROCPRIM_400000_NS6detail17trampoline_kernelINS0_14default_configENS1_25transform_config_selectorIjLb0EEEZNS1_14transform_implILb0ES3_S5_PjN6thrust23THRUST_200600_302600_NS6detail15normal_iteratorINS9_10device_ptrIjEEEENS0_8identityIjEEEE10hipError_tT2_T3_mT4_P12ihipStream_tbEUlT_E_NS1_11comp_targetILNS1_3genE4ELNS1_11target_archE910ELNS1_3gpuE8ELNS1_3repE0EEENS1_30default_config_static_selectorELNS0_4arch9wavefront6targetE0EEEvT1_.numbered_sgpr, 0
	.set _ZN7rocprim17ROCPRIM_400000_NS6detail17trampoline_kernelINS0_14default_configENS1_25transform_config_selectorIjLb0EEEZNS1_14transform_implILb0ES3_S5_PjN6thrust23THRUST_200600_302600_NS6detail15normal_iteratorINS9_10device_ptrIjEEEENS0_8identityIjEEEE10hipError_tT2_T3_mT4_P12ihipStream_tbEUlT_E_NS1_11comp_targetILNS1_3genE4ELNS1_11target_archE910ELNS1_3gpuE8ELNS1_3repE0EEENS1_30default_config_static_selectorELNS0_4arch9wavefront6targetE0EEEvT1_.num_named_barrier, 0
	.set _ZN7rocprim17ROCPRIM_400000_NS6detail17trampoline_kernelINS0_14default_configENS1_25transform_config_selectorIjLb0EEEZNS1_14transform_implILb0ES3_S5_PjN6thrust23THRUST_200600_302600_NS6detail15normal_iteratorINS9_10device_ptrIjEEEENS0_8identityIjEEEE10hipError_tT2_T3_mT4_P12ihipStream_tbEUlT_E_NS1_11comp_targetILNS1_3genE4ELNS1_11target_archE910ELNS1_3gpuE8ELNS1_3repE0EEENS1_30default_config_static_selectorELNS0_4arch9wavefront6targetE0EEEvT1_.private_seg_size, 0
	.set _ZN7rocprim17ROCPRIM_400000_NS6detail17trampoline_kernelINS0_14default_configENS1_25transform_config_selectorIjLb0EEEZNS1_14transform_implILb0ES3_S5_PjN6thrust23THRUST_200600_302600_NS6detail15normal_iteratorINS9_10device_ptrIjEEEENS0_8identityIjEEEE10hipError_tT2_T3_mT4_P12ihipStream_tbEUlT_E_NS1_11comp_targetILNS1_3genE4ELNS1_11target_archE910ELNS1_3gpuE8ELNS1_3repE0EEENS1_30default_config_static_selectorELNS0_4arch9wavefront6targetE0EEEvT1_.uses_vcc, 0
	.set _ZN7rocprim17ROCPRIM_400000_NS6detail17trampoline_kernelINS0_14default_configENS1_25transform_config_selectorIjLb0EEEZNS1_14transform_implILb0ES3_S5_PjN6thrust23THRUST_200600_302600_NS6detail15normal_iteratorINS9_10device_ptrIjEEEENS0_8identityIjEEEE10hipError_tT2_T3_mT4_P12ihipStream_tbEUlT_E_NS1_11comp_targetILNS1_3genE4ELNS1_11target_archE910ELNS1_3gpuE8ELNS1_3repE0EEENS1_30default_config_static_selectorELNS0_4arch9wavefront6targetE0EEEvT1_.uses_flat_scratch, 0
	.set _ZN7rocprim17ROCPRIM_400000_NS6detail17trampoline_kernelINS0_14default_configENS1_25transform_config_selectorIjLb0EEEZNS1_14transform_implILb0ES3_S5_PjN6thrust23THRUST_200600_302600_NS6detail15normal_iteratorINS9_10device_ptrIjEEEENS0_8identityIjEEEE10hipError_tT2_T3_mT4_P12ihipStream_tbEUlT_E_NS1_11comp_targetILNS1_3genE4ELNS1_11target_archE910ELNS1_3gpuE8ELNS1_3repE0EEENS1_30default_config_static_selectorELNS0_4arch9wavefront6targetE0EEEvT1_.has_dyn_sized_stack, 0
	.set _ZN7rocprim17ROCPRIM_400000_NS6detail17trampoline_kernelINS0_14default_configENS1_25transform_config_selectorIjLb0EEEZNS1_14transform_implILb0ES3_S5_PjN6thrust23THRUST_200600_302600_NS6detail15normal_iteratorINS9_10device_ptrIjEEEENS0_8identityIjEEEE10hipError_tT2_T3_mT4_P12ihipStream_tbEUlT_E_NS1_11comp_targetILNS1_3genE4ELNS1_11target_archE910ELNS1_3gpuE8ELNS1_3repE0EEENS1_30default_config_static_selectorELNS0_4arch9wavefront6targetE0EEEvT1_.has_recursion, 0
	.set _ZN7rocprim17ROCPRIM_400000_NS6detail17trampoline_kernelINS0_14default_configENS1_25transform_config_selectorIjLb0EEEZNS1_14transform_implILb0ES3_S5_PjN6thrust23THRUST_200600_302600_NS6detail15normal_iteratorINS9_10device_ptrIjEEEENS0_8identityIjEEEE10hipError_tT2_T3_mT4_P12ihipStream_tbEUlT_E_NS1_11comp_targetILNS1_3genE4ELNS1_11target_archE910ELNS1_3gpuE8ELNS1_3repE0EEENS1_30default_config_static_selectorELNS0_4arch9wavefront6targetE0EEEvT1_.has_indirect_call, 0
	.section	.AMDGPU.csdata,"",@progbits
; Kernel info:
; codeLenInByte = 0
; TotalNumSgprs: 0
; NumVgprs: 0
; ScratchSize: 0
; MemoryBound: 0
; FloatMode: 240
; IeeeMode: 1
; LDSByteSize: 0 bytes/workgroup (compile time only)
; SGPRBlocks: 0
; VGPRBlocks: 0
; NumSGPRsForWavesPerEU: 1
; NumVGPRsForWavesPerEU: 1
; Occupancy: 16
; WaveLimiterHint : 0
; COMPUTE_PGM_RSRC2:SCRATCH_EN: 0
; COMPUTE_PGM_RSRC2:USER_SGPR: 2
; COMPUTE_PGM_RSRC2:TRAP_HANDLER: 0
; COMPUTE_PGM_RSRC2:TGID_X_EN: 1
; COMPUTE_PGM_RSRC2:TGID_Y_EN: 0
; COMPUTE_PGM_RSRC2:TGID_Z_EN: 0
; COMPUTE_PGM_RSRC2:TIDIG_COMP_CNT: 0
	.section	.text._ZN7rocprim17ROCPRIM_400000_NS6detail17trampoline_kernelINS0_14default_configENS1_25transform_config_selectorIjLb0EEEZNS1_14transform_implILb0ES3_S5_PjN6thrust23THRUST_200600_302600_NS6detail15normal_iteratorINS9_10device_ptrIjEEEENS0_8identityIjEEEE10hipError_tT2_T3_mT4_P12ihipStream_tbEUlT_E_NS1_11comp_targetILNS1_3genE3ELNS1_11target_archE908ELNS1_3gpuE7ELNS1_3repE0EEENS1_30default_config_static_selectorELNS0_4arch9wavefront6targetE0EEEvT1_,"axG",@progbits,_ZN7rocprim17ROCPRIM_400000_NS6detail17trampoline_kernelINS0_14default_configENS1_25transform_config_selectorIjLb0EEEZNS1_14transform_implILb0ES3_S5_PjN6thrust23THRUST_200600_302600_NS6detail15normal_iteratorINS9_10device_ptrIjEEEENS0_8identityIjEEEE10hipError_tT2_T3_mT4_P12ihipStream_tbEUlT_E_NS1_11comp_targetILNS1_3genE3ELNS1_11target_archE908ELNS1_3gpuE7ELNS1_3repE0EEENS1_30default_config_static_selectorELNS0_4arch9wavefront6targetE0EEEvT1_,comdat
	.protected	_ZN7rocprim17ROCPRIM_400000_NS6detail17trampoline_kernelINS0_14default_configENS1_25transform_config_selectorIjLb0EEEZNS1_14transform_implILb0ES3_S5_PjN6thrust23THRUST_200600_302600_NS6detail15normal_iteratorINS9_10device_ptrIjEEEENS0_8identityIjEEEE10hipError_tT2_T3_mT4_P12ihipStream_tbEUlT_E_NS1_11comp_targetILNS1_3genE3ELNS1_11target_archE908ELNS1_3gpuE7ELNS1_3repE0EEENS1_30default_config_static_selectorELNS0_4arch9wavefront6targetE0EEEvT1_ ; -- Begin function _ZN7rocprim17ROCPRIM_400000_NS6detail17trampoline_kernelINS0_14default_configENS1_25transform_config_selectorIjLb0EEEZNS1_14transform_implILb0ES3_S5_PjN6thrust23THRUST_200600_302600_NS6detail15normal_iteratorINS9_10device_ptrIjEEEENS0_8identityIjEEEE10hipError_tT2_T3_mT4_P12ihipStream_tbEUlT_E_NS1_11comp_targetILNS1_3genE3ELNS1_11target_archE908ELNS1_3gpuE7ELNS1_3repE0EEENS1_30default_config_static_selectorELNS0_4arch9wavefront6targetE0EEEvT1_
	.globl	_ZN7rocprim17ROCPRIM_400000_NS6detail17trampoline_kernelINS0_14default_configENS1_25transform_config_selectorIjLb0EEEZNS1_14transform_implILb0ES3_S5_PjN6thrust23THRUST_200600_302600_NS6detail15normal_iteratorINS9_10device_ptrIjEEEENS0_8identityIjEEEE10hipError_tT2_T3_mT4_P12ihipStream_tbEUlT_E_NS1_11comp_targetILNS1_3genE3ELNS1_11target_archE908ELNS1_3gpuE7ELNS1_3repE0EEENS1_30default_config_static_selectorELNS0_4arch9wavefront6targetE0EEEvT1_
	.p2align	8
	.type	_ZN7rocprim17ROCPRIM_400000_NS6detail17trampoline_kernelINS0_14default_configENS1_25transform_config_selectorIjLb0EEEZNS1_14transform_implILb0ES3_S5_PjN6thrust23THRUST_200600_302600_NS6detail15normal_iteratorINS9_10device_ptrIjEEEENS0_8identityIjEEEE10hipError_tT2_T3_mT4_P12ihipStream_tbEUlT_E_NS1_11comp_targetILNS1_3genE3ELNS1_11target_archE908ELNS1_3gpuE7ELNS1_3repE0EEENS1_30default_config_static_selectorELNS0_4arch9wavefront6targetE0EEEvT1_,@function
_ZN7rocprim17ROCPRIM_400000_NS6detail17trampoline_kernelINS0_14default_configENS1_25transform_config_selectorIjLb0EEEZNS1_14transform_implILb0ES3_S5_PjN6thrust23THRUST_200600_302600_NS6detail15normal_iteratorINS9_10device_ptrIjEEEENS0_8identityIjEEEE10hipError_tT2_T3_mT4_P12ihipStream_tbEUlT_E_NS1_11comp_targetILNS1_3genE3ELNS1_11target_archE908ELNS1_3gpuE7ELNS1_3repE0EEENS1_30default_config_static_selectorELNS0_4arch9wavefront6targetE0EEEvT1_: ; @_ZN7rocprim17ROCPRIM_400000_NS6detail17trampoline_kernelINS0_14default_configENS1_25transform_config_selectorIjLb0EEEZNS1_14transform_implILb0ES3_S5_PjN6thrust23THRUST_200600_302600_NS6detail15normal_iteratorINS9_10device_ptrIjEEEENS0_8identityIjEEEE10hipError_tT2_T3_mT4_P12ihipStream_tbEUlT_E_NS1_11comp_targetILNS1_3genE3ELNS1_11target_archE908ELNS1_3gpuE7ELNS1_3repE0EEENS1_30default_config_static_selectorELNS0_4arch9wavefront6targetE0EEEvT1_
; %bb.0:
	.section	.rodata,"a",@progbits
	.p2align	6, 0x0
	.amdhsa_kernel _ZN7rocprim17ROCPRIM_400000_NS6detail17trampoline_kernelINS0_14default_configENS1_25transform_config_selectorIjLb0EEEZNS1_14transform_implILb0ES3_S5_PjN6thrust23THRUST_200600_302600_NS6detail15normal_iteratorINS9_10device_ptrIjEEEENS0_8identityIjEEEE10hipError_tT2_T3_mT4_P12ihipStream_tbEUlT_E_NS1_11comp_targetILNS1_3genE3ELNS1_11target_archE908ELNS1_3gpuE7ELNS1_3repE0EEENS1_30default_config_static_selectorELNS0_4arch9wavefront6targetE0EEEvT1_
		.amdhsa_group_segment_fixed_size 0
		.amdhsa_private_segment_fixed_size 0
		.amdhsa_kernarg_size 40
		.amdhsa_user_sgpr_count 2
		.amdhsa_user_sgpr_dispatch_ptr 0
		.amdhsa_user_sgpr_queue_ptr 0
		.amdhsa_user_sgpr_kernarg_segment_ptr 1
		.amdhsa_user_sgpr_dispatch_id 0
		.amdhsa_user_sgpr_private_segment_size 0
		.amdhsa_wavefront_size32 1
		.amdhsa_uses_dynamic_stack 0
		.amdhsa_enable_private_segment 0
		.amdhsa_system_sgpr_workgroup_id_x 1
		.amdhsa_system_sgpr_workgroup_id_y 0
		.amdhsa_system_sgpr_workgroup_id_z 0
		.amdhsa_system_sgpr_workgroup_info 0
		.amdhsa_system_vgpr_workitem_id 0
		.amdhsa_next_free_vgpr 1
		.amdhsa_next_free_sgpr 1
		.amdhsa_reserve_vcc 0
		.amdhsa_float_round_mode_32 0
		.amdhsa_float_round_mode_16_64 0
		.amdhsa_float_denorm_mode_32 3
		.amdhsa_float_denorm_mode_16_64 3
		.amdhsa_fp16_overflow 0
		.amdhsa_workgroup_processor_mode 1
		.amdhsa_memory_ordered 1
		.amdhsa_forward_progress 1
		.amdhsa_inst_pref_size 0
		.amdhsa_round_robin_scheduling 0
		.amdhsa_exception_fp_ieee_invalid_op 0
		.amdhsa_exception_fp_denorm_src 0
		.amdhsa_exception_fp_ieee_div_zero 0
		.amdhsa_exception_fp_ieee_overflow 0
		.amdhsa_exception_fp_ieee_underflow 0
		.amdhsa_exception_fp_ieee_inexact 0
		.amdhsa_exception_int_div_zero 0
	.end_amdhsa_kernel
	.section	.text._ZN7rocprim17ROCPRIM_400000_NS6detail17trampoline_kernelINS0_14default_configENS1_25transform_config_selectorIjLb0EEEZNS1_14transform_implILb0ES3_S5_PjN6thrust23THRUST_200600_302600_NS6detail15normal_iteratorINS9_10device_ptrIjEEEENS0_8identityIjEEEE10hipError_tT2_T3_mT4_P12ihipStream_tbEUlT_E_NS1_11comp_targetILNS1_3genE3ELNS1_11target_archE908ELNS1_3gpuE7ELNS1_3repE0EEENS1_30default_config_static_selectorELNS0_4arch9wavefront6targetE0EEEvT1_,"axG",@progbits,_ZN7rocprim17ROCPRIM_400000_NS6detail17trampoline_kernelINS0_14default_configENS1_25transform_config_selectorIjLb0EEEZNS1_14transform_implILb0ES3_S5_PjN6thrust23THRUST_200600_302600_NS6detail15normal_iteratorINS9_10device_ptrIjEEEENS0_8identityIjEEEE10hipError_tT2_T3_mT4_P12ihipStream_tbEUlT_E_NS1_11comp_targetILNS1_3genE3ELNS1_11target_archE908ELNS1_3gpuE7ELNS1_3repE0EEENS1_30default_config_static_selectorELNS0_4arch9wavefront6targetE0EEEvT1_,comdat
.Lfunc_end76:
	.size	_ZN7rocprim17ROCPRIM_400000_NS6detail17trampoline_kernelINS0_14default_configENS1_25transform_config_selectorIjLb0EEEZNS1_14transform_implILb0ES3_S5_PjN6thrust23THRUST_200600_302600_NS6detail15normal_iteratorINS9_10device_ptrIjEEEENS0_8identityIjEEEE10hipError_tT2_T3_mT4_P12ihipStream_tbEUlT_E_NS1_11comp_targetILNS1_3genE3ELNS1_11target_archE908ELNS1_3gpuE7ELNS1_3repE0EEENS1_30default_config_static_selectorELNS0_4arch9wavefront6targetE0EEEvT1_, .Lfunc_end76-_ZN7rocprim17ROCPRIM_400000_NS6detail17trampoline_kernelINS0_14default_configENS1_25transform_config_selectorIjLb0EEEZNS1_14transform_implILb0ES3_S5_PjN6thrust23THRUST_200600_302600_NS6detail15normal_iteratorINS9_10device_ptrIjEEEENS0_8identityIjEEEE10hipError_tT2_T3_mT4_P12ihipStream_tbEUlT_E_NS1_11comp_targetILNS1_3genE3ELNS1_11target_archE908ELNS1_3gpuE7ELNS1_3repE0EEENS1_30default_config_static_selectorELNS0_4arch9wavefront6targetE0EEEvT1_
                                        ; -- End function
	.set _ZN7rocprim17ROCPRIM_400000_NS6detail17trampoline_kernelINS0_14default_configENS1_25transform_config_selectorIjLb0EEEZNS1_14transform_implILb0ES3_S5_PjN6thrust23THRUST_200600_302600_NS6detail15normal_iteratorINS9_10device_ptrIjEEEENS0_8identityIjEEEE10hipError_tT2_T3_mT4_P12ihipStream_tbEUlT_E_NS1_11comp_targetILNS1_3genE3ELNS1_11target_archE908ELNS1_3gpuE7ELNS1_3repE0EEENS1_30default_config_static_selectorELNS0_4arch9wavefront6targetE0EEEvT1_.num_vgpr, 0
	.set _ZN7rocprim17ROCPRIM_400000_NS6detail17trampoline_kernelINS0_14default_configENS1_25transform_config_selectorIjLb0EEEZNS1_14transform_implILb0ES3_S5_PjN6thrust23THRUST_200600_302600_NS6detail15normal_iteratorINS9_10device_ptrIjEEEENS0_8identityIjEEEE10hipError_tT2_T3_mT4_P12ihipStream_tbEUlT_E_NS1_11comp_targetILNS1_3genE3ELNS1_11target_archE908ELNS1_3gpuE7ELNS1_3repE0EEENS1_30default_config_static_selectorELNS0_4arch9wavefront6targetE0EEEvT1_.num_agpr, 0
	.set _ZN7rocprim17ROCPRIM_400000_NS6detail17trampoline_kernelINS0_14default_configENS1_25transform_config_selectorIjLb0EEEZNS1_14transform_implILb0ES3_S5_PjN6thrust23THRUST_200600_302600_NS6detail15normal_iteratorINS9_10device_ptrIjEEEENS0_8identityIjEEEE10hipError_tT2_T3_mT4_P12ihipStream_tbEUlT_E_NS1_11comp_targetILNS1_3genE3ELNS1_11target_archE908ELNS1_3gpuE7ELNS1_3repE0EEENS1_30default_config_static_selectorELNS0_4arch9wavefront6targetE0EEEvT1_.numbered_sgpr, 0
	.set _ZN7rocprim17ROCPRIM_400000_NS6detail17trampoline_kernelINS0_14default_configENS1_25transform_config_selectorIjLb0EEEZNS1_14transform_implILb0ES3_S5_PjN6thrust23THRUST_200600_302600_NS6detail15normal_iteratorINS9_10device_ptrIjEEEENS0_8identityIjEEEE10hipError_tT2_T3_mT4_P12ihipStream_tbEUlT_E_NS1_11comp_targetILNS1_3genE3ELNS1_11target_archE908ELNS1_3gpuE7ELNS1_3repE0EEENS1_30default_config_static_selectorELNS0_4arch9wavefront6targetE0EEEvT1_.num_named_barrier, 0
	.set _ZN7rocprim17ROCPRIM_400000_NS6detail17trampoline_kernelINS0_14default_configENS1_25transform_config_selectorIjLb0EEEZNS1_14transform_implILb0ES3_S5_PjN6thrust23THRUST_200600_302600_NS6detail15normal_iteratorINS9_10device_ptrIjEEEENS0_8identityIjEEEE10hipError_tT2_T3_mT4_P12ihipStream_tbEUlT_E_NS1_11comp_targetILNS1_3genE3ELNS1_11target_archE908ELNS1_3gpuE7ELNS1_3repE0EEENS1_30default_config_static_selectorELNS0_4arch9wavefront6targetE0EEEvT1_.private_seg_size, 0
	.set _ZN7rocprim17ROCPRIM_400000_NS6detail17trampoline_kernelINS0_14default_configENS1_25transform_config_selectorIjLb0EEEZNS1_14transform_implILb0ES3_S5_PjN6thrust23THRUST_200600_302600_NS6detail15normal_iteratorINS9_10device_ptrIjEEEENS0_8identityIjEEEE10hipError_tT2_T3_mT4_P12ihipStream_tbEUlT_E_NS1_11comp_targetILNS1_3genE3ELNS1_11target_archE908ELNS1_3gpuE7ELNS1_3repE0EEENS1_30default_config_static_selectorELNS0_4arch9wavefront6targetE0EEEvT1_.uses_vcc, 0
	.set _ZN7rocprim17ROCPRIM_400000_NS6detail17trampoline_kernelINS0_14default_configENS1_25transform_config_selectorIjLb0EEEZNS1_14transform_implILb0ES3_S5_PjN6thrust23THRUST_200600_302600_NS6detail15normal_iteratorINS9_10device_ptrIjEEEENS0_8identityIjEEEE10hipError_tT2_T3_mT4_P12ihipStream_tbEUlT_E_NS1_11comp_targetILNS1_3genE3ELNS1_11target_archE908ELNS1_3gpuE7ELNS1_3repE0EEENS1_30default_config_static_selectorELNS0_4arch9wavefront6targetE0EEEvT1_.uses_flat_scratch, 0
	.set _ZN7rocprim17ROCPRIM_400000_NS6detail17trampoline_kernelINS0_14default_configENS1_25transform_config_selectorIjLb0EEEZNS1_14transform_implILb0ES3_S5_PjN6thrust23THRUST_200600_302600_NS6detail15normal_iteratorINS9_10device_ptrIjEEEENS0_8identityIjEEEE10hipError_tT2_T3_mT4_P12ihipStream_tbEUlT_E_NS1_11comp_targetILNS1_3genE3ELNS1_11target_archE908ELNS1_3gpuE7ELNS1_3repE0EEENS1_30default_config_static_selectorELNS0_4arch9wavefront6targetE0EEEvT1_.has_dyn_sized_stack, 0
	.set _ZN7rocprim17ROCPRIM_400000_NS6detail17trampoline_kernelINS0_14default_configENS1_25transform_config_selectorIjLb0EEEZNS1_14transform_implILb0ES3_S5_PjN6thrust23THRUST_200600_302600_NS6detail15normal_iteratorINS9_10device_ptrIjEEEENS0_8identityIjEEEE10hipError_tT2_T3_mT4_P12ihipStream_tbEUlT_E_NS1_11comp_targetILNS1_3genE3ELNS1_11target_archE908ELNS1_3gpuE7ELNS1_3repE0EEENS1_30default_config_static_selectorELNS0_4arch9wavefront6targetE0EEEvT1_.has_recursion, 0
	.set _ZN7rocprim17ROCPRIM_400000_NS6detail17trampoline_kernelINS0_14default_configENS1_25transform_config_selectorIjLb0EEEZNS1_14transform_implILb0ES3_S5_PjN6thrust23THRUST_200600_302600_NS6detail15normal_iteratorINS9_10device_ptrIjEEEENS0_8identityIjEEEE10hipError_tT2_T3_mT4_P12ihipStream_tbEUlT_E_NS1_11comp_targetILNS1_3genE3ELNS1_11target_archE908ELNS1_3gpuE7ELNS1_3repE0EEENS1_30default_config_static_selectorELNS0_4arch9wavefront6targetE0EEEvT1_.has_indirect_call, 0
	.section	.AMDGPU.csdata,"",@progbits
; Kernel info:
; codeLenInByte = 0
; TotalNumSgprs: 0
; NumVgprs: 0
; ScratchSize: 0
; MemoryBound: 0
; FloatMode: 240
; IeeeMode: 1
; LDSByteSize: 0 bytes/workgroup (compile time only)
; SGPRBlocks: 0
; VGPRBlocks: 0
; NumSGPRsForWavesPerEU: 1
; NumVGPRsForWavesPerEU: 1
; Occupancy: 16
; WaveLimiterHint : 0
; COMPUTE_PGM_RSRC2:SCRATCH_EN: 0
; COMPUTE_PGM_RSRC2:USER_SGPR: 2
; COMPUTE_PGM_RSRC2:TRAP_HANDLER: 0
; COMPUTE_PGM_RSRC2:TGID_X_EN: 1
; COMPUTE_PGM_RSRC2:TGID_Y_EN: 0
; COMPUTE_PGM_RSRC2:TGID_Z_EN: 0
; COMPUTE_PGM_RSRC2:TIDIG_COMP_CNT: 0
	.section	.text._ZN7rocprim17ROCPRIM_400000_NS6detail17trampoline_kernelINS0_14default_configENS1_25transform_config_selectorIjLb0EEEZNS1_14transform_implILb0ES3_S5_PjN6thrust23THRUST_200600_302600_NS6detail15normal_iteratorINS9_10device_ptrIjEEEENS0_8identityIjEEEE10hipError_tT2_T3_mT4_P12ihipStream_tbEUlT_E_NS1_11comp_targetILNS1_3genE2ELNS1_11target_archE906ELNS1_3gpuE6ELNS1_3repE0EEENS1_30default_config_static_selectorELNS0_4arch9wavefront6targetE0EEEvT1_,"axG",@progbits,_ZN7rocprim17ROCPRIM_400000_NS6detail17trampoline_kernelINS0_14default_configENS1_25transform_config_selectorIjLb0EEEZNS1_14transform_implILb0ES3_S5_PjN6thrust23THRUST_200600_302600_NS6detail15normal_iteratorINS9_10device_ptrIjEEEENS0_8identityIjEEEE10hipError_tT2_T3_mT4_P12ihipStream_tbEUlT_E_NS1_11comp_targetILNS1_3genE2ELNS1_11target_archE906ELNS1_3gpuE6ELNS1_3repE0EEENS1_30default_config_static_selectorELNS0_4arch9wavefront6targetE0EEEvT1_,comdat
	.protected	_ZN7rocprim17ROCPRIM_400000_NS6detail17trampoline_kernelINS0_14default_configENS1_25transform_config_selectorIjLb0EEEZNS1_14transform_implILb0ES3_S5_PjN6thrust23THRUST_200600_302600_NS6detail15normal_iteratorINS9_10device_ptrIjEEEENS0_8identityIjEEEE10hipError_tT2_T3_mT4_P12ihipStream_tbEUlT_E_NS1_11comp_targetILNS1_3genE2ELNS1_11target_archE906ELNS1_3gpuE6ELNS1_3repE0EEENS1_30default_config_static_selectorELNS0_4arch9wavefront6targetE0EEEvT1_ ; -- Begin function _ZN7rocprim17ROCPRIM_400000_NS6detail17trampoline_kernelINS0_14default_configENS1_25transform_config_selectorIjLb0EEEZNS1_14transform_implILb0ES3_S5_PjN6thrust23THRUST_200600_302600_NS6detail15normal_iteratorINS9_10device_ptrIjEEEENS0_8identityIjEEEE10hipError_tT2_T3_mT4_P12ihipStream_tbEUlT_E_NS1_11comp_targetILNS1_3genE2ELNS1_11target_archE906ELNS1_3gpuE6ELNS1_3repE0EEENS1_30default_config_static_selectorELNS0_4arch9wavefront6targetE0EEEvT1_
	.globl	_ZN7rocprim17ROCPRIM_400000_NS6detail17trampoline_kernelINS0_14default_configENS1_25transform_config_selectorIjLb0EEEZNS1_14transform_implILb0ES3_S5_PjN6thrust23THRUST_200600_302600_NS6detail15normal_iteratorINS9_10device_ptrIjEEEENS0_8identityIjEEEE10hipError_tT2_T3_mT4_P12ihipStream_tbEUlT_E_NS1_11comp_targetILNS1_3genE2ELNS1_11target_archE906ELNS1_3gpuE6ELNS1_3repE0EEENS1_30default_config_static_selectorELNS0_4arch9wavefront6targetE0EEEvT1_
	.p2align	8
	.type	_ZN7rocprim17ROCPRIM_400000_NS6detail17trampoline_kernelINS0_14default_configENS1_25transform_config_selectorIjLb0EEEZNS1_14transform_implILb0ES3_S5_PjN6thrust23THRUST_200600_302600_NS6detail15normal_iteratorINS9_10device_ptrIjEEEENS0_8identityIjEEEE10hipError_tT2_T3_mT4_P12ihipStream_tbEUlT_E_NS1_11comp_targetILNS1_3genE2ELNS1_11target_archE906ELNS1_3gpuE6ELNS1_3repE0EEENS1_30default_config_static_selectorELNS0_4arch9wavefront6targetE0EEEvT1_,@function
_ZN7rocprim17ROCPRIM_400000_NS6detail17trampoline_kernelINS0_14default_configENS1_25transform_config_selectorIjLb0EEEZNS1_14transform_implILb0ES3_S5_PjN6thrust23THRUST_200600_302600_NS6detail15normal_iteratorINS9_10device_ptrIjEEEENS0_8identityIjEEEE10hipError_tT2_T3_mT4_P12ihipStream_tbEUlT_E_NS1_11comp_targetILNS1_3genE2ELNS1_11target_archE906ELNS1_3gpuE6ELNS1_3repE0EEENS1_30default_config_static_selectorELNS0_4arch9wavefront6targetE0EEEvT1_: ; @_ZN7rocprim17ROCPRIM_400000_NS6detail17trampoline_kernelINS0_14default_configENS1_25transform_config_selectorIjLb0EEEZNS1_14transform_implILb0ES3_S5_PjN6thrust23THRUST_200600_302600_NS6detail15normal_iteratorINS9_10device_ptrIjEEEENS0_8identityIjEEEE10hipError_tT2_T3_mT4_P12ihipStream_tbEUlT_E_NS1_11comp_targetILNS1_3genE2ELNS1_11target_archE906ELNS1_3gpuE6ELNS1_3repE0EEENS1_30default_config_static_selectorELNS0_4arch9wavefront6targetE0EEEvT1_
; %bb.0:
	.section	.rodata,"a",@progbits
	.p2align	6, 0x0
	.amdhsa_kernel _ZN7rocprim17ROCPRIM_400000_NS6detail17trampoline_kernelINS0_14default_configENS1_25transform_config_selectorIjLb0EEEZNS1_14transform_implILb0ES3_S5_PjN6thrust23THRUST_200600_302600_NS6detail15normal_iteratorINS9_10device_ptrIjEEEENS0_8identityIjEEEE10hipError_tT2_T3_mT4_P12ihipStream_tbEUlT_E_NS1_11comp_targetILNS1_3genE2ELNS1_11target_archE906ELNS1_3gpuE6ELNS1_3repE0EEENS1_30default_config_static_selectorELNS0_4arch9wavefront6targetE0EEEvT1_
		.amdhsa_group_segment_fixed_size 0
		.amdhsa_private_segment_fixed_size 0
		.amdhsa_kernarg_size 40
		.amdhsa_user_sgpr_count 2
		.amdhsa_user_sgpr_dispatch_ptr 0
		.amdhsa_user_sgpr_queue_ptr 0
		.amdhsa_user_sgpr_kernarg_segment_ptr 1
		.amdhsa_user_sgpr_dispatch_id 0
		.amdhsa_user_sgpr_private_segment_size 0
		.amdhsa_wavefront_size32 1
		.amdhsa_uses_dynamic_stack 0
		.amdhsa_enable_private_segment 0
		.amdhsa_system_sgpr_workgroup_id_x 1
		.amdhsa_system_sgpr_workgroup_id_y 0
		.amdhsa_system_sgpr_workgroup_id_z 0
		.amdhsa_system_sgpr_workgroup_info 0
		.amdhsa_system_vgpr_workitem_id 0
		.amdhsa_next_free_vgpr 1
		.amdhsa_next_free_sgpr 1
		.amdhsa_reserve_vcc 0
		.amdhsa_float_round_mode_32 0
		.amdhsa_float_round_mode_16_64 0
		.amdhsa_float_denorm_mode_32 3
		.amdhsa_float_denorm_mode_16_64 3
		.amdhsa_fp16_overflow 0
		.amdhsa_workgroup_processor_mode 1
		.amdhsa_memory_ordered 1
		.amdhsa_forward_progress 1
		.amdhsa_inst_pref_size 0
		.amdhsa_round_robin_scheduling 0
		.amdhsa_exception_fp_ieee_invalid_op 0
		.amdhsa_exception_fp_denorm_src 0
		.amdhsa_exception_fp_ieee_div_zero 0
		.amdhsa_exception_fp_ieee_overflow 0
		.amdhsa_exception_fp_ieee_underflow 0
		.amdhsa_exception_fp_ieee_inexact 0
		.amdhsa_exception_int_div_zero 0
	.end_amdhsa_kernel
	.section	.text._ZN7rocprim17ROCPRIM_400000_NS6detail17trampoline_kernelINS0_14default_configENS1_25transform_config_selectorIjLb0EEEZNS1_14transform_implILb0ES3_S5_PjN6thrust23THRUST_200600_302600_NS6detail15normal_iteratorINS9_10device_ptrIjEEEENS0_8identityIjEEEE10hipError_tT2_T3_mT4_P12ihipStream_tbEUlT_E_NS1_11comp_targetILNS1_3genE2ELNS1_11target_archE906ELNS1_3gpuE6ELNS1_3repE0EEENS1_30default_config_static_selectorELNS0_4arch9wavefront6targetE0EEEvT1_,"axG",@progbits,_ZN7rocprim17ROCPRIM_400000_NS6detail17trampoline_kernelINS0_14default_configENS1_25transform_config_selectorIjLb0EEEZNS1_14transform_implILb0ES3_S5_PjN6thrust23THRUST_200600_302600_NS6detail15normal_iteratorINS9_10device_ptrIjEEEENS0_8identityIjEEEE10hipError_tT2_T3_mT4_P12ihipStream_tbEUlT_E_NS1_11comp_targetILNS1_3genE2ELNS1_11target_archE906ELNS1_3gpuE6ELNS1_3repE0EEENS1_30default_config_static_selectorELNS0_4arch9wavefront6targetE0EEEvT1_,comdat
.Lfunc_end77:
	.size	_ZN7rocprim17ROCPRIM_400000_NS6detail17trampoline_kernelINS0_14default_configENS1_25transform_config_selectorIjLb0EEEZNS1_14transform_implILb0ES3_S5_PjN6thrust23THRUST_200600_302600_NS6detail15normal_iteratorINS9_10device_ptrIjEEEENS0_8identityIjEEEE10hipError_tT2_T3_mT4_P12ihipStream_tbEUlT_E_NS1_11comp_targetILNS1_3genE2ELNS1_11target_archE906ELNS1_3gpuE6ELNS1_3repE0EEENS1_30default_config_static_selectorELNS0_4arch9wavefront6targetE0EEEvT1_, .Lfunc_end77-_ZN7rocprim17ROCPRIM_400000_NS6detail17trampoline_kernelINS0_14default_configENS1_25transform_config_selectorIjLb0EEEZNS1_14transform_implILb0ES3_S5_PjN6thrust23THRUST_200600_302600_NS6detail15normal_iteratorINS9_10device_ptrIjEEEENS0_8identityIjEEEE10hipError_tT2_T3_mT4_P12ihipStream_tbEUlT_E_NS1_11comp_targetILNS1_3genE2ELNS1_11target_archE906ELNS1_3gpuE6ELNS1_3repE0EEENS1_30default_config_static_selectorELNS0_4arch9wavefront6targetE0EEEvT1_
                                        ; -- End function
	.set _ZN7rocprim17ROCPRIM_400000_NS6detail17trampoline_kernelINS0_14default_configENS1_25transform_config_selectorIjLb0EEEZNS1_14transform_implILb0ES3_S5_PjN6thrust23THRUST_200600_302600_NS6detail15normal_iteratorINS9_10device_ptrIjEEEENS0_8identityIjEEEE10hipError_tT2_T3_mT4_P12ihipStream_tbEUlT_E_NS1_11comp_targetILNS1_3genE2ELNS1_11target_archE906ELNS1_3gpuE6ELNS1_3repE0EEENS1_30default_config_static_selectorELNS0_4arch9wavefront6targetE0EEEvT1_.num_vgpr, 0
	.set _ZN7rocprim17ROCPRIM_400000_NS6detail17trampoline_kernelINS0_14default_configENS1_25transform_config_selectorIjLb0EEEZNS1_14transform_implILb0ES3_S5_PjN6thrust23THRUST_200600_302600_NS6detail15normal_iteratorINS9_10device_ptrIjEEEENS0_8identityIjEEEE10hipError_tT2_T3_mT4_P12ihipStream_tbEUlT_E_NS1_11comp_targetILNS1_3genE2ELNS1_11target_archE906ELNS1_3gpuE6ELNS1_3repE0EEENS1_30default_config_static_selectorELNS0_4arch9wavefront6targetE0EEEvT1_.num_agpr, 0
	.set _ZN7rocprim17ROCPRIM_400000_NS6detail17trampoline_kernelINS0_14default_configENS1_25transform_config_selectorIjLb0EEEZNS1_14transform_implILb0ES3_S5_PjN6thrust23THRUST_200600_302600_NS6detail15normal_iteratorINS9_10device_ptrIjEEEENS0_8identityIjEEEE10hipError_tT2_T3_mT4_P12ihipStream_tbEUlT_E_NS1_11comp_targetILNS1_3genE2ELNS1_11target_archE906ELNS1_3gpuE6ELNS1_3repE0EEENS1_30default_config_static_selectorELNS0_4arch9wavefront6targetE0EEEvT1_.numbered_sgpr, 0
	.set _ZN7rocprim17ROCPRIM_400000_NS6detail17trampoline_kernelINS0_14default_configENS1_25transform_config_selectorIjLb0EEEZNS1_14transform_implILb0ES3_S5_PjN6thrust23THRUST_200600_302600_NS6detail15normal_iteratorINS9_10device_ptrIjEEEENS0_8identityIjEEEE10hipError_tT2_T3_mT4_P12ihipStream_tbEUlT_E_NS1_11comp_targetILNS1_3genE2ELNS1_11target_archE906ELNS1_3gpuE6ELNS1_3repE0EEENS1_30default_config_static_selectorELNS0_4arch9wavefront6targetE0EEEvT1_.num_named_barrier, 0
	.set _ZN7rocprim17ROCPRIM_400000_NS6detail17trampoline_kernelINS0_14default_configENS1_25transform_config_selectorIjLb0EEEZNS1_14transform_implILb0ES3_S5_PjN6thrust23THRUST_200600_302600_NS6detail15normal_iteratorINS9_10device_ptrIjEEEENS0_8identityIjEEEE10hipError_tT2_T3_mT4_P12ihipStream_tbEUlT_E_NS1_11comp_targetILNS1_3genE2ELNS1_11target_archE906ELNS1_3gpuE6ELNS1_3repE0EEENS1_30default_config_static_selectorELNS0_4arch9wavefront6targetE0EEEvT1_.private_seg_size, 0
	.set _ZN7rocprim17ROCPRIM_400000_NS6detail17trampoline_kernelINS0_14default_configENS1_25transform_config_selectorIjLb0EEEZNS1_14transform_implILb0ES3_S5_PjN6thrust23THRUST_200600_302600_NS6detail15normal_iteratorINS9_10device_ptrIjEEEENS0_8identityIjEEEE10hipError_tT2_T3_mT4_P12ihipStream_tbEUlT_E_NS1_11comp_targetILNS1_3genE2ELNS1_11target_archE906ELNS1_3gpuE6ELNS1_3repE0EEENS1_30default_config_static_selectorELNS0_4arch9wavefront6targetE0EEEvT1_.uses_vcc, 0
	.set _ZN7rocprim17ROCPRIM_400000_NS6detail17trampoline_kernelINS0_14default_configENS1_25transform_config_selectorIjLb0EEEZNS1_14transform_implILb0ES3_S5_PjN6thrust23THRUST_200600_302600_NS6detail15normal_iteratorINS9_10device_ptrIjEEEENS0_8identityIjEEEE10hipError_tT2_T3_mT4_P12ihipStream_tbEUlT_E_NS1_11comp_targetILNS1_3genE2ELNS1_11target_archE906ELNS1_3gpuE6ELNS1_3repE0EEENS1_30default_config_static_selectorELNS0_4arch9wavefront6targetE0EEEvT1_.uses_flat_scratch, 0
	.set _ZN7rocprim17ROCPRIM_400000_NS6detail17trampoline_kernelINS0_14default_configENS1_25transform_config_selectorIjLb0EEEZNS1_14transform_implILb0ES3_S5_PjN6thrust23THRUST_200600_302600_NS6detail15normal_iteratorINS9_10device_ptrIjEEEENS0_8identityIjEEEE10hipError_tT2_T3_mT4_P12ihipStream_tbEUlT_E_NS1_11comp_targetILNS1_3genE2ELNS1_11target_archE906ELNS1_3gpuE6ELNS1_3repE0EEENS1_30default_config_static_selectorELNS0_4arch9wavefront6targetE0EEEvT1_.has_dyn_sized_stack, 0
	.set _ZN7rocprim17ROCPRIM_400000_NS6detail17trampoline_kernelINS0_14default_configENS1_25transform_config_selectorIjLb0EEEZNS1_14transform_implILb0ES3_S5_PjN6thrust23THRUST_200600_302600_NS6detail15normal_iteratorINS9_10device_ptrIjEEEENS0_8identityIjEEEE10hipError_tT2_T3_mT4_P12ihipStream_tbEUlT_E_NS1_11comp_targetILNS1_3genE2ELNS1_11target_archE906ELNS1_3gpuE6ELNS1_3repE0EEENS1_30default_config_static_selectorELNS0_4arch9wavefront6targetE0EEEvT1_.has_recursion, 0
	.set _ZN7rocprim17ROCPRIM_400000_NS6detail17trampoline_kernelINS0_14default_configENS1_25transform_config_selectorIjLb0EEEZNS1_14transform_implILb0ES3_S5_PjN6thrust23THRUST_200600_302600_NS6detail15normal_iteratorINS9_10device_ptrIjEEEENS0_8identityIjEEEE10hipError_tT2_T3_mT4_P12ihipStream_tbEUlT_E_NS1_11comp_targetILNS1_3genE2ELNS1_11target_archE906ELNS1_3gpuE6ELNS1_3repE0EEENS1_30default_config_static_selectorELNS0_4arch9wavefront6targetE0EEEvT1_.has_indirect_call, 0
	.section	.AMDGPU.csdata,"",@progbits
; Kernel info:
; codeLenInByte = 0
; TotalNumSgprs: 0
; NumVgprs: 0
; ScratchSize: 0
; MemoryBound: 0
; FloatMode: 240
; IeeeMode: 1
; LDSByteSize: 0 bytes/workgroup (compile time only)
; SGPRBlocks: 0
; VGPRBlocks: 0
; NumSGPRsForWavesPerEU: 1
; NumVGPRsForWavesPerEU: 1
; Occupancy: 16
; WaveLimiterHint : 0
; COMPUTE_PGM_RSRC2:SCRATCH_EN: 0
; COMPUTE_PGM_RSRC2:USER_SGPR: 2
; COMPUTE_PGM_RSRC2:TRAP_HANDLER: 0
; COMPUTE_PGM_RSRC2:TGID_X_EN: 1
; COMPUTE_PGM_RSRC2:TGID_Y_EN: 0
; COMPUTE_PGM_RSRC2:TGID_Z_EN: 0
; COMPUTE_PGM_RSRC2:TIDIG_COMP_CNT: 0
	.section	.text._ZN7rocprim17ROCPRIM_400000_NS6detail17trampoline_kernelINS0_14default_configENS1_25transform_config_selectorIjLb0EEEZNS1_14transform_implILb0ES3_S5_PjN6thrust23THRUST_200600_302600_NS6detail15normal_iteratorINS9_10device_ptrIjEEEENS0_8identityIjEEEE10hipError_tT2_T3_mT4_P12ihipStream_tbEUlT_E_NS1_11comp_targetILNS1_3genE10ELNS1_11target_archE1201ELNS1_3gpuE5ELNS1_3repE0EEENS1_30default_config_static_selectorELNS0_4arch9wavefront6targetE0EEEvT1_,"axG",@progbits,_ZN7rocprim17ROCPRIM_400000_NS6detail17trampoline_kernelINS0_14default_configENS1_25transform_config_selectorIjLb0EEEZNS1_14transform_implILb0ES3_S5_PjN6thrust23THRUST_200600_302600_NS6detail15normal_iteratorINS9_10device_ptrIjEEEENS0_8identityIjEEEE10hipError_tT2_T3_mT4_P12ihipStream_tbEUlT_E_NS1_11comp_targetILNS1_3genE10ELNS1_11target_archE1201ELNS1_3gpuE5ELNS1_3repE0EEENS1_30default_config_static_selectorELNS0_4arch9wavefront6targetE0EEEvT1_,comdat
	.protected	_ZN7rocprim17ROCPRIM_400000_NS6detail17trampoline_kernelINS0_14default_configENS1_25transform_config_selectorIjLb0EEEZNS1_14transform_implILb0ES3_S5_PjN6thrust23THRUST_200600_302600_NS6detail15normal_iteratorINS9_10device_ptrIjEEEENS0_8identityIjEEEE10hipError_tT2_T3_mT4_P12ihipStream_tbEUlT_E_NS1_11comp_targetILNS1_3genE10ELNS1_11target_archE1201ELNS1_3gpuE5ELNS1_3repE0EEENS1_30default_config_static_selectorELNS0_4arch9wavefront6targetE0EEEvT1_ ; -- Begin function _ZN7rocprim17ROCPRIM_400000_NS6detail17trampoline_kernelINS0_14default_configENS1_25transform_config_selectorIjLb0EEEZNS1_14transform_implILb0ES3_S5_PjN6thrust23THRUST_200600_302600_NS6detail15normal_iteratorINS9_10device_ptrIjEEEENS0_8identityIjEEEE10hipError_tT2_T3_mT4_P12ihipStream_tbEUlT_E_NS1_11comp_targetILNS1_3genE10ELNS1_11target_archE1201ELNS1_3gpuE5ELNS1_3repE0EEENS1_30default_config_static_selectorELNS0_4arch9wavefront6targetE0EEEvT1_
	.globl	_ZN7rocprim17ROCPRIM_400000_NS6detail17trampoline_kernelINS0_14default_configENS1_25transform_config_selectorIjLb0EEEZNS1_14transform_implILb0ES3_S5_PjN6thrust23THRUST_200600_302600_NS6detail15normal_iteratorINS9_10device_ptrIjEEEENS0_8identityIjEEEE10hipError_tT2_T3_mT4_P12ihipStream_tbEUlT_E_NS1_11comp_targetILNS1_3genE10ELNS1_11target_archE1201ELNS1_3gpuE5ELNS1_3repE0EEENS1_30default_config_static_selectorELNS0_4arch9wavefront6targetE0EEEvT1_
	.p2align	8
	.type	_ZN7rocprim17ROCPRIM_400000_NS6detail17trampoline_kernelINS0_14default_configENS1_25transform_config_selectorIjLb0EEEZNS1_14transform_implILb0ES3_S5_PjN6thrust23THRUST_200600_302600_NS6detail15normal_iteratorINS9_10device_ptrIjEEEENS0_8identityIjEEEE10hipError_tT2_T3_mT4_P12ihipStream_tbEUlT_E_NS1_11comp_targetILNS1_3genE10ELNS1_11target_archE1201ELNS1_3gpuE5ELNS1_3repE0EEENS1_30default_config_static_selectorELNS0_4arch9wavefront6targetE0EEEvT1_,@function
_ZN7rocprim17ROCPRIM_400000_NS6detail17trampoline_kernelINS0_14default_configENS1_25transform_config_selectorIjLb0EEEZNS1_14transform_implILb0ES3_S5_PjN6thrust23THRUST_200600_302600_NS6detail15normal_iteratorINS9_10device_ptrIjEEEENS0_8identityIjEEEE10hipError_tT2_T3_mT4_P12ihipStream_tbEUlT_E_NS1_11comp_targetILNS1_3genE10ELNS1_11target_archE1201ELNS1_3gpuE5ELNS1_3repE0EEENS1_30default_config_static_selectorELNS0_4arch9wavefront6targetE0EEEvT1_: ; @_ZN7rocprim17ROCPRIM_400000_NS6detail17trampoline_kernelINS0_14default_configENS1_25transform_config_selectorIjLb0EEEZNS1_14transform_implILb0ES3_S5_PjN6thrust23THRUST_200600_302600_NS6detail15normal_iteratorINS9_10device_ptrIjEEEENS0_8identityIjEEEE10hipError_tT2_T3_mT4_P12ihipStream_tbEUlT_E_NS1_11comp_targetILNS1_3genE10ELNS1_11target_archE1201ELNS1_3gpuE5ELNS1_3repE0EEENS1_30default_config_static_selectorELNS0_4arch9wavefront6targetE0EEEvT1_
; %bb.0:
	s_clause 0x1
	s_load_b256 s[4:11], s[0:1], 0x0
	s_load_b32 s1, s[0:1], 0x28
	s_lshl_b32 s12, ttmp9, 12
	s_mov_b32 s13, 0
	v_lshlrev_b32_e32 v7, 2, v0
	s_mov_b32 s0, -1
	s_wait_kmcnt 0x0
	s_lshl_b64 s[2:3], s[6:7], 2
	s_add_co_i32 s1, s1, -1
	s_add_nc_u64 s[14:15], s[4:5], s[2:3]
	s_lshl_b64 s[6:7], s[12:13], 2
	s_add_nc_u64 s[4:5], s[10:11], s[2:3]
	s_cmp_lg_u32 ttmp9, s1
	s_add_nc_u64 s[10:11], s[14:15], s[6:7]
	s_cbranch_scc0 .LBB78_2
; %bb.1:
	s_clause 0x3
	global_load_b32 v2, v7, s[10:11]
	global_load_b32 v3, v7, s[10:11] offset:4096
	global_load_b32 v4, v7, s[10:11] offset:8192
	global_load_b32 v1, v7, s[10:11] offset:12288
	s_add_nc_u64 s[0:1], s[4:5], s[6:7]
	s_mov_b32 s13, -1
	v_add_co_u32 v5, s0, s0, v7
	s_wait_alu 0xf1ff
	v_add_co_ci_u32_e64 v6, null, s1, 0, s0
	s_wait_loadcnt 0x3
	flat_store_b32 v[5:6], v2
	s_wait_loadcnt 0x2
	flat_store_b32 v[5:6], v3 offset:4096
	s_wait_loadcnt 0x1
	flat_store_b32 v[5:6], v4 offset:8192
	s_cbranch_execz .LBB78_3
	s_branch .LBB78_17
.LBB78_2:
                                        ; implicit-def: $vgpr1
                                        ; implicit-def: $vgpr5_vgpr6
	s_and_not1_b32 vcc_lo, exec_lo, s0
	s_cbranch_vccnz .LBB78_17
.LBB78_3:
	s_wait_loadcnt 0x0
	v_mov_b32_e32 v1, 0
	s_sub_co_i32 s3, s8, s12
	s_delay_alu instid0(SALU_CYCLE_1) | instskip(NEXT) | instid1(VALU_DEP_2)
	v_cmp_gt_u32_e32 vcc_lo, s3, v0
	v_dual_mov_b32 v2, v1 :: v_dual_mov_b32 v3, v1
	v_mov_b32_e32 v4, v1
	s_and_saveexec_b32 s0, vcc_lo
	s_cbranch_execz .LBB78_5
; %bb.4:
	global_load_b32 v2, v7, s[10:11]
	v_mov_b32_e32 v5, v1
	v_dual_mov_b32 v3, v1 :: v_dual_mov_b32 v4, v1
	s_wait_loadcnt 0x0
	v_mov_b32_e32 v1, v2
	s_delay_alu instid0(VALU_DEP_2) | instskip(NEXT) | instid1(VALU_DEP_3)
	v_mov_b32_e32 v2, v3
	v_mov_b32_e32 v3, v4
	;; [unrolled: 1-line block ×3, first 2 shown]
.LBB78_5:
	s_wait_alu 0xfffe
	s_or_b32 exec_lo, exec_lo, s0
	v_or_b32_e32 v5, 0x400, v0
	s_delay_alu instid0(VALU_DEP_1)
	v_cmp_gt_u32_e64 s0, s3, v5
	s_and_saveexec_b32 s1, s0
	s_cbranch_execz .LBB78_7
; %bb.6:
	global_load_b32 v2, v7, s[10:11] offset:4096
.LBB78_7:
	s_wait_alu 0xfffe
	s_or_b32 exec_lo, exec_lo, s1
	v_or_b32_e32 v5, 0x800, v0
	s_delay_alu instid0(VALU_DEP_1)
	v_cmp_gt_u32_e64 s1, s3, v5
	s_and_saveexec_b32 s2, s1
	s_cbranch_execz .LBB78_9
; %bb.8:
	global_load_b32 v3, v7, s[10:11] offset:8192
.LBB78_9:
	s_wait_alu 0xfffe
	s_or_b32 exec_lo, exec_lo, s2
	v_or_b32_e32 v5, 0xc00, v0
	s_delay_alu instid0(VALU_DEP_1) | instskip(SKIP_2) | instid1(SALU_CYCLE_1)
	v_cmp_gt_u32_e64 s2, s3, v5
	v_cmp_le_u32_e64 s3, s3, v5
	s_and_saveexec_b32 s8, s3
	s_xor_b32 s3, exec_lo, s8
	s_wait_alu 0xfffe
	s_and_not1_saveexec_b32 s3, s3
	s_cbranch_execz .LBB78_11
; %bb.10:
	v_lshlrev_b32_e32 v4, 2, v0
	global_load_b32 v4, v4, s[10:11] offset:12288
.LBB78_11:
	s_wait_alu 0xfffe
	s_or_b32 exec_lo, exec_lo, s3
	v_dual_cndmask_b32 v0, 0, v1 :: v_dual_lshlrev_b32 v5, 2, v0
	s_add_nc_u64 s[4:5], s[4:5], s[6:7]
	s_delay_alu instid0(VALU_DEP_1) | instid1(SALU_CYCLE_1)
	v_add_co_u32 v5, s3, s4, v5
	s_wait_alu 0xf1ff
	v_add_co_ci_u32_e64 v6, null, s5, 0, s3
	s_and_saveexec_b32 s3, vcc_lo
	s_cbranch_execnz .LBB78_20
; %bb.12:
	s_wait_alu 0xfffe
	s_or_b32 exec_lo, exec_lo, s3
	s_wait_loadcnt 0x0
	v_cndmask_b32_e64 v0, 0, v2, s0
	s_and_saveexec_b32 s3, s0
	s_cbranch_execnz .LBB78_21
.LBB78_13:
	s_wait_alu 0xfffe
	s_or_b32 exec_lo, exec_lo, s3
	s_and_saveexec_b32 s0, s1
	s_cbranch_execnz .LBB78_22
.LBB78_14:
	s_wait_alu 0xfffe
	s_or_b32 exec_lo, exec_lo, s0
                                        ; implicit-def: $vgpr1
	s_and_saveexec_b32 s0, s2
.LBB78_15:
	v_cndmask_b32_e64 v1, 0, v4, s2
	s_or_b32 s13, s13, exec_lo
.LBB78_16:
	s_wait_alu 0xfffe
	s_or_b32 exec_lo, exec_lo, s0
.LBB78_17:
	s_and_saveexec_b32 s0, s13
	s_cbranch_execnz .LBB78_19
; %bb.18:
	s_endpgm
.LBB78_19:
	s_wait_loadcnt 0x0
	flat_store_b32 v[5:6], v1 offset:12288
	s_endpgm
.LBB78_20:
	flat_store_b32 v[5:6], v0
	s_wait_alu 0xfffe
	s_or_b32 exec_lo, exec_lo, s3
	s_wait_loadcnt 0x0
	v_cndmask_b32_e64 v0, 0, v2, s0
	s_and_saveexec_b32 s3, s0
	s_cbranch_execz .LBB78_13
.LBB78_21:
	flat_store_b32 v[5:6], v0 offset:4096
	s_wait_alu 0xfffe
	s_or_b32 exec_lo, exec_lo, s3
	s_and_saveexec_b32 s0, s1
	s_cbranch_execz .LBB78_14
.LBB78_22:
	v_cndmask_b32_e64 v0, 0, v3, s1
	flat_store_b32 v[5:6], v0 offset:8192
	s_wait_alu 0xfffe
	s_or_b32 exec_lo, exec_lo, s0
                                        ; implicit-def: $vgpr1
	s_and_saveexec_b32 s0, s2
	s_cbranch_execnz .LBB78_15
	s_branch .LBB78_16
	.section	.rodata,"a",@progbits
	.p2align	6, 0x0
	.amdhsa_kernel _ZN7rocprim17ROCPRIM_400000_NS6detail17trampoline_kernelINS0_14default_configENS1_25transform_config_selectorIjLb0EEEZNS1_14transform_implILb0ES3_S5_PjN6thrust23THRUST_200600_302600_NS6detail15normal_iteratorINS9_10device_ptrIjEEEENS0_8identityIjEEEE10hipError_tT2_T3_mT4_P12ihipStream_tbEUlT_E_NS1_11comp_targetILNS1_3genE10ELNS1_11target_archE1201ELNS1_3gpuE5ELNS1_3repE0EEENS1_30default_config_static_selectorELNS0_4arch9wavefront6targetE0EEEvT1_
		.amdhsa_group_segment_fixed_size 0
		.amdhsa_private_segment_fixed_size 0
		.amdhsa_kernarg_size 296
		.amdhsa_user_sgpr_count 2
		.amdhsa_user_sgpr_dispatch_ptr 0
		.amdhsa_user_sgpr_queue_ptr 0
		.amdhsa_user_sgpr_kernarg_segment_ptr 1
		.amdhsa_user_sgpr_dispatch_id 0
		.amdhsa_user_sgpr_private_segment_size 0
		.amdhsa_wavefront_size32 1
		.amdhsa_uses_dynamic_stack 0
		.amdhsa_enable_private_segment 0
		.amdhsa_system_sgpr_workgroup_id_x 1
		.amdhsa_system_sgpr_workgroup_id_y 0
		.amdhsa_system_sgpr_workgroup_id_z 0
		.amdhsa_system_sgpr_workgroup_info 0
		.amdhsa_system_vgpr_workitem_id 0
		.amdhsa_next_free_vgpr 8
		.amdhsa_next_free_sgpr 16
		.amdhsa_reserve_vcc 1
		.amdhsa_float_round_mode_32 0
		.amdhsa_float_round_mode_16_64 0
		.amdhsa_float_denorm_mode_32 3
		.amdhsa_float_denorm_mode_16_64 3
		.amdhsa_fp16_overflow 0
		.amdhsa_workgroup_processor_mode 1
		.amdhsa_memory_ordered 1
		.amdhsa_forward_progress 1
		.amdhsa_inst_pref_size 6
		.amdhsa_round_robin_scheduling 0
		.amdhsa_exception_fp_ieee_invalid_op 0
		.amdhsa_exception_fp_denorm_src 0
		.amdhsa_exception_fp_ieee_div_zero 0
		.amdhsa_exception_fp_ieee_overflow 0
		.amdhsa_exception_fp_ieee_underflow 0
		.amdhsa_exception_fp_ieee_inexact 0
		.amdhsa_exception_int_div_zero 0
	.end_amdhsa_kernel
	.section	.text._ZN7rocprim17ROCPRIM_400000_NS6detail17trampoline_kernelINS0_14default_configENS1_25transform_config_selectorIjLb0EEEZNS1_14transform_implILb0ES3_S5_PjN6thrust23THRUST_200600_302600_NS6detail15normal_iteratorINS9_10device_ptrIjEEEENS0_8identityIjEEEE10hipError_tT2_T3_mT4_P12ihipStream_tbEUlT_E_NS1_11comp_targetILNS1_3genE10ELNS1_11target_archE1201ELNS1_3gpuE5ELNS1_3repE0EEENS1_30default_config_static_selectorELNS0_4arch9wavefront6targetE0EEEvT1_,"axG",@progbits,_ZN7rocprim17ROCPRIM_400000_NS6detail17trampoline_kernelINS0_14default_configENS1_25transform_config_selectorIjLb0EEEZNS1_14transform_implILb0ES3_S5_PjN6thrust23THRUST_200600_302600_NS6detail15normal_iteratorINS9_10device_ptrIjEEEENS0_8identityIjEEEE10hipError_tT2_T3_mT4_P12ihipStream_tbEUlT_E_NS1_11comp_targetILNS1_3genE10ELNS1_11target_archE1201ELNS1_3gpuE5ELNS1_3repE0EEENS1_30default_config_static_selectorELNS0_4arch9wavefront6targetE0EEEvT1_,comdat
.Lfunc_end78:
	.size	_ZN7rocprim17ROCPRIM_400000_NS6detail17trampoline_kernelINS0_14default_configENS1_25transform_config_selectorIjLb0EEEZNS1_14transform_implILb0ES3_S5_PjN6thrust23THRUST_200600_302600_NS6detail15normal_iteratorINS9_10device_ptrIjEEEENS0_8identityIjEEEE10hipError_tT2_T3_mT4_P12ihipStream_tbEUlT_E_NS1_11comp_targetILNS1_3genE10ELNS1_11target_archE1201ELNS1_3gpuE5ELNS1_3repE0EEENS1_30default_config_static_selectorELNS0_4arch9wavefront6targetE0EEEvT1_, .Lfunc_end78-_ZN7rocprim17ROCPRIM_400000_NS6detail17trampoline_kernelINS0_14default_configENS1_25transform_config_selectorIjLb0EEEZNS1_14transform_implILb0ES3_S5_PjN6thrust23THRUST_200600_302600_NS6detail15normal_iteratorINS9_10device_ptrIjEEEENS0_8identityIjEEEE10hipError_tT2_T3_mT4_P12ihipStream_tbEUlT_E_NS1_11comp_targetILNS1_3genE10ELNS1_11target_archE1201ELNS1_3gpuE5ELNS1_3repE0EEENS1_30default_config_static_selectorELNS0_4arch9wavefront6targetE0EEEvT1_
                                        ; -- End function
	.set _ZN7rocprim17ROCPRIM_400000_NS6detail17trampoline_kernelINS0_14default_configENS1_25transform_config_selectorIjLb0EEEZNS1_14transform_implILb0ES3_S5_PjN6thrust23THRUST_200600_302600_NS6detail15normal_iteratorINS9_10device_ptrIjEEEENS0_8identityIjEEEE10hipError_tT2_T3_mT4_P12ihipStream_tbEUlT_E_NS1_11comp_targetILNS1_3genE10ELNS1_11target_archE1201ELNS1_3gpuE5ELNS1_3repE0EEENS1_30default_config_static_selectorELNS0_4arch9wavefront6targetE0EEEvT1_.num_vgpr, 8
	.set _ZN7rocprim17ROCPRIM_400000_NS6detail17trampoline_kernelINS0_14default_configENS1_25transform_config_selectorIjLb0EEEZNS1_14transform_implILb0ES3_S5_PjN6thrust23THRUST_200600_302600_NS6detail15normal_iteratorINS9_10device_ptrIjEEEENS0_8identityIjEEEE10hipError_tT2_T3_mT4_P12ihipStream_tbEUlT_E_NS1_11comp_targetILNS1_3genE10ELNS1_11target_archE1201ELNS1_3gpuE5ELNS1_3repE0EEENS1_30default_config_static_selectorELNS0_4arch9wavefront6targetE0EEEvT1_.num_agpr, 0
	.set _ZN7rocprim17ROCPRIM_400000_NS6detail17trampoline_kernelINS0_14default_configENS1_25transform_config_selectorIjLb0EEEZNS1_14transform_implILb0ES3_S5_PjN6thrust23THRUST_200600_302600_NS6detail15normal_iteratorINS9_10device_ptrIjEEEENS0_8identityIjEEEE10hipError_tT2_T3_mT4_P12ihipStream_tbEUlT_E_NS1_11comp_targetILNS1_3genE10ELNS1_11target_archE1201ELNS1_3gpuE5ELNS1_3repE0EEENS1_30default_config_static_selectorELNS0_4arch9wavefront6targetE0EEEvT1_.numbered_sgpr, 16
	.set _ZN7rocprim17ROCPRIM_400000_NS6detail17trampoline_kernelINS0_14default_configENS1_25transform_config_selectorIjLb0EEEZNS1_14transform_implILb0ES3_S5_PjN6thrust23THRUST_200600_302600_NS6detail15normal_iteratorINS9_10device_ptrIjEEEENS0_8identityIjEEEE10hipError_tT2_T3_mT4_P12ihipStream_tbEUlT_E_NS1_11comp_targetILNS1_3genE10ELNS1_11target_archE1201ELNS1_3gpuE5ELNS1_3repE0EEENS1_30default_config_static_selectorELNS0_4arch9wavefront6targetE0EEEvT1_.num_named_barrier, 0
	.set _ZN7rocprim17ROCPRIM_400000_NS6detail17trampoline_kernelINS0_14default_configENS1_25transform_config_selectorIjLb0EEEZNS1_14transform_implILb0ES3_S5_PjN6thrust23THRUST_200600_302600_NS6detail15normal_iteratorINS9_10device_ptrIjEEEENS0_8identityIjEEEE10hipError_tT2_T3_mT4_P12ihipStream_tbEUlT_E_NS1_11comp_targetILNS1_3genE10ELNS1_11target_archE1201ELNS1_3gpuE5ELNS1_3repE0EEENS1_30default_config_static_selectorELNS0_4arch9wavefront6targetE0EEEvT1_.private_seg_size, 0
	.set _ZN7rocprim17ROCPRIM_400000_NS6detail17trampoline_kernelINS0_14default_configENS1_25transform_config_selectorIjLb0EEEZNS1_14transform_implILb0ES3_S5_PjN6thrust23THRUST_200600_302600_NS6detail15normal_iteratorINS9_10device_ptrIjEEEENS0_8identityIjEEEE10hipError_tT2_T3_mT4_P12ihipStream_tbEUlT_E_NS1_11comp_targetILNS1_3genE10ELNS1_11target_archE1201ELNS1_3gpuE5ELNS1_3repE0EEENS1_30default_config_static_selectorELNS0_4arch9wavefront6targetE0EEEvT1_.uses_vcc, 1
	.set _ZN7rocprim17ROCPRIM_400000_NS6detail17trampoline_kernelINS0_14default_configENS1_25transform_config_selectorIjLb0EEEZNS1_14transform_implILb0ES3_S5_PjN6thrust23THRUST_200600_302600_NS6detail15normal_iteratorINS9_10device_ptrIjEEEENS0_8identityIjEEEE10hipError_tT2_T3_mT4_P12ihipStream_tbEUlT_E_NS1_11comp_targetILNS1_3genE10ELNS1_11target_archE1201ELNS1_3gpuE5ELNS1_3repE0EEENS1_30default_config_static_selectorELNS0_4arch9wavefront6targetE0EEEvT1_.uses_flat_scratch, 0
	.set _ZN7rocprim17ROCPRIM_400000_NS6detail17trampoline_kernelINS0_14default_configENS1_25transform_config_selectorIjLb0EEEZNS1_14transform_implILb0ES3_S5_PjN6thrust23THRUST_200600_302600_NS6detail15normal_iteratorINS9_10device_ptrIjEEEENS0_8identityIjEEEE10hipError_tT2_T3_mT4_P12ihipStream_tbEUlT_E_NS1_11comp_targetILNS1_3genE10ELNS1_11target_archE1201ELNS1_3gpuE5ELNS1_3repE0EEENS1_30default_config_static_selectorELNS0_4arch9wavefront6targetE0EEEvT1_.has_dyn_sized_stack, 0
	.set _ZN7rocprim17ROCPRIM_400000_NS6detail17trampoline_kernelINS0_14default_configENS1_25transform_config_selectorIjLb0EEEZNS1_14transform_implILb0ES3_S5_PjN6thrust23THRUST_200600_302600_NS6detail15normal_iteratorINS9_10device_ptrIjEEEENS0_8identityIjEEEE10hipError_tT2_T3_mT4_P12ihipStream_tbEUlT_E_NS1_11comp_targetILNS1_3genE10ELNS1_11target_archE1201ELNS1_3gpuE5ELNS1_3repE0EEENS1_30default_config_static_selectorELNS0_4arch9wavefront6targetE0EEEvT1_.has_recursion, 0
	.set _ZN7rocprim17ROCPRIM_400000_NS6detail17trampoline_kernelINS0_14default_configENS1_25transform_config_selectorIjLb0EEEZNS1_14transform_implILb0ES3_S5_PjN6thrust23THRUST_200600_302600_NS6detail15normal_iteratorINS9_10device_ptrIjEEEENS0_8identityIjEEEE10hipError_tT2_T3_mT4_P12ihipStream_tbEUlT_E_NS1_11comp_targetILNS1_3genE10ELNS1_11target_archE1201ELNS1_3gpuE5ELNS1_3repE0EEENS1_30default_config_static_selectorELNS0_4arch9wavefront6targetE0EEEvT1_.has_indirect_call, 0
	.section	.AMDGPU.csdata,"",@progbits
; Kernel info:
; codeLenInByte = 740
; TotalNumSgprs: 18
; NumVgprs: 8
; ScratchSize: 0
; MemoryBound: 0
; FloatMode: 240
; IeeeMode: 1
; LDSByteSize: 0 bytes/workgroup (compile time only)
; SGPRBlocks: 0
; VGPRBlocks: 0
; NumSGPRsForWavesPerEU: 18
; NumVGPRsForWavesPerEU: 8
; Occupancy: 16
; WaveLimiterHint : 1
; COMPUTE_PGM_RSRC2:SCRATCH_EN: 0
; COMPUTE_PGM_RSRC2:USER_SGPR: 2
; COMPUTE_PGM_RSRC2:TRAP_HANDLER: 0
; COMPUTE_PGM_RSRC2:TGID_X_EN: 1
; COMPUTE_PGM_RSRC2:TGID_Y_EN: 0
; COMPUTE_PGM_RSRC2:TGID_Z_EN: 0
; COMPUTE_PGM_RSRC2:TIDIG_COMP_CNT: 0
	.section	.text._ZN7rocprim17ROCPRIM_400000_NS6detail17trampoline_kernelINS0_14default_configENS1_25transform_config_selectorIjLb0EEEZNS1_14transform_implILb0ES3_S5_PjN6thrust23THRUST_200600_302600_NS6detail15normal_iteratorINS9_10device_ptrIjEEEENS0_8identityIjEEEE10hipError_tT2_T3_mT4_P12ihipStream_tbEUlT_E_NS1_11comp_targetILNS1_3genE10ELNS1_11target_archE1200ELNS1_3gpuE4ELNS1_3repE0EEENS1_30default_config_static_selectorELNS0_4arch9wavefront6targetE0EEEvT1_,"axG",@progbits,_ZN7rocprim17ROCPRIM_400000_NS6detail17trampoline_kernelINS0_14default_configENS1_25transform_config_selectorIjLb0EEEZNS1_14transform_implILb0ES3_S5_PjN6thrust23THRUST_200600_302600_NS6detail15normal_iteratorINS9_10device_ptrIjEEEENS0_8identityIjEEEE10hipError_tT2_T3_mT4_P12ihipStream_tbEUlT_E_NS1_11comp_targetILNS1_3genE10ELNS1_11target_archE1200ELNS1_3gpuE4ELNS1_3repE0EEENS1_30default_config_static_selectorELNS0_4arch9wavefront6targetE0EEEvT1_,comdat
	.protected	_ZN7rocprim17ROCPRIM_400000_NS6detail17trampoline_kernelINS0_14default_configENS1_25transform_config_selectorIjLb0EEEZNS1_14transform_implILb0ES3_S5_PjN6thrust23THRUST_200600_302600_NS6detail15normal_iteratorINS9_10device_ptrIjEEEENS0_8identityIjEEEE10hipError_tT2_T3_mT4_P12ihipStream_tbEUlT_E_NS1_11comp_targetILNS1_3genE10ELNS1_11target_archE1200ELNS1_3gpuE4ELNS1_3repE0EEENS1_30default_config_static_selectorELNS0_4arch9wavefront6targetE0EEEvT1_ ; -- Begin function _ZN7rocprim17ROCPRIM_400000_NS6detail17trampoline_kernelINS0_14default_configENS1_25transform_config_selectorIjLb0EEEZNS1_14transform_implILb0ES3_S5_PjN6thrust23THRUST_200600_302600_NS6detail15normal_iteratorINS9_10device_ptrIjEEEENS0_8identityIjEEEE10hipError_tT2_T3_mT4_P12ihipStream_tbEUlT_E_NS1_11comp_targetILNS1_3genE10ELNS1_11target_archE1200ELNS1_3gpuE4ELNS1_3repE0EEENS1_30default_config_static_selectorELNS0_4arch9wavefront6targetE0EEEvT1_
	.globl	_ZN7rocprim17ROCPRIM_400000_NS6detail17trampoline_kernelINS0_14default_configENS1_25transform_config_selectorIjLb0EEEZNS1_14transform_implILb0ES3_S5_PjN6thrust23THRUST_200600_302600_NS6detail15normal_iteratorINS9_10device_ptrIjEEEENS0_8identityIjEEEE10hipError_tT2_T3_mT4_P12ihipStream_tbEUlT_E_NS1_11comp_targetILNS1_3genE10ELNS1_11target_archE1200ELNS1_3gpuE4ELNS1_3repE0EEENS1_30default_config_static_selectorELNS0_4arch9wavefront6targetE0EEEvT1_
	.p2align	8
	.type	_ZN7rocprim17ROCPRIM_400000_NS6detail17trampoline_kernelINS0_14default_configENS1_25transform_config_selectorIjLb0EEEZNS1_14transform_implILb0ES3_S5_PjN6thrust23THRUST_200600_302600_NS6detail15normal_iteratorINS9_10device_ptrIjEEEENS0_8identityIjEEEE10hipError_tT2_T3_mT4_P12ihipStream_tbEUlT_E_NS1_11comp_targetILNS1_3genE10ELNS1_11target_archE1200ELNS1_3gpuE4ELNS1_3repE0EEENS1_30default_config_static_selectorELNS0_4arch9wavefront6targetE0EEEvT1_,@function
_ZN7rocprim17ROCPRIM_400000_NS6detail17trampoline_kernelINS0_14default_configENS1_25transform_config_selectorIjLb0EEEZNS1_14transform_implILb0ES3_S5_PjN6thrust23THRUST_200600_302600_NS6detail15normal_iteratorINS9_10device_ptrIjEEEENS0_8identityIjEEEE10hipError_tT2_T3_mT4_P12ihipStream_tbEUlT_E_NS1_11comp_targetILNS1_3genE10ELNS1_11target_archE1200ELNS1_3gpuE4ELNS1_3repE0EEENS1_30default_config_static_selectorELNS0_4arch9wavefront6targetE0EEEvT1_: ; @_ZN7rocprim17ROCPRIM_400000_NS6detail17trampoline_kernelINS0_14default_configENS1_25transform_config_selectorIjLb0EEEZNS1_14transform_implILb0ES3_S5_PjN6thrust23THRUST_200600_302600_NS6detail15normal_iteratorINS9_10device_ptrIjEEEENS0_8identityIjEEEE10hipError_tT2_T3_mT4_P12ihipStream_tbEUlT_E_NS1_11comp_targetILNS1_3genE10ELNS1_11target_archE1200ELNS1_3gpuE4ELNS1_3repE0EEENS1_30default_config_static_selectorELNS0_4arch9wavefront6targetE0EEEvT1_
; %bb.0:
	.section	.rodata,"a",@progbits
	.p2align	6, 0x0
	.amdhsa_kernel _ZN7rocprim17ROCPRIM_400000_NS6detail17trampoline_kernelINS0_14default_configENS1_25transform_config_selectorIjLb0EEEZNS1_14transform_implILb0ES3_S5_PjN6thrust23THRUST_200600_302600_NS6detail15normal_iteratorINS9_10device_ptrIjEEEENS0_8identityIjEEEE10hipError_tT2_T3_mT4_P12ihipStream_tbEUlT_E_NS1_11comp_targetILNS1_3genE10ELNS1_11target_archE1200ELNS1_3gpuE4ELNS1_3repE0EEENS1_30default_config_static_selectorELNS0_4arch9wavefront6targetE0EEEvT1_
		.amdhsa_group_segment_fixed_size 0
		.amdhsa_private_segment_fixed_size 0
		.amdhsa_kernarg_size 40
		.amdhsa_user_sgpr_count 2
		.amdhsa_user_sgpr_dispatch_ptr 0
		.amdhsa_user_sgpr_queue_ptr 0
		.amdhsa_user_sgpr_kernarg_segment_ptr 1
		.amdhsa_user_sgpr_dispatch_id 0
		.amdhsa_user_sgpr_private_segment_size 0
		.amdhsa_wavefront_size32 1
		.amdhsa_uses_dynamic_stack 0
		.amdhsa_enable_private_segment 0
		.amdhsa_system_sgpr_workgroup_id_x 1
		.amdhsa_system_sgpr_workgroup_id_y 0
		.amdhsa_system_sgpr_workgroup_id_z 0
		.amdhsa_system_sgpr_workgroup_info 0
		.amdhsa_system_vgpr_workitem_id 0
		.amdhsa_next_free_vgpr 1
		.amdhsa_next_free_sgpr 1
		.amdhsa_reserve_vcc 0
		.amdhsa_float_round_mode_32 0
		.amdhsa_float_round_mode_16_64 0
		.amdhsa_float_denorm_mode_32 3
		.amdhsa_float_denorm_mode_16_64 3
		.amdhsa_fp16_overflow 0
		.amdhsa_workgroup_processor_mode 1
		.amdhsa_memory_ordered 1
		.amdhsa_forward_progress 1
		.amdhsa_inst_pref_size 0
		.amdhsa_round_robin_scheduling 0
		.amdhsa_exception_fp_ieee_invalid_op 0
		.amdhsa_exception_fp_denorm_src 0
		.amdhsa_exception_fp_ieee_div_zero 0
		.amdhsa_exception_fp_ieee_overflow 0
		.amdhsa_exception_fp_ieee_underflow 0
		.amdhsa_exception_fp_ieee_inexact 0
		.amdhsa_exception_int_div_zero 0
	.end_amdhsa_kernel
	.section	.text._ZN7rocprim17ROCPRIM_400000_NS6detail17trampoline_kernelINS0_14default_configENS1_25transform_config_selectorIjLb0EEEZNS1_14transform_implILb0ES3_S5_PjN6thrust23THRUST_200600_302600_NS6detail15normal_iteratorINS9_10device_ptrIjEEEENS0_8identityIjEEEE10hipError_tT2_T3_mT4_P12ihipStream_tbEUlT_E_NS1_11comp_targetILNS1_3genE10ELNS1_11target_archE1200ELNS1_3gpuE4ELNS1_3repE0EEENS1_30default_config_static_selectorELNS0_4arch9wavefront6targetE0EEEvT1_,"axG",@progbits,_ZN7rocprim17ROCPRIM_400000_NS6detail17trampoline_kernelINS0_14default_configENS1_25transform_config_selectorIjLb0EEEZNS1_14transform_implILb0ES3_S5_PjN6thrust23THRUST_200600_302600_NS6detail15normal_iteratorINS9_10device_ptrIjEEEENS0_8identityIjEEEE10hipError_tT2_T3_mT4_P12ihipStream_tbEUlT_E_NS1_11comp_targetILNS1_3genE10ELNS1_11target_archE1200ELNS1_3gpuE4ELNS1_3repE0EEENS1_30default_config_static_selectorELNS0_4arch9wavefront6targetE0EEEvT1_,comdat
.Lfunc_end79:
	.size	_ZN7rocprim17ROCPRIM_400000_NS6detail17trampoline_kernelINS0_14default_configENS1_25transform_config_selectorIjLb0EEEZNS1_14transform_implILb0ES3_S5_PjN6thrust23THRUST_200600_302600_NS6detail15normal_iteratorINS9_10device_ptrIjEEEENS0_8identityIjEEEE10hipError_tT2_T3_mT4_P12ihipStream_tbEUlT_E_NS1_11comp_targetILNS1_3genE10ELNS1_11target_archE1200ELNS1_3gpuE4ELNS1_3repE0EEENS1_30default_config_static_selectorELNS0_4arch9wavefront6targetE0EEEvT1_, .Lfunc_end79-_ZN7rocprim17ROCPRIM_400000_NS6detail17trampoline_kernelINS0_14default_configENS1_25transform_config_selectorIjLb0EEEZNS1_14transform_implILb0ES3_S5_PjN6thrust23THRUST_200600_302600_NS6detail15normal_iteratorINS9_10device_ptrIjEEEENS0_8identityIjEEEE10hipError_tT2_T3_mT4_P12ihipStream_tbEUlT_E_NS1_11comp_targetILNS1_3genE10ELNS1_11target_archE1200ELNS1_3gpuE4ELNS1_3repE0EEENS1_30default_config_static_selectorELNS0_4arch9wavefront6targetE0EEEvT1_
                                        ; -- End function
	.set _ZN7rocprim17ROCPRIM_400000_NS6detail17trampoline_kernelINS0_14default_configENS1_25transform_config_selectorIjLb0EEEZNS1_14transform_implILb0ES3_S5_PjN6thrust23THRUST_200600_302600_NS6detail15normal_iteratorINS9_10device_ptrIjEEEENS0_8identityIjEEEE10hipError_tT2_T3_mT4_P12ihipStream_tbEUlT_E_NS1_11comp_targetILNS1_3genE10ELNS1_11target_archE1200ELNS1_3gpuE4ELNS1_3repE0EEENS1_30default_config_static_selectorELNS0_4arch9wavefront6targetE0EEEvT1_.num_vgpr, 0
	.set _ZN7rocprim17ROCPRIM_400000_NS6detail17trampoline_kernelINS0_14default_configENS1_25transform_config_selectorIjLb0EEEZNS1_14transform_implILb0ES3_S5_PjN6thrust23THRUST_200600_302600_NS6detail15normal_iteratorINS9_10device_ptrIjEEEENS0_8identityIjEEEE10hipError_tT2_T3_mT4_P12ihipStream_tbEUlT_E_NS1_11comp_targetILNS1_3genE10ELNS1_11target_archE1200ELNS1_3gpuE4ELNS1_3repE0EEENS1_30default_config_static_selectorELNS0_4arch9wavefront6targetE0EEEvT1_.num_agpr, 0
	.set _ZN7rocprim17ROCPRIM_400000_NS6detail17trampoline_kernelINS0_14default_configENS1_25transform_config_selectorIjLb0EEEZNS1_14transform_implILb0ES3_S5_PjN6thrust23THRUST_200600_302600_NS6detail15normal_iteratorINS9_10device_ptrIjEEEENS0_8identityIjEEEE10hipError_tT2_T3_mT4_P12ihipStream_tbEUlT_E_NS1_11comp_targetILNS1_3genE10ELNS1_11target_archE1200ELNS1_3gpuE4ELNS1_3repE0EEENS1_30default_config_static_selectorELNS0_4arch9wavefront6targetE0EEEvT1_.numbered_sgpr, 0
	.set _ZN7rocprim17ROCPRIM_400000_NS6detail17trampoline_kernelINS0_14default_configENS1_25transform_config_selectorIjLb0EEEZNS1_14transform_implILb0ES3_S5_PjN6thrust23THRUST_200600_302600_NS6detail15normal_iteratorINS9_10device_ptrIjEEEENS0_8identityIjEEEE10hipError_tT2_T3_mT4_P12ihipStream_tbEUlT_E_NS1_11comp_targetILNS1_3genE10ELNS1_11target_archE1200ELNS1_3gpuE4ELNS1_3repE0EEENS1_30default_config_static_selectorELNS0_4arch9wavefront6targetE0EEEvT1_.num_named_barrier, 0
	.set _ZN7rocprim17ROCPRIM_400000_NS6detail17trampoline_kernelINS0_14default_configENS1_25transform_config_selectorIjLb0EEEZNS1_14transform_implILb0ES3_S5_PjN6thrust23THRUST_200600_302600_NS6detail15normal_iteratorINS9_10device_ptrIjEEEENS0_8identityIjEEEE10hipError_tT2_T3_mT4_P12ihipStream_tbEUlT_E_NS1_11comp_targetILNS1_3genE10ELNS1_11target_archE1200ELNS1_3gpuE4ELNS1_3repE0EEENS1_30default_config_static_selectorELNS0_4arch9wavefront6targetE0EEEvT1_.private_seg_size, 0
	.set _ZN7rocprim17ROCPRIM_400000_NS6detail17trampoline_kernelINS0_14default_configENS1_25transform_config_selectorIjLb0EEEZNS1_14transform_implILb0ES3_S5_PjN6thrust23THRUST_200600_302600_NS6detail15normal_iteratorINS9_10device_ptrIjEEEENS0_8identityIjEEEE10hipError_tT2_T3_mT4_P12ihipStream_tbEUlT_E_NS1_11comp_targetILNS1_3genE10ELNS1_11target_archE1200ELNS1_3gpuE4ELNS1_3repE0EEENS1_30default_config_static_selectorELNS0_4arch9wavefront6targetE0EEEvT1_.uses_vcc, 0
	.set _ZN7rocprim17ROCPRIM_400000_NS6detail17trampoline_kernelINS0_14default_configENS1_25transform_config_selectorIjLb0EEEZNS1_14transform_implILb0ES3_S5_PjN6thrust23THRUST_200600_302600_NS6detail15normal_iteratorINS9_10device_ptrIjEEEENS0_8identityIjEEEE10hipError_tT2_T3_mT4_P12ihipStream_tbEUlT_E_NS1_11comp_targetILNS1_3genE10ELNS1_11target_archE1200ELNS1_3gpuE4ELNS1_3repE0EEENS1_30default_config_static_selectorELNS0_4arch9wavefront6targetE0EEEvT1_.uses_flat_scratch, 0
	.set _ZN7rocprim17ROCPRIM_400000_NS6detail17trampoline_kernelINS0_14default_configENS1_25transform_config_selectorIjLb0EEEZNS1_14transform_implILb0ES3_S5_PjN6thrust23THRUST_200600_302600_NS6detail15normal_iteratorINS9_10device_ptrIjEEEENS0_8identityIjEEEE10hipError_tT2_T3_mT4_P12ihipStream_tbEUlT_E_NS1_11comp_targetILNS1_3genE10ELNS1_11target_archE1200ELNS1_3gpuE4ELNS1_3repE0EEENS1_30default_config_static_selectorELNS0_4arch9wavefront6targetE0EEEvT1_.has_dyn_sized_stack, 0
	.set _ZN7rocprim17ROCPRIM_400000_NS6detail17trampoline_kernelINS0_14default_configENS1_25transform_config_selectorIjLb0EEEZNS1_14transform_implILb0ES3_S5_PjN6thrust23THRUST_200600_302600_NS6detail15normal_iteratorINS9_10device_ptrIjEEEENS0_8identityIjEEEE10hipError_tT2_T3_mT4_P12ihipStream_tbEUlT_E_NS1_11comp_targetILNS1_3genE10ELNS1_11target_archE1200ELNS1_3gpuE4ELNS1_3repE0EEENS1_30default_config_static_selectorELNS0_4arch9wavefront6targetE0EEEvT1_.has_recursion, 0
	.set _ZN7rocprim17ROCPRIM_400000_NS6detail17trampoline_kernelINS0_14default_configENS1_25transform_config_selectorIjLb0EEEZNS1_14transform_implILb0ES3_S5_PjN6thrust23THRUST_200600_302600_NS6detail15normal_iteratorINS9_10device_ptrIjEEEENS0_8identityIjEEEE10hipError_tT2_T3_mT4_P12ihipStream_tbEUlT_E_NS1_11comp_targetILNS1_3genE10ELNS1_11target_archE1200ELNS1_3gpuE4ELNS1_3repE0EEENS1_30default_config_static_selectorELNS0_4arch9wavefront6targetE0EEEvT1_.has_indirect_call, 0
	.section	.AMDGPU.csdata,"",@progbits
; Kernel info:
; codeLenInByte = 0
; TotalNumSgprs: 0
; NumVgprs: 0
; ScratchSize: 0
; MemoryBound: 0
; FloatMode: 240
; IeeeMode: 1
; LDSByteSize: 0 bytes/workgroup (compile time only)
; SGPRBlocks: 0
; VGPRBlocks: 0
; NumSGPRsForWavesPerEU: 1
; NumVGPRsForWavesPerEU: 1
; Occupancy: 16
; WaveLimiterHint : 0
; COMPUTE_PGM_RSRC2:SCRATCH_EN: 0
; COMPUTE_PGM_RSRC2:USER_SGPR: 2
; COMPUTE_PGM_RSRC2:TRAP_HANDLER: 0
; COMPUTE_PGM_RSRC2:TGID_X_EN: 1
; COMPUTE_PGM_RSRC2:TGID_Y_EN: 0
; COMPUTE_PGM_RSRC2:TGID_Z_EN: 0
; COMPUTE_PGM_RSRC2:TIDIG_COMP_CNT: 0
	.section	.text._ZN7rocprim17ROCPRIM_400000_NS6detail17trampoline_kernelINS0_14default_configENS1_25transform_config_selectorIjLb0EEEZNS1_14transform_implILb0ES3_S5_PjN6thrust23THRUST_200600_302600_NS6detail15normal_iteratorINS9_10device_ptrIjEEEENS0_8identityIjEEEE10hipError_tT2_T3_mT4_P12ihipStream_tbEUlT_E_NS1_11comp_targetILNS1_3genE9ELNS1_11target_archE1100ELNS1_3gpuE3ELNS1_3repE0EEENS1_30default_config_static_selectorELNS0_4arch9wavefront6targetE0EEEvT1_,"axG",@progbits,_ZN7rocprim17ROCPRIM_400000_NS6detail17trampoline_kernelINS0_14default_configENS1_25transform_config_selectorIjLb0EEEZNS1_14transform_implILb0ES3_S5_PjN6thrust23THRUST_200600_302600_NS6detail15normal_iteratorINS9_10device_ptrIjEEEENS0_8identityIjEEEE10hipError_tT2_T3_mT4_P12ihipStream_tbEUlT_E_NS1_11comp_targetILNS1_3genE9ELNS1_11target_archE1100ELNS1_3gpuE3ELNS1_3repE0EEENS1_30default_config_static_selectorELNS0_4arch9wavefront6targetE0EEEvT1_,comdat
	.protected	_ZN7rocprim17ROCPRIM_400000_NS6detail17trampoline_kernelINS0_14default_configENS1_25transform_config_selectorIjLb0EEEZNS1_14transform_implILb0ES3_S5_PjN6thrust23THRUST_200600_302600_NS6detail15normal_iteratorINS9_10device_ptrIjEEEENS0_8identityIjEEEE10hipError_tT2_T3_mT4_P12ihipStream_tbEUlT_E_NS1_11comp_targetILNS1_3genE9ELNS1_11target_archE1100ELNS1_3gpuE3ELNS1_3repE0EEENS1_30default_config_static_selectorELNS0_4arch9wavefront6targetE0EEEvT1_ ; -- Begin function _ZN7rocprim17ROCPRIM_400000_NS6detail17trampoline_kernelINS0_14default_configENS1_25transform_config_selectorIjLb0EEEZNS1_14transform_implILb0ES3_S5_PjN6thrust23THRUST_200600_302600_NS6detail15normal_iteratorINS9_10device_ptrIjEEEENS0_8identityIjEEEE10hipError_tT2_T3_mT4_P12ihipStream_tbEUlT_E_NS1_11comp_targetILNS1_3genE9ELNS1_11target_archE1100ELNS1_3gpuE3ELNS1_3repE0EEENS1_30default_config_static_selectorELNS0_4arch9wavefront6targetE0EEEvT1_
	.globl	_ZN7rocprim17ROCPRIM_400000_NS6detail17trampoline_kernelINS0_14default_configENS1_25transform_config_selectorIjLb0EEEZNS1_14transform_implILb0ES3_S5_PjN6thrust23THRUST_200600_302600_NS6detail15normal_iteratorINS9_10device_ptrIjEEEENS0_8identityIjEEEE10hipError_tT2_T3_mT4_P12ihipStream_tbEUlT_E_NS1_11comp_targetILNS1_3genE9ELNS1_11target_archE1100ELNS1_3gpuE3ELNS1_3repE0EEENS1_30default_config_static_selectorELNS0_4arch9wavefront6targetE0EEEvT1_
	.p2align	8
	.type	_ZN7rocprim17ROCPRIM_400000_NS6detail17trampoline_kernelINS0_14default_configENS1_25transform_config_selectorIjLb0EEEZNS1_14transform_implILb0ES3_S5_PjN6thrust23THRUST_200600_302600_NS6detail15normal_iteratorINS9_10device_ptrIjEEEENS0_8identityIjEEEE10hipError_tT2_T3_mT4_P12ihipStream_tbEUlT_E_NS1_11comp_targetILNS1_3genE9ELNS1_11target_archE1100ELNS1_3gpuE3ELNS1_3repE0EEENS1_30default_config_static_selectorELNS0_4arch9wavefront6targetE0EEEvT1_,@function
_ZN7rocprim17ROCPRIM_400000_NS6detail17trampoline_kernelINS0_14default_configENS1_25transform_config_selectorIjLb0EEEZNS1_14transform_implILb0ES3_S5_PjN6thrust23THRUST_200600_302600_NS6detail15normal_iteratorINS9_10device_ptrIjEEEENS0_8identityIjEEEE10hipError_tT2_T3_mT4_P12ihipStream_tbEUlT_E_NS1_11comp_targetILNS1_3genE9ELNS1_11target_archE1100ELNS1_3gpuE3ELNS1_3repE0EEENS1_30default_config_static_selectorELNS0_4arch9wavefront6targetE0EEEvT1_: ; @_ZN7rocprim17ROCPRIM_400000_NS6detail17trampoline_kernelINS0_14default_configENS1_25transform_config_selectorIjLb0EEEZNS1_14transform_implILb0ES3_S5_PjN6thrust23THRUST_200600_302600_NS6detail15normal_iteratorINS9_10device_ptrIjEEEENS0_8identityIjEEEE10hipError_tT2_T3_mT4_P12ihipStream_tbEUlT_E_NS1_11comp_targetILNS1_3genE9ELNS1_11target_archE1100ELNS1_3gpuE3ELNS1_3repE0EEENS1_30default_config_static_selectorELNS0_4arch9wavefront6targetE0EEEvT1_
; %bb.0:
	.section	.rodata,"a",@progbits
	.p2align	6, 0x0
	.amdhsa_kernel _ZN7rocprim17ROCPRIM_400000_NS6detail17trampoline_kernelINS0_14default_configENS1_25transform_config_selectorIjLb0EEEZNS1_14transform_implILb0ES3_S5_PjN6thrust23THRUST_200600_302600_NS6detail15normal_iteratorINS9_10device_ptrIjEEEENS0_8identityIjEEEE10hipError_tT2_T3_mT4_P12ihipStream_tbEUlT_E_NS1_11comp_targetILNS1_3genE9ELNS1_11target_archE1100ELNS1_3gpuE3ELNS1_3repE0EEENS1_30default_config_static_selectorELNS0_4arch9wavefront6targetE0EEEvT1_
		.amdhsa_group_segment_fixed_size 0
		.amdhsa_private_segment_fixed_size 0
		.amdhsa_kernarg_size 40
		.amdhsa_user_sgpr_count 2
		.amdhsa_user_sgpr_dispatch_ptr 0
		.amdhsa_user_sgpr_queue_ptr 0
		.amdhsa_user_sgpr_kernarg_segment_ptr 1
		.amdhsa_user_sgpr_dispatch_id 0
		.amdhsa_user_sgpr_private_segment_size 0
		.amdhsa_wavefront_size32 1
		.amdhsa_uses_dynamic_stack 0
		.amdhsa_enable_private_segment 0
		.amdhsa_system_sgpr_workgroup_id_x 1
		.amdhsa_system_sgpr_workgroup_id_y 0
		.amdhsa_system_sgpr_workgroup_id_z 0
		.amdhsa_system_sgpr_workgroup_info 0
		.amdhsa_system_vgpr_workitem_id 0
		.amdhsa_next_free_vgpr 1
		.amdhsa_next_free_sgpr 1
		.amdhsa_reserve_vcc 0
		.amdhsa_float_round_mode_32 0
		.amdhsa_float_round_mode_16_64 0
		.amdhsa_float_denorm_mode_32 3
		.amdhsa_float_denorm_mode_16_64 3
		.amdhsa_fp16_overflow 0
		.amdhsa_workgroup_processor_mode 1
		.amdhsa_memory_ordered 1
		.amdhsa_forward_progress 1
		.amdhsa_inst_pref_size 0
		.amdhsa_round_robin_scheduling 0
		.amdhsa_exception_fp_ieee_invalid_op 0
		.amdhsa_exception_fp_denorm_src 0
		.amdhsa_exception_fp_ieee_div_zero 0
		.amdhsa_exception_fp_ieee_overflow 0
		.amdhsa_exception_fp_ieee_underflow 0
		.amdhsa_exception_fp_ieee_inexact 0
		.amdhsa_exception_int_div_zero 0
	.end_amdhsa_kernel
	.section	.text._ZN7rocprim17ROCPRIM_400000_NS6detail17trampoline_kernelINS0_14default_configENS1_25transform_config_selectorIjLb0EEEZNS1_14transform_implILb0ES3_S5_PjN6thrust23THRUST_200600_302600_NS6detail15normal_iteratorINS9_10device_ptrIjEEEENS0_8identityIjEEEE10hipError_tT2_T3_mT4_P12ihipStream_tbEUlT_E_NS1_11comp_targetILNS1_3genE9ELNS1_11target_archE1100ELNS1_3gpuE3ELNS1_3repE0EEENS1_30default_config_static_selectorELNS0_4arch9wavefront6targetE0EEEvT1_,"axG",@progbits,_ZN7rocprim17ROCPRIM_400000_NS6detail17trampoline_kernelINS0_14default_configENS1_25transform_config_selectorIjLb0EEEZNS1_14transform_implILb0ES3_S5_PjN6thrust23THRUST_200600_302600_NS6detail15normal_iteratorINS9_10device_ptrIjEEEENS0_8identityIjEEEE10hipError_tT2_T3_mT4_P12ihipStream_tbEUlT_E_NS1_11comp_targetILNS1_3genE9ELNS1_11target_archE1100ELNS1_3gpuE3ELNS1_3repE0EEENS1_30default_config_static_selectorELNS0_4arch9wavefront6targetE0EEEvT1_,comdat
.Lfunc_end80:
	.size	_ZN7rocprim17ROCPRIM_400000_NS6detail17trampoline_kernelINS0_14default_configENS1_25transform_config_selectorIjLb0EEEZNS1_14transform_implILb0ES3_S5_PjN6thrust23THRUST_200600_302600_NS6detail15normal_iteratorINS9_10device_ptrIjEEEENS0_8identityIjEEEE10hipError_tT2_T3_mT4_P12ihipStream_tbEUlT_E_NS1_11comp_targetILNS1_3genE9ELNS1_11target_archE1100ELNS1_3gpuE3ELNS1_3repE0EEENS1_30default_config_static_selectorELNS0_4arch9wavefront6targetE0EEEvT1_, .Lfunc_end80-_ZN7rocprim17ROCPRIM_400000_NS6detail17trampoline_kernelINS0_14default_configENS1_25transform_config_selectorIjLb0EEEZNS1_14transform_implILb0ES3_S5_PjN6thrust23THRUST_200600_302600_NS6detail15normal_iteratorINS9_10device_ptrIjEEEENS0_8identityIjEEEE10hipError_tT2_T3_mT4_P12ihipStream_tbEUlT_E_NS1_11comp_targetILNS1_3genE9ELNS1_11target_archE1100ELNS1_3gpuE3ELNS1_3repE0EEENS1_30default_config_static_selectorELNS0_4arch9wavefront6targetE0EEEvT1_
                                        ; -- End function
	.set _ZN7rocprim17ROCPRIM_400000_NS6detail17trampoline_kernelINS0_14default_configENS1_25transform_config_selectorIjLb0EEEZNS1_14transform_implILb0ES3_S5_PjN6thrust23THRUST_200600_302600_NS6detail15normal_iteratorINS9_10device_ptrIjEEEENS0_8identityIjEEEE10hipError_tT2_T3_mT4_P12ihipStream_tbEUlT_E_NS1_11comp_targetILNS1_3genE9ELNS1_11target_archE1100ELNS1_3gpuE3ELNS1_3repE0EEENS1_30default_config_static_selectorELNS0_4arch9wavefront6targetE0EEEvT1_.num_vgpr, 0
	.set _ZN7rocprim17ROCPRIM_400000_NS6detail17trampoline_kernelINS0_14default_configENS1_25transform_config_selectorIjLb0EEEZNS1_14transform_implILb0ES3_S5_PjN6thrust23THRUST_200600_302600_NS6detail15normal_iteratorINS9_10device_ptrIjEEEENS0_8identityIjEEEE10hipError_tT2_T3_mT4_P12ihipStream_tbEUlT_E_NS1_11comp_targetILNS1_3genE9ELNS1_11target_archE1100ELNS1_3gpuE3ELNS1_3repE0EEENS1_30default_config_static_selectorELNS0_4arch9wavefront6targetE0EEEvT1_.num_agpr, 0
	.set _ZN7rocprim17ROCPRIM_400000_NS6detail17trampoline_kernelINS0_14default_configENS1_25transform_config_selectorIjLb0EEEZNS1_14transform_implILb0ES3_S5_PjN6thrust23THRUST_200600_302600_NS6detail15normal_iteratorINS9_10device_ptrIjEEEENS0_8identityIjEEEE10hipError_tT2_T3_mT4_P12ihipStream_tbEUlT_E_NS1_11comp_targetILNS1_3genE9ELNS1_11target_archE1100ELNS1_3gpuE3ELNS1_3repE0EEENS1_30default_config_static_selectorELNS0_4arch9wavefront6targetE0EEEvT1_.numbered_sgpr, 0
	.set _ZN7rocprim17ROCPRIM_400000_NS6detail17trampoline_kernelINS0_14default_configENS1_25transform_config_selectorIjLb0EEEZNS1_14transform_implILb0ES3_S5_PjN6thrust23THRUST_200600_302600_NS6detail15normal_iteratorINS9_10device_ptrIjEEEENS0_8identityIjEEEE10hipError_tT2_T3_mT4_P12ihipStream_tbEUlT_E_NS1_11comp_targetILNS1_3genE9ELNS1_11target_archE1100ELNS1_3gpuE3ELNS1_3repE0EEENS1_30default_config_static_selectorELNS0_4arch9wavefront6targetE0EEEvT1_.num_named_barrier, 0
	.set _ZN7rocprim17ROCPRIM_400000_NS6detail17trampoline_kernelINS0_14default_configENS1_25transform_config_selectorIjLb0EEEZNS1_14transform_implILb0ES3_S5_PjN6thrust23THRUST_200600_302600_NS6detail15normal_iteratorINS9_10device_ptrIjEEEENS0_8identityIjEEEE10hipError_tT2_T3_mT4_P12ihipStream_tbEUlT_E_NS1_11comp_targetILNS1_3genE9ELNS1_11target_archE1100ELNS1_3gpuE3ELNS1_3repE0EEENS1_30default_config_static_selectorELNS0_4arch9wavefront6targetE0EEEvT1_.private_seg_size, 0
	.set _ZN7rocprim17ROCPRIM_400000_NS6detail17trampoline_kernelINS0_14default_configENS1_25transform_config_selectorIjLb0EEEZNS1_14transform_implILb0ES3_S5_PjN6thrust23THRUST_200600_302600_NS6detail15normal_iteratorINS9_10device_ptrIjEEEENS0_8identityIjEEEE10hipError_tT2_T3_mT4_P12ihipStream_tbEUlT_E_NS1_11comp_targetILNS1_3genE9ELNS1_11target_archE1100ELNS1_3gpuE3ELNS1_3repE0EEENS1_30default_config_static_selectorELNS0_4arch9wavefront6targetE0EEEvT1_.uses_vcc, 0
	.set _ZN7rocprim17ROCPRIM_400000_NS6detail17trampoline_kernelINS0_14default_configENS1_25transform_config_selectorIjLb0EEEZNS1_14transform_implILb0ES3_S5_PjN6thrust23THRUST_200600_302600_NS6detail15normal_iteratorINS9_10device_ptrIjEEEENS0_8identityIjEEEE10hipError_tT2_T3_mT4_P12ihipStream_tbEUlT_E_NS1_11comp_targetILNS1_3genE9ELNS1_11target_archE1100ELNS1_3gpuE3ELNS1_3repE0EEENS1_30default_config_static_selectorELNS0_4arch9wavefront6targetE0EEEvT1_.uses_flat_scratch, 0
	.set _ZN7rocprim17ROCPRIM_400000_NS6detail17trampoline_kernelINS0_14default_configENS1_25transform_config_selectorIjLb0EEEZNS1_14transform_implILb0ES3_S5_PjN6thrust23THRUST_200600_302600_NS6detail15normal_iteratorINS9_10device_ptrIjEEEENS0_8identityIjEEEE10hipError_tT2_T3_mT4_P12ihipStream_tbEUlT_E_NS1_11comp_targetILNS1_3genE9ELNS1_11target_archE1100ELNS1_3gpuE3ELNS1_3repE0EEENS1_30default_config_static_selectorELNS0_4arch9wavefront6targetE0EEEvT1_.has_dyn_sized_stack, 0
	.set _ZN7rocprim17ROCPRIM_400000_NS6detail17trampoline_kernelINS0_14default_configENS1_25transform_config_selectorIjLb0EEEZNS1_14transform_implILb0ES3_S5_PjN6thrust23THRUST_200600_302600_NS6detail15normal_iteratorINS9_10device_ptrIjEEEENS0_8identityIjEEEE10hipError_tT2_T3_mT4_P12ihipStream_tbEUlT_E_NS1_11comp_targetILNS1_3genE9ELNS1_11target_archE1100ELNS1_3gpuE3ELNS1_3repE0EEENS1_30default_config_static_selectorELNS0_4arch9wavefront6targetE0EEEvT1_.has_recursion, 0
	.set _ZN7rocprim17ROCPRIM_400000_NS6detail17trampoline_kernelINS0_14default_configENS1_25transform_config_selectorIjLb0EEEZNS1_14transform_implILb0ES3_S5_PjN6thrust23THRUST_200600_302600_NS6detail15normal_iteratorINS9_10device_ptrIjEEEENS0_8identityIjEEEE10hipError_tT2_T3_mT4_P12ihipStream_tbEUlT_E_NS1_11comp_targetILNS1_3genE9ELNS1_11target_archE1100ELNS1_3gpuE3ELNS1_3repE0EEENS1_30default_config_static_selectorELNS0_4arch9wavefront6targetE0EEEvT1_.has_indirect_call, 0
	.section	.AMDGPU.csdata,"",@progbits
; Kernel info:
; codeLenInByte = 0
; TotalNumSgprs: 0
; NumVgprs: 0
; ScratchSize: 0
; MemoryBound: 0
; FloatMode: 240
; IeeeMode: 1
; LDSByteSize: 0 bytes/workgroup (compile time only)
; SGPRBlocks: 0
; VGPRBlocks: 0
; NumSGPRsForWavesPerEU: 1
; NumVGPRsForWavesPerEU: 1
; Occupancy: 16
; WaveLimiterHint : 0
; COMPUTE_PGM_RSRC2:SCRATCH_EN: 0
; COMPUTE_PGM_RSRC2:USER_SGPR: 2
; COMPUTE_PGM_RSRC2:TRAP_HANDLER: 0
; COMPUTE_PGM_RSRC2:TGID_X_EN: 1
; COMPUTE_PGM_RSRC2:TGID_Y_EN: 0
; COMPUTE_PGM_RSRC2:TGID_Z_EN: 0
; COMPUTE_PGM_RSRC2:TIDIG_COMP_CNT: 0
	.section	.text._ZN7rocprim17ROCPRIM_400000_NS6detail17trampoline_kernelINS0_14default_configENS1_25transform_config_selectorIjLb0EEEZNS1_14transform_implILb0ES3_S5_PjN6thrust23THRUST_200600_302600_NS6detail15normal_iteratorINS9_10device_ptrIjEEEENS0_8identityIjEEEE10hipError_tT2_T3_mT4_P12ihipStream_tbEUlT_E_NS1_11comp_targetILNS1_3genE8ELNS1_11target_archE1030ELNS1_3gpuE2ELNS1_3repE0EEENS1_30default_config_static_selectorELNS0_4arch9wavefront6targetE0EEEvT1_,"axG",@progbits,_ZN7rocprim17ROCPRIM_400000_NS6detail17trampoline_kernelINS0_14default_configENS1_25transform_config_selectorIjLb0EEEZNS1_14transform_implILb0ES3_S5_PjN6thrust23THRUST_200600_302600_NS6detail15normal_iteratorINS9_10device_ptrIjEEEENS0_8identityIjEEEE10hipError_tT2_T3_mT4_P12ihipStream_tbEUlT_E_NS1_11comp_targetILNS1_3genE8ELNS1_11target_archE1030ELNS1_3gpuE2ELNS1_3repE0EEENS1_30default_config_static_selectorELNS0_4arch9wavefront6targetE0EEEvT1_,comdat
	.protected	_ZN7rocprim17ROCPRIM_400000_NS6detail17trampoline_kernelINS0_14default_configENS1_25transform_config_selectorIjLb0EEEZNS1_14transform_implILb0ES3_S5_PjN6thrust23THRUST_200600_302600_NS6detail15normal_iteratorINS9_10device_ptrIjEEEENS0_8identityIjEEEE10hipError_tT2_T3_mT4_P12ihipStream_tbEUlT_E_NS1_11comp_targetILNS1_3genE8ELNS1_11target_archE1030ELNS1_3gpuE2ELNS1_3repE0EEENS1_30default_config_static_selectorELNS0_4arch9wavefront6targetE0EEEvT1_ ; -- Begin function _ZN7rocprim17ROCPRIM_400000_NS6detail17trampoline_kernelINS0_14default_configENS1_25transform_config_selectorIjLb0EEEZNS1_14transform_implILb0ES3_S5_PjN6thrust23THRUST_200600_302600_NS6detail15normal_iteratorINS9_10device_ptrIjEEEENS0_8identityIjEEEE10hipError_tT2_T3_mT4_P12ihipStream_tbEUlT_E_NS1_11comp_targetILNS1_3genE8ELNS1_11target_archE1030ELNS1_3gpuE2ELNS1_3repE0EEENS1_30default_config_static_selectorELNS0_4arch9wavefront6targetE0EEEvT1_
	.globl	_ZN7rocprim17ROCPRIM_400000_NS6detail17trampoline_kernelINS0_14default_configENS1_25transform_config_selectorIjLb0EEEZNS1_14transform_implILb0ES3_S5_PjN6thrust23THRUST_200600_302600_NS6detail15normal_iteratorINS9_10device_ptrIjEEEENS0_8identityIjEEEE10hipError_tT2_T3_mT4_P12ihipStream_tbEUlT_E_NS1_11comp_targetILNS1_3genE8ELNS1_11target_archE1030ELNS1_3gpuE2ELNS1_3repE0EEENS1_30default_config_static_selectorELNS0_4arch9wavefront6targetE0EEEvT1_
	.p2align	8
	.type	_ZN7rocprim17ROCPRIM_400000_NS6detail17trampoline_kernelINS0_14default_configENS1_25transform_config_selectorIjLb0EEEZNS1_14transform_implILb0ES3_S5_PjN6thrust23THRUST_200600_302600_NS6detail15normal_iteratorINS9_10device_ptrIjEEEENS0_8identityIjEEEE10hipError_tT2_T3_mT4_P12ihipStream_tbEUlT_E_NS1_11comp_targetILNS1_3genE8ELNS1_11target_archE1030ELNS1_3gpuE2ELNS1_3repE0EEENS1_30default_config_static_selectorELNS0_4arch9wavefront6targetE0EEEvT1_,@function
_ZN7rocprim17ROCPRIM_400000_NS6detail17trampoline_kernelINS0_14default_configENS1_25transform_config_selectorIjLb0EEEZNS1_14transform_implILb0ES3_S5_PjN6thrust23THRUST_200600_302600_NS6detail15normal_iteratorINS9_10device_ptrIjEEEENS0_8identityIjEEEE10hipError_tT2_T3_mT4_P12ihipStream_tbEUlT_E_NS1_11comp_targetILNS1_3genE8ELNS1_11target_archE1030ELNS1_3gpuE2ELNS1_3repE0EEENS1_30default_config_static_selectorELNS0_4arch9wavefront6targetE0EEEvT1_: ; @_ZN7rocprim17ROCPRIM_400000_NS6detail17trampoline_kernelINS0_14default_configENS1_25transform_config_selectorIjLb0EEEZNS1_14transform_implILb0ES3_S5_PjN6thrust23THRUST_200600_302600_NS6detail15normal_iteratorINS9_10device_ptrIjEEEENS0_8identityIjEEEE10hipError_tT2_T3_mT4_P12ihipStream_tbEUlT_E_NS1_11comp_targetILNS1_3genE8ELNS1_11target_archE1030ELNS1_3gpuE2ELNS1_3repE0EEENS1_30default_config_static_selectorELNS0_4arch9wavefront6targetE0EEEvT1_
; %bb.0:
	.section	.rodata,"a",@progbits
	.p2align	6, 0x0
	.amdhsa_kernel _ZN7rocprim17ROCPRIM_400000_NS6detail17trampoline_kernelINS0_14default_configENS1_25transform_config_selectorIjLb0EEEZNS1_14transform_implILb0ES3_S5_PjN6thrust23THRUST_200600_302600_NS6detail15normal_iteratorINS9_10device_ptrIjEEEENS0_8identityIjEEEE10hipError_tT2_T3_mT4_P12ihipStream_tbEUlT_E_NS1_11comp_targetILNS1_3genE8ELNS1_11target_archE1030ELNS1_3gpuE2ELNS1_3repE0EEENS1_30default_config_static_selectorELNS0_4arch9wavefront6targetE0EEEvT1_
		.amdhsa_group_segment_fixed_size 0
		.amdhsa_private_segment_fixed_size 0
		.amdhsa_kernarg_size 40
		.amdhsa_user_sgpr_count 2
		.amdhsa_user_sgpr_dispatch_ptr 0
		.amdhsa_user_sgpr_queue_ptr 0
		.amdhsa_user_sgpr_kernarg_segment_ptr 1
		.amdhsa_user_sgpr_dispatch_id 0
		.amdhsa_user_sgpr_private_segment_size 0
		.amdhsa_wavefront_size32 1
		.amdhsa_uses_dynamic_stack 0
		.amdhsa_enable_private_segment 0
		.amdhsa_system_sgpr_workgroup_id_x 1
		.amdhsa_system_sgpr_workgroup_id_y 0
		.amdhsa_system_sgpr_workgroup_id_z 0
		.amdhsa_system_sgpr_workgroup_info 0
		.amdhsa_system_vgpr_workitem_id 0
		.amdhsa_next_free_vgpr 1
		.amdhsa_next_free_sgpr 1
		.amdhsa_reserve_vcc 0
		.amdhsa_float_round_mode_32 0
		.amdhsa_float_round_mode_16_64 0
		.amdhsa_float_denorm_mode_32 3
		.amdhsa_float_denorm_mode_16_64 3
		.amdhsa_fp16_overflow 0
		.amdhsa_workgroup_processor_mode 1
		.amdhsa_memory_ordered 1
		.amdhsa_forward_progress 1
		.amdhsa_inst_pref_size 0
		.amdhsa_round_robin_scheduling 0
		.amdhsa_exception_fp_ieee_invalid_op 0
		.amdhsa_exception_fp_denorm_src 0
		.amdhsa_exception_fp_ieee_div_zero 0
		.amdhsa_exception_fp_ieee_overflow 0
		.amdhsa_exception_fp_ieee_underflow 0
		.amdhsa_exception_fp_ieee_inexact 0
		.amdhsa_exception_int_div_zero 0
	.end_amdhsa_kernel
	.section	.text._ZN7rocprim17ROCPRIM_400000_NS6detail17trampoline_kernelINS0_14default_configENS1_25transform_config_selectorIjLb0EEEZNS1_14transform_implILb0ES3_S5_PjN6thrust23THRUST_200600_302600_NS6detail15normal_iteratorINS9_10device_ptrIjEEEENS0_8identityIjEEEE10hipError_tT2_T3_mT4_P12ihipStream_tbEUlT_E_NS1_11comp_targetILNS1_3genE8ELNS1_11target_archE1030ELNS1_3gpuE2ELNS1_3repE0EEENS1_30default_config_static_selectorELNS0_4arch9wavefront6targetE0EEEvT1_,"axG",@progbits,_ZN7rocprim17ROCPRIM_400000_NS6detail17trampoline_kernelINS0_14default_configENS1_25transform_config_selectorIjLb0EEEZNS1_14transform_implILb0ES3_S5_PjN6thrust23THRUST_200600_302600_NS6detail15normal_iteratorINS9_10device_ptrIjEEEENS0_8identityIjEEEE10hipError_tT2_T3_mT4_P12ihipStream_tbEUlT_E_NS1_11comp_targetILNS1_3genE8ELNS1_11target_archE1030ELNS1_3gpuE2ELNS1_3repE0EEENS1_30default_config_static_selectorELNS0_4arch9wavefront6targetE0EEEvT1_,comdat
.Lfunc_end81:
	.size	_ZN7rocprim17ROCPRIM_400000_NS6detail17trampoline_kernelINS0_14default_configENS1_25transform_config_selectorIjLb0EEEZNS1_14transform_implILb0ES3_S5_PjN6thrust23THRUST_200600_302600_NS6detail15normal_iteratorINS9_10device_ptrIjEEEENS0_8identityIjEEEE10hipError_tT2_T3_mT4_P12ihipStream_tbEUlT_E_NS1_11comp_targetILNS1_3genE8ELNS1_11target_archE1030ELNS1_3gpuE2ELNS1_3repE0EEENS1_30default_config_static_selectorELNS0_4arch9wavefront6targetE0EEEvT1_, .Lfunc_end81-_ZN7rocprim17ROCPRIM_400000_NS6detail17trampoline_kernelINS0_14default_configENS1_25transform_config_selectorIjLb0EEEZNS1_14transform_implILb0ES3_S5_PjN6thrust23THRUST_200600_302600_NS6detail15normal_iteratorINS9_10device_ptrIjEEEENS0_8identityIjEEEE10hipError_tT2_T3_mT4_P12ihipStream_tbEUlT_E_NS1_11comp_targetILNS1_3genE8ELNS1_11target_archE1030ELNS1_3gpuE2ELNS1_3repE0EEENS1_30default_config_static_selectorELNS0_4arch9wavefront6targetE0EEEvT1_
                                        ; -- End function
	.set _ZN7rocprim17ROCPRIM_400000_NS6detail17trampoline_kernelINS0_14default_configENS1_25transform_config_selectorIjLb0EEEZNS1_14transform_implILb0ES3_S5_PjN6thrust23THRUST_200600_302600_NS6detail15normal_iteratorINS9_10device_ptrIjEEEENS0_8identityIjEEEE10hipError_tT2_T3_mT4_P12ihipStream_tbEUlT_E_NS1_11comp_targetILNS1_3genE8ELNS1_11target_archE1030ELNS1_3gpuE2ELNS1_3repE0EEENS1_30default_config_static_selectorELNS0_4arch9wavefront6targetE0EEEvT1_.num_vgpr, 0
	.set _ZN7rocprim17ROCPRIM_400000_NS6detail17trampoline_kernelINS0_14default_configENS1_25transform_config_selectorIjLb0EEEZNS1_14transform_implILb0ES3_S5_PjN6thrust23THRUST_200600_302600_NS6detail15normal_iteratorINS9_10device_ptrIjEEEENS0_8identityIjEEEE10hipError_tT2_T3_mT4_P12ihipStream_tbEUlT_E_NS1_11comp_targetILNS1_3genE8ELNS1_11target_archE1030ELNS1_3gpuE2ELNS1_3repE0EEENS1_30default_config_static_selectorELNS0_4arch9wavefront6targetE0EEEvT1_.num_agpr, 0
	.set _ZN7rocprim17ROCPRIM_400000_NS6detail17trampoline_kernelINS0_14default_configENS1_25transform_config_selectorIjLb0EEEZNS1_14transform_implILb0ES3_S5_PjN6thrust23THRUST_200600_302600_NS6detail15normal_iteratorINS9_10device_ptrIjEEEENS0_8identityIjEEEE10hipError_tT2_T3_mT4_P12ihipStream_tbEUlT_E_NS1_11comp_targetILNS1_3genE8ELNS1_11target_archE1030ELNS1_3gpuE2ELNS1_3repE0EEENS1_30default_config_static_selectorELNS0_4arch9wavefront6targetE0EEEvT1_.numbered_sgpr, 0
	.set _ZN7rocprim17ROCPRIM_400000_NS6detail17trampoline_kernelINS0_14default_configENS1_25transform_config_selectorIjLb0EEEZNS1_14transform_implILb0ES3_S5_PjN6thrust23THRUST_200600_302600_NS6detail15normal_iteratorINS9_10device_ptrIjEEEENS0_8identityIjEEEE10hipError_tT2_T3_mT4_P12ihipStream_tbEUlT_E_NS1_11comp_targetILNS1_3genE8ELNS1_11target_archE1030ELNS1_3gpuE2ELNS1_3repE0EEENS1_30default_config_static_selectorELNS0_4arch9wavefront6targetE0EEEvT1_.num_named_barrier, 0
	.set _ZN7rocprim17ROCPRIM_400000_NS6detail17trampoline_kernelINS0_14default_configENS1_25transform_config_selectorIjLb0EEEZNS1_14transform_implILb0ES3_S5_PjN6thrust23THRUST_200600_302600_NS6detail15normal_iteratorINS9_10device_ptrIjEEEENS0_8identityIjEEEE10hipError_tT2_T3_mT4_P12ihipStream_tbEUlT_E_NS1_11comp_targetILNS1_3genE8ELNS1_11target_archE1030ELNS1_3gpuE2ELNS1_3repE0EEENS1_30default_config_static_selectorELNS0_4arch9wavefront6targetE0EEEvT1_.private_seg_size, 0
	.set _ZN7rocprim17ROCPRIM_400000_NS6detail17trampoline_kernelINS0_14default_configENS1_25transform_config_selectorIjLb0EEEZNS1_14transform_implILb0ES3_S5_PjN6thrust23THRUST_200600_302600_NS6detail15normal_iteratorINS9_10device_ptrIjEEEENS0_8identityIjEEEE10hipError_tT2_T3_mT4_P12ihipStream_tbEUlT_E_NS1_11comp_targetILNS1_3genE8ELNS1_11target_archE1030ELNS1_3gpuE2ELNS1_3repE0EEENS1_30default_config_static_selectorELNS0_4arch9wavefront6targetE0EEEvT1_.uses_vcc, 0
	.set _ZN7rocprim17ROCPRIM_400000_NS6detail17trampoline_kernelINS0_14default_configENS1_25transform_config_selectorIjLb0EEEZNS1_14transform_implILb0ES3_S5_PjN6thrust23THRUST_200600_302600_NS6detail15normal_iteratorINS9_10device_ptrIjEEEENS0_8identityIjEEEE10hipError_tT2_T3_mT4_P12ihipStream_tbEUlT_E_NS1_11comp_targetILNS1_3genE8ELNS1_11target_archE1030ELNS1_3gpuE2ELNS1_3repE0EEENS1_30default_config_static_selectorELNS0_4arch9wavefront6targetE0EEEvT1_.uses_flat_scratch, 0
	.set _ZN7rocprim17ROCPRIM_400000_NS6detail17trampoline_kernelINS0_14default_configENS1_25transform_config_selectorIjLb0EEEZNS1_14transform_implILb0ES3_S5_PjN6thrust23THRUST_200600_302600_NS6detail15normal_iteratorINS9_10device_ptrIjEEEENS0_8identityIjEEEE10hipError_tT2_T3_mT4_P12ihipStream_tbEUlT_E_NS1_11comp_targetILNS1_3genE8ELNS1_11target_archE1030ELNS1_3gpuE2ELNS1_3repE0EEENS1_30default_config_static_selectorELNS0_4arch9wavefront6targetE0EEEvT1_.has_dyn_sized_stack, 0
	.set _ZN7rocprim17ROCPRIM_400000_NS6detail17trampoline_kernelINS0_14default_configENS1_25transform_config_selectorIjLb0EEEZNS1_14transform_implILb0ES3_S5_PjN6thrust23THRUST_200600_302600_NS6detail15normal_iteratorINS9_10device_ptrIjEEEENS0_8identityIjEEEE10hipError_tT2_T3_mT4_P12ihipStream_tbEUlT_E_NS1_11comp_targetILNS1_3genE8ELNS1_11target_archE1030ELNS1_3gpuE2ELNS1_3repE0EEENS1_30default_config_static_selectorELNS0_4arch9wavefront6targetE0EEEvT1_.has_recursion, 0
	.set _ZN7rocprim17ROCPRIM_400000_NS6detail17trampoline_kernelINS0_14default_configENS1_25transform_config_selectorIjLb0EEEZNS1_14transform_implILb0ES3_S5_PjN6thrust23THRUST_200600_302600_NS6detail15normal_iteratorINS9_10device_ptrIjEEEENS0_8identityIjEEEE10hipError_tT2_T3_mT4_P12ihipStream_tbEUlT_E_NS1_11comp_targetILNS1_3genE8ELNS1_11target_archE1030ELNS1_3gpuE2ELNS1_3repE0EEENS1_30default_config_static_selectorELNS0_4arch9wavefront6targetE0EEEvT1_.has_indirect_call, 0
	.section	.AMDGPU.csdata,"",@progbits
; Kernel info:
; codeLenInByte = 0
; TotalNumSgprs: 0
; NumVgprs: 0
; ScratchSize: 0
; MemoryBound: 0
; FloatMode: 240
; IeeeMode: 1
; LDSByteSize: 0 bytes/workgroup (compile time only)
; SGPRBlocks: 0
; VGPRBlocks: 0
; NumSGPRsForWavesPerEU: 1
; NumVGPRsForWavesPerEU: 1
; Occupancy: 16
; WaveLimiterHint : 0
; COMPUTE_PGM_RSRC2:SCRATCH_EN: 0
; COMPUTE_PGM_RSRC2:USER_SGPR: 2
; COMPUTE_PGM_RSRC2:TRAP_HANDLER: 0
; COMPUTE_PGM_RSRC2:TGID_X_EN: 1
; COMPUTE_PGM_RSRC2:TGID_Y_EN: 0
; COMPUTE_PGM_RSRC2:TGID_Z_EN: 0
; COMPUTE_PGM_RSRC2:TIDIG_COMP_CNT: 0
	.section	.text._ZN7rocprim17ROCPRIM_400000_NS6detail17trampoline_kernelINS0_14default_configENS1_25transform_config_selectorIN6thrust23THRUST_200600_302600_NS5tupleIffNS6_9null_typeES8_S8_S8_S8_S8_S8_S8_EELb0EEEZNS1_14transform_implILb0ES3_SA_PS9_NS6_6detail15normal_iteratorINS6_10device_ptrIS9_EEEENS0_8identityIS9_EEEE10hipError_tT2_T3_mT4_P12ihipStream_tbEUlT_E_NS1_11comp_targetILNS1_3genE0ELNS1_11target_archE4294967295ELNS1_3gpuE0ELNS1_3repE0EEENS1_30default_config_static_selectorELNS0_4arch9wavefront6targetE0EEEvT1_,"axG",@progbits,_ZN7rocprim17ROCPRIM_400000_NS6detail17trampoline_kernelINS0_14default_configENS1_25transform_config_selectorIN6thrust23THRUST_200600_302600_NS5tupleIffNS6_9null_typeES8_S8_S8_S8_S8_S8_S8_EELb0EEEZNS1_14transform_implILb0ES3_SA_PS9_NS6_6detail15normal_iteratorINS6_10device_ptrIS9_EEEENS0_8identityIS9_EEEE10hipError_tT2_T3_mT4_P12ihipStream_tbEUlT_E_NS1_11comp_targetILNS1_3genE0ELNS1_11target_archE4294967295ELNS1_3gpuE0ELNS1_3repE0EEENS1_30default_config_static_selectorELNS0_4arch9wavefront6targetE0EEEvT1_,comdat
	.protected	_ZN7rocprim17ROCPRIM_400000_NS6detail17trampoline_kernelINS0_14default_configENS1_25transform_config_selectorIN6thrust23THRUST_200600_302600_NS5tupleIffNS6_9null_typeES8_S8_S8_S8_S8_S8_S8_EELb0EEEZNS1_14transform_implILb0ES3_SA_PS9_NS6_6detail15normal_iteratorINS6_10device_ptrIS9_EEEENS0_8identityIS9_EEEE10hipError_tT2_T3_mT4_P12ihipStream_tbEUlT_E_NS1_11comp_targetILNS1_3genE0ELNS1_11target_archE4294967295ELNS1_3gpuE0ELNS1_3repE0EEENS1_30default_config_static_selectorELNS0_4arch9wavefront6targetE0EEEvT1_ ; -- Begin function _ZN7rocprim17ROCPRIM_400000_NS6detail17trampoline_kernelINS0_14default_configENS1_25transform_config_selectorIN6thrust23THRUST_200600_302600_NS5tupleIffNS6_9null_typeES8_S8_S8_S8_S8_S8_S8_EELb0EEEZNS1_14transform_implILb0ES3_SA_PS9_NS6_6detail15normal_iteratorINS6_10device_ptrIS9_EEEENS0_8identityIS9_EEEE10hipError_tT2_T3_mT4_P12ihipStream_tbEUlT_E_NS1_11comp_targetILNS1_3genE0ELNS1_11target_archE4294967295ELNS1_3gpuE0ELNS1_3repE0EEENS1_30default_config_static_selectorELNS0_4arch9wavefront6targetE0EEEvT1_
	.globl	_ZN7rocprim17ROCPRIM_400000_NS6detail17trampoline_kernelINS0_14default_configENS1_25transform_config_selectorIN6thrust23THRUST_200600_302600_NS5tupleIffNS6_9null_typeES8_S8_S8_S8_S8_S8_S8_EELb0EEEZNS1_14transform_implILb0ES3_SA_PS9_NS6_6detail15normal_iteratorINS6_10device_ptrIS9_EEEENS0_8identityIS9_EEEE10hipError_tT2_T3_mT4_P12ihipStream_tbEUlT_E_NS1_11comp_targetILNS1_3genE0ELNS1_11target_archE4294967295ELNS1_3gpuE0ELNS1_3repE0EEENS1_30default_config_static_selectorELNS0_4arch9wavefront6targetE0EEEvT1_
	.p2align	8
	.type	_ZN7rocprim17ROCPRIM_400000_NS6detail17trampoline_kernelINS0_14default_configENS1_25transform_config_selectorIN6thrust23THRUST_200600_302600_NS5tupleIffNS6_9null_typeES8_S8_S8_S8_S8_S8_S8_EELb0EEEZNS1_14transform_implILb0ES3_SA_PS9_NS6_6detail15normal_iteratorINS6_10device_ptrIS9_EEEENS0_8identityIS9_EEEE10hipError_tT2_T3_mT4_P12ihipStream_tbEUlT_E_NS1_11comp_targetILNS1_3genE0ELNS1_11target_archE4294967295ELNS1_3gpuE0ELNS1_3repE0EEENS1_30default_config_static_selectorELNS0_4arch9wavefront6targetE0EEEvT1_,@function
_ZN7rocprim17ROCPRIM_400000_NS6detail17trampoline_kernelINS0_14default_configENS1_25transform_config_selectorIN6thrust23THRUST_200600_302600_NS5tupleIffNS6_9null_typeES8_S8_S8_S8_S8_S8_S8_EELb0EEEZNS1_14transform_implILb0ES3_SA_PS9_NS6_6detail15normal_iteratorINS6_10device_ptrIS9_EEEENS0_8identityIS9_EEEE10hipError_tT2_T3_mT4_P12ihipStream_tbEUlT_E_NS1_11comp_targetILNS1_3genE0ELNS1_11target_archE4294967295ELNS1_3gpuE0ELNS1_3repE0EEENS1_30default_config_static_selectorELNS0_4arch9wavefront6targetE0EEEvT1_: ; @_ZN7rocprim17ROCPRIM_400000_NS6detail17trampoline_kernelINS0_14default_configENS1_25transform_config_selectorIN6thrust23THRUST_200600_302600_NS5tupleIffNS6_9null_typeES8_S8_S8_S8_S8_S8_S8_EELb0EEEZNS1_14transform_implILb0ES3_SA_PS9_NS6_6detail15normal_iteratorINS6_10device_ptrIS9_EEEENS0_8identityIS9_EEEE10hipError_tT2_T3_mT4_P12ihipStream_tbEUlT_E_NS1_11comp_targetILNS1_3genE0ELNS1_11target_archE4294967295ELNS1_3gpuE0ELNS1_3repE0EEENS1_30default_config_static_selectorELNS0_4arch9wavefront6targetE0EEEvT1_
; %bb.0:
	.section	.rodata,"a",@progbits
	.p2align	6, 0x0
	.amdhsa_kernel _ZN7rocprim17ROCPRIM_400000_NS6detail17trampoline_kernelINS0_14default_configENS1_25transform_config_selectorIN6thrust23THRUST_200600_302600_NS5tupleIffNS6_9null_typeES8_S8_S8_S8_S8_S8_S8_EELb0EEEZNS1_14transform_implILb0ES3_SA_PS9_NS6_6detail15normal_iteratorINS6_10device_ptrIS9_EEEENS0_8identityIS9_EEEE10hipError_tT2_T3_mT4_P12ihipStream_tbEUlT_E_NS1_11comp_targetILNS1_3genE0ELNS1_11target_archE4294967295ELNS1_3gpuE0ELNS1_3repE0EEENS1_30default_config_static_selectorELNS0_4arch9wavefront6targetE0EEEvT1_
		.amdhsa_group_segment_fixed_size 0
		.amdhsa_private_segment_fixed_size 0
		.amdhsa_kernarg_size 40
		.amdhsa_user_sgpr_count 2
		.amdhsa_user_sgpr_dispatch_ptr 0
		.amdhsa_user_sgpr_queue_ptr 0
		.amdhsa_user_sgpr_kernarg_segment_ptr 1
		.amdhsa_user_sgpr_dispatch_id 0
		.amdhsa_user_sgpr_private_segment_size 0
		.amdhsa_wavefront_size32 1
		.amdhsa_uses_dynamic_stack 0
		.amdhsa_enable_private_segment 0
		.amdhsa_system_sgpr_workgroup_id_x 1
		.amdhsa_system_sgpr_workgroup_id_y 0
		.amdhsa_system_sgpr_workgroup_id_z 0
		.amdhsa_system_sgpr_workgroup_info 0
		.amdhsa_system_vgpr_workitem_id 0
		.amdhsa_next_free_vgpr 1
		.amdhsa_next_free_sgpr 1
		.amdhsa_reserve_vcc 0
		.amdhsa_float_round_mode_32 0
		.amdhsa_float_round_mode_16_64 0
		.amdhsa_float_denorm_mode_32 3
		.amdhsa_float_denorm_mode_16_64 3
		.amdhsa_fp16_overflow 0
		.amdhsa_workgroup_processor_mode 1
		.amdhsa_memory_ordered 1
		.amdhsa_forward_progress 1
		.amdhsa_inst_pref_size 0
		.amdhsa_round_robin_scheduling 0
		.amdhsa_exception_fp_ieee_invalid_op 0
		.amdhsa_exception_fp_denorm_src 0
		.amdhsa_exception_fp_ieee_div_zero 0
		.amdhsa_exception_fp_ieee_overflow 0
		.amdhsa_exception_fp_ieee_underflow 0
		.amdhsa_exception_fp_ieee_inexact 0
		.amdhsa_exception_int_div_zero 0
	.end_amdhsa_kernel
	.section	.text._ZN7rocprim17ROCPRIM_400000_NS6detail17trampoline_kernelINS0_14default_configENS1_25transform_config_selectorIN6thrust23THRUST_200600_302600_NS5tupleIffNS6_9null_typeES8_S8_S8_S8_S8_S8_S8_EELb0EEEZNS1_14transform_implILb0ES3_SA_PS9_NS6_6detail15normal_iteratorINS6_10device_ptrIS9_EEEENS0_8identityIS9_EEEE10hipError_tT2_T3_mT4_P12ihipStream_tbEUlT_E_NS1_11comp_targetILNS1_3genE0ELNS1_11target_archE4294967295ELNS1_3gpuE0ELNS1_3repE0EEENS1_30default_config_static_selectorELNS0_4arch9wavefront6targetE0EEEvT1_,"axG",@progbits,_ZN7rocprim17ROCPRIM_400000_NS6detail17trampoline_kernelINS0_14default_configENS1_25transform_config_selectorIN6thrust23THRUST_200600_302600_NS5tupleIffNS6_9null_typeES8_S8_S8_S8_S8_S8_S8_EELb0EEEZNS1_14transform_implILb0ES3_SA_PS9_NS6_6detail15normal_iteratorINS6_10device_ptrIS9_EEEENS0_8identityIS9_EEEE10hipError_tT2_T3_mT4_P12ihipStream_tbEUlT_E_NS1_11comp_targetILNS1_3genE0ELNS1_11target_archE4294967295ELNS1_3gpuE0ELNS1_3repE0EEENS1_30default_config_static_selectorELNS0_4arch9wavefront6targetE0EEEvT1_,comdat
.Lfunc_end82:
	.size	_ZN7rocprim17ROCPRIM_400000_NS6detail17trampoline_kernelINS0_14default_configENS1_25transform_config_selectorIN6thrust23THRUST_200600_302600_NS5tupleIffNS6_9null_typeES8_S8_S8_S8_S8_S8_S8_EELb0EEEZNS1_14transform_implILb0ES3_SA_PS9_NS6_6detail15normal_iteratorINS6_10device_ptrIS9_EEEENS0_8identityIS9_EEEE10hipError_tT2_T3_mT4_P12ihipStream_tbEUlT_E_NS1_11comp_targetILNS1_3genE0ELNS1_11target_archE4294967295ELNS1_3gpuE0ELNS1_3repE0EEENS1_30default_config_static_selectorELNS0_4arch9wavefront6targetE0EEEvT1_, .Lfunc_end82-_ZN7rocprim17ROCPRIM_400000_NS6detail17trampoline_kernelINS0_14default_configENS1_25transform_config_selectorIN6thrust23THRUST_200600_302600_NS5tupleIffNS6_9null_typeES8_S8_S8_S8_S8_S8_S8_EELb0EEEZNS1_14transform_implILb0ES3_SA_PS9_NS6_6detail15normal_iteratorINS6_10device_ptrIS9_EEEENS0_8identityIS9_EEEE10hipError_tT2_T3_mT4_P12ihipStream_tbEUlT_E_NS1_11comp_targetILNS1_3genE0ELNS1_11target_archE4294967295ELNS1_3gpuE0ELNS1_3repE0EEENS1_30default_config_static_selectorELNS0_4arch9wavefront6targetE0EEEvT1_
                                        ; -- End function
	.set _ZN7rocprim17ROCPRIM_400000_NS6detail17trampoline_kernelINS0_14default_configENS1_25transform_config_selectorIN6thrust23THRUST_200600_302600_NS5tupleIffNS6_9null_typeES8_S8_S8_S8_S8_S8_S8_EELb0EEEZNS1_14transform_implILb0ES3_SA_PS9_NS6_6detail15normal_iteratorINS6_10device_ptrIS9_EEEENS0_8identityIS9_EEEE10hipError_tT2_T3_mT4_P12ihipStream_tbEUlT_E_NS1_11comp_targetILNS1_3genE0ELNS1_11target_archE4294967295ELNS1_3gpuE0ELNS1_3repE0EEENS1_30default_config_static_selectorELNS0_4arch9wavefront6targetE0EEEvT1_.num_vgpr, 0
	.set _ZN7rocprim17ROCPRIM_400000_NS6detail17trampoline_kernelINS0_14default_configENS1_25transform_config_selectorIN6thrust23THRUST_200600_302600_NS5tupleIffNS6_9null_typeES8_S8_S8_S8_S8_S8_S8_EELb0EEEZNS1_14transform_implILb0ES3_SA_PS9_NS6_6detail15normal_iteratorINS6_10device_ptrIS9_EEEENS0_8identityIS9_EEEE10hipError_tT2_T3_mT4_P12ihipStream_tbEUlT_E_NS1_11comp_targetILNS1_3genE0ELNS1_11target_archE4294967295ELNS1_3gpuE0ELNS1_3repE0EEENS1_30default_config_static_selectorELNS0_4arch9wavefront6targetE0EEEvT1_.num_agpr, 0
	.set _ZN7rocprim17ROCPRIM_400000_NS6detail17trampoline_kernelINS0_14default_configENS1_25transform_config_selectorIN6thrust23THRUST_200600_302600_NS5tupleIffNS6_9null_typeES8_S8_S8_S8_S8_S8_S8_EELb0EEEZNS1_14transform_implILb0ES3_SA_PS9_NS6_6detail15normal_iteratorINS6_10device_ptrIS9_EEEENS0_8identityIS9_EEEE10hipError_tT2_T3_mT4_P12ihipStream_tbEUlT_E_NS1_11comp_targetILNS1_3genE0ELNS1_11target_archE4294967295ELNS1_3gpuE0ELNS1_3repE0EEENS1_30default_config_static_selectorELNS0_4arch9wavefront6targetE0EEEvT1_.numbered_sgpr, 0
	.set _ZN7rocprim17ROCPRIM_400000_NS6detail17trampoline_kernelINS0_14default_configENS1_25transform_config_selectorIN6thrust23THRUST_200600_302600_NS5tupleIffNS6_9null_typeES8_S8_S8_S8_S8_S8_S8_EELb0EEEZNS1_14transform_implILb0ES3_SA_PS9_NS6_6detail15normal_iteratorINS6_10device_ptrIS9_EEEENS0_8identityIS9_EEEE10hipError_tT2_T3_mT4_P12ihipStream_tbEUlT_E_NS1_11comp_targetILNS1_3genE0ELNS1_11target_archE4294967295ELNS1_3gpuE0ELNS1_3repE0EEENS1_30default_config_static_selectorELNS0_4arch9wavefront6targetE0EEEvT1_.num_named_barrier, 0
	.set _ZN7rocprim17ROCPRIM_400000_NS6detail17trampoline_kernelINS0_14default_configENS1_25transform_config_selectorIN6thrust23THRUST_200600_302600_NS5tupleIffNS6_9null_typeES8_S8_S8_S8_S8_S8_S8_EELb0EEEZNS1_14transform_implILb0ES3_SA_PS9_NS6_6detail15normal_iteratorINS6_10device_ptrIS9_EEEENS0_8identityIS9_EEEE10hipError_tT2_T3_mT4_P12ihipStream_tbEUlT_E_NS1_11comp_targetILNS1_3genE0ELNS1_11target_archE4294967295ELNS1_3gpuE0ELNS1_3repE0EEENS1_30default_config_static_selectorELNS0_4arch9wavefront6targetE0EEEvT1_.private_seg_size, 0
	.set _ZN7rocprim17ROCPRIM_400000_NS6detail17trampoline_kernelINS0_14default_configENS1_25transform_config_selectorIN6thrust23THRUST_200600_302600_NS5tupleIffNS6_9null_typeES8_S8_S8_S8_S8_S8_S8_EELb0EEEZNS1_14transform_implILb0ES3_SA_PS9_NS6_6detail15normal_iteratorINS6_10device_ptrIS9_EEEENS0_8identityIS9_EEEE10hipError_tT2_T3_mT4_P12ihipStream_tbEUlT_E_NS1_11comp_targetILNS1_3genE0ELNS1_11target_archE4294967295ELNS1_3gpuE0ELNS1_3repE0EEENS1_30default_config_static_selectorELNS0_4arch9wavefront6targetE0EEEvT1_.uses_vcc, 0
	.set _ZN7rocprim17ROCPRIM_400000_NS6detail17trampoline_kernelINS0_14default_configENS1_25transform_config_selectorIN6thrust23THRUST_200600_302600_NS5tupleIffNS6_9null_typeES8_S8_S8_S8_S8_S8_S8_EELb0EEEZNS1_14transform_implILb0ES3_SA_PS9_NS6_6detail15normal_iteratorINS6_10device_ptrIS9_EEEENS0_8identityIS9_EEEE10hipError_tT2_T3_mT4_P12ihipStream_tbEUlT_E_NS1_11comp_targetILNS1_3genE0ELNS1_11target_archE4294967295ELNS1_3gpuE0ELNS1_3repE0EEENS1_30default_config_static_selectorELNS0_4arch9wavefront6targetE0EEEvT1_.uses_flat_scratch, 0
	.set _ZN7rocprim17ROCPRIM_400000_NS6detail17trampoline_kernelINS0_14default_configENS1_25transform_config_selectorIN6thrust23THRUST_200600_302600_NS5tupleIffNS6_9null_typeES8_S8_S8_S8_S8_S8_S8_EELb0EEEZNS1_14transform_implILb0ES3_SA_PS9_NS6_6detail15normal_iteratorINS6_10device_ptrIS9_EEEENS0_8identityIS9_EEEE10hipError_tT2_T3_mT4_P12ihipStream_tbEUlT_E_NS1_11comp_targetILNS1_3genE0ELNS1_11target_archE4294967295ELNS1_3gpuE0ELNS1_3repE0EEENS1_30default_config_static_selectorELNS0_4arch9wavefront6targetE0EEEvT1_.has_dyn_sized_stack, 0
	.set _ZN7rocprim17ROCPRIM_400000_NS6detail17trampoline_kernelINS0_14default_configENS1_25transform_config_selectorIN6thrust23THRUST_200600_302600_NS5tupleIffNS6_9null_typeES8_S8_S8_S8_S8_S8_S8_EELb0EEEZNS1_14transform_implILb0ES3_SA_PS9_NS6_6detail15normal_iteratorINS6_10device_ptrIS9_EEEENS0_8identityIS9_EEEE10hipError_tT2_T3_mT4_P12ihipStream_tbEUlT_E_NS1_11comp_targetILNS1_3genE0ELNS1_11target_archE4294967295ELNS1_3gpuE0ELNS1_3repE0EEENS1_30default_config_static_selectorELNS0_4arch9wavefront6targetE0EEEvT1_.has_recursion, 0
	.set _ZN7rocprim17ROCPRIM_400000_NS6detail17trampoline_kernelINS0_14default_configENS1_25transform_config_selectorIN6thrust23THRUST_200600_302600_NS5tupleIffNS6_9null_typeES8_S8_S8_S8_S8_S8_S8_EELb0EEEZNS1_14transform_implILb0ES3_SA_PS9_NS6_6detail15normal_iteratorINS6_10device_ptrIS9_EEEENS0_8identityIS9_EEEE10hipError_tT2_T3_mT4_P12ihipStream_tbEUlT_E_NS1_11comp_targetILNS1_3genE0ELNS1_11target_archE4294967295ELNS1_3gpuE0ELNS1_3repE0EEENS1_30default_config_static_selectorELNS0_4arch9wavefront6targetE0EEEvT1_.has_indirect_call, 0
	.section	.AMDGPU.csdata,"",@progbits
; Kernel info:
; codeLenInByte = 0
; TotalNumSgprs: 0
; NumVgprs: 0
; ScratchSize: 0
; MemoryBound: 0
; FloatMode: 240
; IeeeMode: 1
; LDSByteSize: 0 bytes/workgroup (compile time only)
; SGPRBlocks: 0
; VGPRBlocks: 0
; NumSGPRsForWavesPerEU: 1
; NumVGPRsForWavesPerEU: 1
; Occupancy: 16
; WaveLimiterHint : 0
; COMPUTE_PGM_RSRC2:SCRATCH_EN: 0
; COMPUTE_PGM_RSRC2:USER_SGPR: 2
; COMPUTE_PGM_RSRC2:TRAP_HANDLER: 0
; COMPUTE_PGM_RSRC2:TGID_X_EN: 1
; COMPUTE_PGM_RSRC2:TGID_Y_EN: 0
; COMPUTE_PGM_RSRC2:TGID_Z_EN: 0
; COMPUTE_PGM_RSRC2:TIDIG_COMP_CNT: 0
	.section	.text._ZN7rocprim17ROCPRIM_400000_NS6detail17trampoline_kernelINS0_14default_configENS1_25transform_config_selectorIN6thrust23THRUST_200600_302600_NS5tupleIffNS6_9null_typeES8_S8_S8_S8_S8_S8_S8_EELb0EEEZNS1_14transform_implILb0ES3_SA_PS9_NS6_6detail15normal_iteratorINS6_10device_ptrIS9_EEEENS0_8identityIS9_EEEE10hipError_tT2_T3_mT4_P12ihipStream_tbEUlT_E_NS1_11comp_targetILNS1_3genE5ELNS1_11target_archE942ELNS1_3gpuE9ELNS1_3repE0EEENS1_30default_config_static_selectorELNS0_4arch9wavefront6targetE0EEEvT1_,"axG",@progbits,_ZN7rocprim17ROCPRIM_400000_NS6detail17trampoline_kernelINS0_14default_configENS1_25transform_config_selectorIN6thrust23THRUST_200600_302600_NS5tupleIffNS6_9null_typeES8_S8_S8_S8_S8_S8_S8_EELb0EEEZNS1_14transform_implILb0ES3_SA_PS9_NS6_6detail15normal_iteratorINS6_10device_ptrIS9_EEEENS0_8identityIS9_EEEE10hipError_tT2_T3_mT4_P12ihipStream_tbEUlT_E_NS1_11comp_targetILNS1_3genE5ELNS1_11target_archE942ELNS1_3gpuE9ELNS1_3repE0EEENS1_30default_config_static_selectorELNS0_4arch9wavefront6targetE0EEEvT1_,comdat
	.protected	_ZN7rocprim17ROCPRIM_400000_NS6detail17trampoline_kernelINS0_14default_configENS1_25transform_config_selectorIN6thrust23THRUST_200600_302600_NS5tupleIffNS6_9null_typeES8_S8_S8_S8_S8_S8_S8_EELb0EEEZNS1_14transform_implILb0ES3_SA_PS9_NS6_6detail15normal_iteratorINS6_10device_ptrIS9_EEEENS0_8identityIS9_EEEE10hipError_tT2_T3_mT4_P12ihipStream_tbEUlT_E_NS1_11comp_targetILNS1_3genE5ELNS1_11target_archE942ELNS1_3gpuE9ELNS1_3repE0EEENS1_30default_config_static_selectorELNS0_4arch9wavefront6targetE0EEEvT1_ ; -- Begin function _ZN7rocprim17ROCPRIM_400000_NS6detail17trampoline_kernelINS0_14default_configENS1_25transform_config_selectorIN6thrust23THRUST_200600_302600_NS5tupleIffNS6_9null_typeES8_S8_S8_S8_S8_S8_S8_EELb0EEEZNS1_14transform_implILb0ES3_SA_PS9_NS6_6detail15normal_iteratorINS6_10device_ptrIS9_EEEENS0_8identityIS9_EEEE10hipError_tT2_T3_mT4_P12ihipStream_tbEUlT_E_NS1_11comp_targetILNS1_3genE5ELNS1_11target_archE942ELNS1_3gpuE9ELNS1_3repE0EEENS1_30default_config_static_selectorELNS0_4arch9wavefront6targetE0EEEvT1_
	.globl	_ZN7rocprim17ROCPRIM_400000_NS6detail17trampoline_kernelINS0_14default_configENS1_25transform_config_selectorIN6thrust23THRUST_200600_302600_NS5tupleIffNS6_9null_typeES8_S8_S8_S8_S8_S8_S8_EELb0EEEZNS1_14transform_implILb0ES3_SA_PS9_NS6_6detail15normal_iteratorINS6_10device_ptrIS9_EEEENS0_8identityIS9_EEEE10hipError_tT2_T3_mT4_P12ihipStream_tbEUlT_E_NS1_11comp_targetILNS1_3genE5ELNS1_11target_archE942ELNS1_3gpuE9ELNS1_3repE0EEENS1_30default_config_static_selectorELNS0_4arch9wavefront6targetE0EEEvT1_
	.p2align	8
	.type	_ZN7rocprim17ROCPRIM_400000_NS6detail17trampoline_kernelINS0_14default_configENS1_25transform_config_selectorIN6thrust23THRUST_200600_302600_NS5tupleIffNS6_9null_typeES8_S8_S8_S8_S8_S8_S8_EELb0EEEZNS1_14transform_implILb0ES3_SA_PS9_NS6_6detail15normal_iteratorINS6_10device_ptrIS9_EEEENS0_8identityIS9_EEEE10hipError_tT2_T3_mT4_P12ihipStream_tbEUlT_E_NS1_11comp_targetILNS1_3genE5ELNS1_11target_archE942ELNS1_3gpuE9ELNS1_3repE0EEENS1_30default_config_static_selectorELNS0_4arch9wavefront6targetE0EEEvT1_,@function
_ZN7rocprim17ROCPRIM_400000_NS6detail17trampoline_kernelINS0_14default_configENS1_25transform_config_selectorIN6thrust23THRUST_200600_302600_NS5tupleIffNS6_9null_typeES8_S8_S8_S8_S8_S8_S8_EELb0EEEZNS1_14transform_implILb0ES3_SA_PS9_NS6_6detail15normal_iteratorINS6_10device_ptrIS9_EEEENS0_8identityIS9_EEEE10hipError_tT2_T3_mT4_P12ihipStream_tbEUlT_E_NS1_11comp_targetILNS1_3genE5ELNS1_11target_archE942ELNS1_3gpuE9ELNS1_3repE0EEENS1_30default_config_static_selectorELNS0_4arch9wavefront6targetE0EEEvT1_: ; @_ZN7rocprim17ROCPRIM_400000_NS6detail17trampoline_kernelINS0_14default_configENS1_25transform_config_selectorIN6thrust23THRUST_200600_302600_NS5tupleIffNS6_9null_typeES8_S8_S8_S8_S8_S8_S8_EELb0EEEZNS1_14transform_implILb0ES3_SA_PS9_NS6_6detail15normal_iteratorINS6_10device_ptrIS9_EEEENS0_8identityIS9_EEEE10hipError_tT2_T3_mT4_P12ihipStream_tbEUlT_E_NS1_11comp_targetILNS1_3genE5ELNS1_11target_archE942ELNS1_3gpuE9ELNS1_3repE0EEENS1_30default_config_static_selectorELNS0_4arch9wavefront6targetE0EEEvT1_
; %bb.0:
	.section	.rodata,"a",@progbits
	.p2align	6, 0x0
	.amdhsa_kernel _ZN7rocprim17ROCPRIM_400000_NS6detail17trampoline_kernelINS0_14default_configENS1_25transform_config_selectorIN6thrust23THRUST_200600_302600_NS5tupleIffNS6_9null_typeES8_S8_S8_S8_S8_S8_S8_EELb0EEEZNS1_14transform_implILb0ES3_SA_PS9_NS6_6detail15normal_iteratorINS6_10device_ptrIS9_EEEENS0_8identityIS9_EEEE10hipError_tT2_T3_mT4_P12ihipStream_tbEUlT_E_NS1_11comp_targetILNS1_3genE5ELNS1_11target_archE942ELNS1_3gpuE9ELNS1_3repE0EEENS1_30default_config_static_selectorELNS0_4arch9wavefront6targetE0EEEvT1_
		.amdhsa_group_segment_fixed_size 0
		.amdhsa_private_segment_fixed_size 0
		.amdhsa_kernarg_size 40
		.amdhsa_user_sgpr_count 2
		.amdhsa_user_sgpr_dispatch_ptr 0
		.amdhsa_user_sgpr_queue_ptr 0
		.amdhsa_user_sgpr_kernarg_segment_ptr 1
		.amdhsa_user_sgpr_dispatch_id 0
		.amdhsa_user_sgpr_private_segment_size 0
		.amdhsa_wavefront_size32 1
		.amdhsa_uses_dynamic_stack 0
		.amdhsa_enable_private_segment 0
		.amdhsa_system_sgpr_workgroup_id_x 1
		.amdhsa_system_sgpr_workgroup_id_y 0
		.amdhsa_system_sgpr_workgroup_id_z 0
		.amdhsa_system_sgpr_workgroup_info 0
		.amdhsa_system_vgpr_workitem_id 0
		.amdhsa_next_free_vgpr 1
		.amdhsa_next_free_sgpr 1
		.amdhsa_reserve_vcc 0
		.amdhsa_float_round_mode_32 0
		.amdhsa_float_round_mode_16_64 0
		.amdhsa_float_denorm_mode_32 3
		.amdhsa_float_denorm_mode_16_64 3
		.amdhsa_fp16_overflow 0
		.amdhsa_workgroup_processor_mode 1
		.amdhsa_memory_ordered 1
		.amdhsa_forward_progress 1
		.amdhsa_inst_pref_size 0
		.amdhsa_round_robin_scheduling 0
		.amdhsa_exception_fp_ieee_invalid_op 0
		.amdhsa_exception_fp_denorm_src 0
		.amdhsa_exception_fp_ieee_div_zero 0
		.amdhsa_exception_fp_ieee_overflow 0
		.amdhsa_exception_fp_ieee_underflow 0
		.amdhsa_exception_fp_ieee_inexact 0
		.amdhsa_exception_int_div_zero 0
	.end_amdhsa_kernel
	.section	.text._ZN7rocprim17ROCPRIM_400000_NS6detail17trampoline_kernelINS0_14default_configENS1_25transform_config_selectorIN6thrust23THRUST_200600_302600_NS5tupleIffNS6_9null_typeES8_S8_S8_S8_S8_S8_S8_EELb0EEEZNS1_14transform_implILb0ES3_SA_PS9_NS6_6detail15normal_iteratorINS6_10device_ptrIS9_EEEENS0_8identityIS9_EEEE10hipError_tT2_T3_mT4_P12ihipStream_tbEUlT_E_NS1_11comp_targetILNS1_3genE5ELNS1_11target_archE942ELNS1_3gpuE9ELNS1_3repE0EEENS1_30default_config_static_selectorELNS0_4arch9wavefront6targetE0EEEvT1_,"axG",@progbits,_ZN7rocprim17ROCPRIM_400000_NS6detail17trampoline_kernelINS0_14default_configENS1_25transform_config_selectorIN6thrust23THRUST_200600_302600_NS5tupleIffNS6_9null_typeES8_S8_S8_S8_S8_S8_S8_EELb0EEEZNS1_14transform_implILb0ES3_SA_PS9_NS6_6detail15normal_iteratorINS6_10device_ptrIS9_EEEENS0_8identityIS9_EEEE10hipError_tT2_T3_mT4_P12ihipStream_tbEUlT_E_NS1_11comp_targetILNS1_3genE5ELNS1_11target_archE942ELNS1_3gpuE9ELNS1_3repE0EEENS1_30default_config_static_selectorELNS0_4arch9wavefront6targetE0EEEvT1_,comdat
.Lfunc_end83:
	.size	_ZN7rocprim17ROCPRIM_400000_NS6detail17trampoline_kernelINS0_14default_configENS1_25transform_config_selectorIN6thrust23THRUST_200600_302600_NS5tupleIffNS6_9null_typeES8_S8_S8_S8_S8_S8_S8_EELb0EEEZNS1_14transform_implILb0ES3_SA_PS9_NS6_6detail15normal_iteratorINS6_10device_ptrIS9_EEEENS0_8identityIS9_EEEE10hipError_tT2_T3_mT4_P12ihipStream_tbEUlT_E_NS1_11comp_targetILNS1_3genE5ELNS1_11target_archE942ELNS1_3gpuE9ELNS1_3repE0EEENS1_30default_config_static_selectorELNS0_4arch9wavefront6targetE0EEEvT1_, .Lfunc_end83-_ZN7rocprim17ROCPRIM_400000_NS6detail17trampoline_kernelINS0_14default_configENS1_25transform_config_selectorIN6thrust23THRUST_200600_302600_NS5tupleIffNS6_9null_typeES8_S8_S8_S8_S8_S8_S8_EELb0EEEZNS1_14transform_implILb0ES3_SA_PS9_NS6_6detail15normal_iteratorINS6_10device_ptrIS9_EEEENS0_8identityIS9_EEEE10hipError_tT2_T3_mT4_P12ihipStream_tbEUlT_E_NS1_11comp_targetILNS1_3genE5ELNS1_11target_archE942ELNS1_3gpuE9ELNS1_3repE0EEENS1_30default_config_static_selectorELNS0_4arch9wavefront6targetE0EEEvT1_
                                        ; -- End function
	.set _ZN7rocprim17ROCPRIM_400000_NS6detail17trampoline_kernelINS0_14default_configENS1_25transform_config_selectorIN6thrust23THRUST_200600_302600_NS5tupleIffNS6_9null_typeES8_S8_S8_S8_S8_S8_S8_EELb0EEEZNS1_14transform_implILb0ES3_SA_PS9_NS6_6detail15normal_iteratorINS6_10device_ptrIS9_EEEENS0_8identityIS9_EEEE10hipError_tT2_T3_mT4_P12ihipStream_tbEUlT_E_NS1_11comp_targetILNS1_3genE5ELNS1_11target_archE942ELNS1_3gpuE9ELNS1_3repE0EEENS1_30default_config_static_selectorELNS0_4arch9wavefront6targetE0EEEvT1_.num_vgpr, 0
	.set _ZN7rocprim17ROCPRIM_400000_NS6detail17trampoline_kernelINS0_14default_configENS1_25transform_config_selectorIN6thrust23THRUST_200600_302600_NS5tupleIffNS6_9null_typeES8_S8_S8_S8_S8_S8_S8_EELb0EEEZNS1_14transform_implILb0ES3_SA_PS9_NS6_6detail15normal_iteratorINS6_10device_ptrIS9_EEEENS0_8identityIS9_EEEE10hipError_tT2_T3_mT4_P12ihipStream_tbEUlT_E_NS1_11comp_targetILNS1_3genE5ELNS1_11target_archE942ELNS1_3gpuE9ELNS1_3repE0EEENS1_30default_config_static_selectorELNS0_4arch9wavefront6targetE0EEEvT1_.num_agpr, 0
	.set _ZN7rocprim17ROCPRIM_400000_NS6detail17trampoline_kernelINS0_14default_configENS1_25transform_config_selectorIN6thrust23THRUST_200600_302600_NS5tupleIffNS6_9null_typeES8_S8_S8_S8_S8_S8_S8_EELb0EEEZNS1_14transform_implILb0ES3_SA_PS9_NS6_6detail15normal_iteratorINS6_10device_ptrIS9_EEEENS0_8identityIS9_EEEE10hipError_tT2_T3_mT4_P12ihipStream_tbEUlT_E_NS1_11comp_targetILNS1_3genE5ELNS1_11target_archE942ELNS1_3gpuE9ELNS1_3repE0EEENS1_30default_config_static_selectorELNS0_4arch9wavefront6targetE0EEEvT1_.numbered_sgpr, 0
	.set _ZN7rocprim17ROCPRIM_400000_NS6detail17trampoline_kernelINS0_14default_configENS1_25transform_config_selectorIN6thrust23THRUST_200600_302600_NS5tupleIffNS6_9null_typeES8_S8_S8_S8_S8_S8_S8_EELb0EEEZNS1_14transform_implILb0ES3_SA_PS9_NS6_6detail15normal_iteratorINS6_10device_ptrIS9_EEEENS0_8identityIS9_EEEE10hipError_tT2_T3_mT4_P12ihipStream_tbEUlT_E_NS1_11comp_targetILNS1_3genE5ELNS1_11target_archE942ELNS1_3gpuE9ELNS1_3repE0EEENS1_30default_config_static_selectorELNS0_4arch9wavefront6targetE0EEEvT1_.num_named_barrier, 0
	.set _ZN7rocprim17ROCPRIM_400000_NS6detail17trampoline_kernelINS0_14default_configENS1_25transform_config_selectorIN6thrust23THRUST_200600_302600_NS5tupleIffNS6_9null_typeES8_S8_S8_S8_S8_S8_S8_EELb0EEEZNS1_14transform_implILb0ES3_SA_PS9_NS6_6detail15normal_iteratorINS6_10device_ptrIS9_EEEENS0_8identityIS9_EEEE10hipError_tT2_T3_mT4_P12ihipStream_tbEUlT_E_NS1_11comp_targetILNS1_3genE5ELNS1_11target_archE942ELNS1_3gpuE9ELNS1_3repE0EEENS1_30default_config_static_selectorELNS0_4arch9wavefront6targetE0EEEvT1_.private_seg_size, 0
	.set _ZN7rocprim17ROCPRIM_400000_NS6detail17trampoline_kernelINS0_14default_configENS1_25transform_config_selectorIN6thrust23THRUST_200600_302600_NS5tupleIffNS6_9null_typeES8_S8_S8_S8_S8_S8_S8_EELb0EEEZNS1_14transform_implILb0ES3_SA_PS9_NS6_6detail15normal_iteratorINS6_10device_ptrIS9_EEEENS0_8identityIS9_EEEE10hipError_tT2_T3_mT4_P12ihipStream_tbEUlT_E_NS1_11comp_targetILNS1_3genE5ELNS1_11target_archE942ELNS1_3gpuE9ELNS1_3repE0EEENS1_30default_config_static_selectorELNS0_4arch9wavefront6targetE0EEEvT1_.uses_vcc, 0
	.set _ZN7rocprim17ROCPRIM_400000_NS6detail17trampoline_kernelINS0_14default_configENS1_25transform_config_selectorIN6thrust23THRUST_200600_302600_NS5tupleIffNS6_9null_typeES8_S8_S8_S8_S8_S8_S8_EELb0EEEZNS1_14transform_implILb0ES3_SA_PS9_NS6_6detail15normal_iteratorINS6_10device_ptrIS9_EEEENS0_8identityIS9_EEEE10hipError_tT2_T3_mT4_P12ihipStream_tbEUlT_E_NS1_11comp_targetILNS1_3genE5ELNS1_11target_archE942ELNS1_3gpuE9ELNS1_3repE0EEENS1_30default_config_static_selectorELNS0_4arch9wavefront6targetE0EEEvT1_.uses_flat_scratch, 0
	.set _ZN7rocprim17ROCPRIM_400000_NS6detail17trampoline_kernelINS0_14default_configENS1_25transform_config_selectorIN6thrust23THRUST_200600_302600_NS5tupleIffNS6_9null_typeES8_S8_S8_S8_S8_S8_S8_EELb0EEEZNS1_14transform_implILb0ES3_SA_PS9_NS6_6detail15normal_iteratorINS6_10device_ptrIS9_EEEENS0_8identityIS9_EEEE10hipError_tT2_T3_mT4_P12ihipStream_tbEUlT_E_NS1_11comp_targetILNS1_3genE5ELNS1_11target_archE942ELNS1_3gpuE9ELNS1_3repE0EEENS1_30default_config_static_selectorELNS0_4arch9wavefront6targetE0EEEvT1_.has_dyn_sized_stack, 0
	.set _ZN7rocprim17ROCPRIM_400000_NS6detail17trampoline_kernelINS0_14default_configENS1_25transform_config_selectorIN6thrust23THRUST_200600_302600_NS5tupleIffNS6_9null_typeES8_S8_S8_S8_S8_S8_S8_EELb0EEEZNS1_14transform_implILb0ES3_SA_PS9_NS6_6detail15normal_iteratorINS6_10device_ptrIS9_EEEENS0_8identityIS9_EEEE10hipError_tT2_T3_mT4_P12ihipStream_tbEUlT_E_NS1_11comp_targetILNS1_3genE5ELNS1_11target_archE942ELNS1_3gpuE9ELNS1_3repE0EEENS1_30default_config_static_selectorELNS0_4arch9wavefront6targetE0EEEvT1_.has_recursion, 0
	.set _ZN7rocprim17ROCPRIM_400000_NS6detail17trampoline_kernelINS0_14default_configENS1_25transform_config_selectorIN6thrust23THRUST_200600_302600_NS5tupleIffNS6_9null_typeES8_S8_S8_S8_S8_S8_S8_EELb0EEEZNS1_14transform_implILb0ES3_SA_PS9_NS6_6detail15normal_iteratorINS6_10device_ptrIS9_EEEENS0_8identityIS9_EEEE10hipError_tT2_T3_mT4_P12ihipStream_tbEUlT_E_NS1_11comp_targetILNS1_3genE5ELNS1_11target_archE942ELNS1_3gpuE9ELNS1_3repE0EEENS1_30default_config_static_selectorELNS0_4arch9wavefront6targetE0EEEvT1_.has_indirect_call, 0
	.section	.AMDGPU.csdata,"",@progbits
; Kernel info:
; codeLenInByte = 0
; TotalNumSgprs: 0
; NumVgprs: 0
; ScratchSize: 0
; MemoryBound: 0
; FloatMode: 240
; IeeeMode: 1
; LDSByteSize: 0 bytes/workgroup (compile time only)
; SGPRBlocks: 0
; VGPRBlocks: 0
; NumSGPRsForWavesPerEU: 1
; NumVGPRsForWavesPerEU: 1
; Occupancy: 16
; WaveLimiterHint : 0
; COMPUTE_PGM_RSRC2:SCRATCH_EN: 0
; COMPUTE_PGM_RSRC2:USER_SGPR: 2
; COMPUTE_PGM_RSRC2:TRAP_HANDLER: 0
; COMPUTE_PGM_RSRC2:TGID_X_EN: 1
; COMPUTE_PGM_RSRC2:TGID_Y_EN: 0
; COMPUTE_PGM_RSRC2:TGID_Z_EN: 0
; COMPUTE_PGM_RSRC2:TIDIG_COMP_CNT: 0
	.section	.text._ZN7rocprim17ROCPRIM_400000_NS6detail17trampoline_kernelINS0_14default_configENS1_25transform_config_selectorIN6thrust23THRUST_200600_302600_NS5tupleIffNS6_9null_typeES8_S8_S8_S8_S8_S8_S8_EELb0EEEZNS1_14transform_implILb0ES3_SA_PS9_NS6_6detail15normal_iteratorINS6_10device_ptrIS9_EEEENS0_8identityIS9_EEEE10hipError_tT2_T3_mT4_P12ihipStream_tbEUlT_E_NS1_11comp_targetILNS1_3genE4ELNS1_11target_archE910ELNS1_3gpuE8ELNS1_3repE0EEENS1_30default_config_static_selectorELNS0_4arch9wavefront6targetE0EEEvT1_,"axG",@progbits,_ZN7rocprim17ROCPRIM_400000_NS6detail17trampoline_kernelINS0_14default_configENS1_25transform_config_selectorIN6thrust23THRUST_200600_302600_NS5tupleIffNS6_9null_typeES8_S8_S8_S8_S8_S8_S8_EELb0EEEZNS1_14transform_implILb0ES3_SA_PS9_NS6_6detail15normal_iteratorINS6_10device_ptrIS9_EEEENS0_8identityIS9_EEEE10hipError_tT2_T3_mT4_P12ihipStream_tbEUlT_E_NS1_11comp_targetILNS1_3genE4ELNS1_11target_archE910ELNS1_3gpuE8ELNS1_3repE0EEENS1_30default_config_static_selectorELNS0_4arch9wavefront6targetE0EEEvT1_,comdat
	.protected	_ZN7rocprim17ROCPRIM_400000_NS6detail17trampoline_kernelINS0_14default_configENS1_25transform_config_selectorIN6thrust23THRUST_200600_302600_NS5tupleIffNS6_9null_typeES8_S8_S8_S8_S8_S8_S8_EELb0EEEZNS1_14transform_implILb0ES3_SA_PS9_NS6_6detail15normal_iteratorINS6_10device_ptrIS9_EEEENS0_8identityIS9_EEEE10hipError_tT2_T3_mT4_P12ihipStream_tbEUlT_E_NS1_11comp_targetILNS1_3genE4ELNS1_11target_archE910ELNS1_3gpuE8ELNS1_3repE0EEENS1_30default_config_static_selectorELNS0_4arch9wavefront6targetE0EEEvT1_ ; -- Begin function _ZN7rocprim17ROCPRIM_400000_NS6detail17trampoline_kernelINS0_14default_configENS1_25transform_config_selectorIN6thrust23THRUST_200600_302600_NS5tupleIffNS6_9null_typeES8_S8_S8_S8_S8_S8_S8_EELb0EEEZNS1_14transform_implILb0ES3_SA_PS9_NS6_6detail15normal_iteratorINS6_10device_ptrIS9_EEEENS0_8identityIS9_EEEE10hipError_tT2_T3_mT4_P12ihipStream_tbEUlT_E_NS1_11comp_targetILNS1_3genE4ELNS1_11target_archE910ELNS1_3gpuE8ELNS1_3repE0EEENS1_30default_config_static_selectorELNS0_4arch9wavefront6targetE0EEEvT1_
	.globl	_ZN7rocprim17ROCPRIM_400000_NS6detail17trampoline_kernelINS0_14default_configENS1_25transform_config_selectorIN6thrust23THRUST_200600_302600_NS5tupleIffNS6_9null_typeES8_S8_S8_S8_S8_S8_S8_EELb0EEEZNS1_14transform_implILb0ES3_SA_PS9_NS6_6detail15normal_iteratorINS6_10device_ptrIS9_EEEENS0_8identityIS9_EEEE10hipError_tT2_T3_mT4_P12ihipStream_tbEUlT_E_NS1_11comp_targetILNS1_3genE4ELNS1_11target_archE910ELNS1_3gpuE8ELNS1_3repE0EEENS1_30default_config_static_selectorELNS0_4arch9wavefront6targetE0EEEvT1_
	.p2align	8
	.type	_ZN7rocprim17ROCPRIM_400000_NS6detail17trampoline_kernelINS0_14default_configENS1_25transform_config_selectorIN6thrust23THRUST_200600_302600_NS5tupleIffNS6_9null_typeES8_S8_S8_S8_S8_S8_S8_EELb0EEEZNS1_14transform_implILb0ES3_SA_PS9_NS6_6detail15normal_iteratorINS6_10device_ptrIS9_EEEENS0_8identityIS9_EEEE10hipError_tT2_T3_mT4_P12ihipStream_tbEUlT_E_NS1_11comp_targetILNS1_3genE4ELNS1_11target_archE910ELNS1_3gpuE8ELNS1_3repE0EEENS1_30default_config_static_selectorELNS0_4arch9wavefront6targetE0EEEvT1_,@function
_ZN7rocprim17ROCPRIM_400000_NS6detail17trampoline_kernelINS0_14default_configENS1_25transform_config_selectorIN6thrust23THRUST_200600_302600_NS5tupleIffNS6_9null_typeES8_S8_S8_S8_S8_S8_S8_EELb0EEEZNS1_14transform_implILb0ES3_SA_PS9_NS6_6detail15normal_iteratorINS6_10device_ptrIS9_EEEENS0_8identityIS9_EEEE10hipError_tT2_T3_mT4_P12ihipStream_tbEUlT_E_NS1_11comp_targetILNS1_3genE4ELNS1_11target_archE910ELNS1_3gpuE8ELNS1_3repE0EEENS1_30default_config_static_selectorELNS0_4arch9wavefront6targetE0EEEvT1_: ; @_ZN7rocprim17ROCPRIM_400000_NS6detail17trampoline_kernelINS0_14default_configENS1_25transform_config_selectorIN6thrust23THRUST_200600_302600_NS5tupleIffNS6_9null_typeES8_S8_S8_S8_S8_S8_S8_EELb0EEEZNS1_14transform_implILb0ES3_SA_PS9_NS6_6detail15normal_iteratorINS6_10device_ptrIS9_EEEENS0_8identityIS9_EEEE10hipError_tT2_T3_mT4_P12ihipStream_tbEUlT_E_NS1_11comp_targetILNS1_3genE4ELNS1_11target_archE910ELNS1_3gpuE8ELNS1_3repE0EEENS1_30default_config_static_selectorELNS0_4arch9wavefront6targetE0EEEvT1_
; %bb.0:
	.section	.rodata,"a",@progbits
	.p2align	6, 0x0
	.amdhsa_kernel _ZN7rocprim17ROCPRIM_400000_NS6detail17trampoline_kernelINS0_14default_configENS1_25transform_config_selectorIN6thrust23THRUST_200600_302600_NS5tupleIffNS6_9null_typeES8_S8_S8_S8_S8_S8_S8_EELb0EEEZNS1_14transform_implILb0ES3_SA_PS9_NS6_6detail15normal_iteratorINS6_10device_ptrIS9_EEEENS0_8identityIS9_EEEE10hipError_tT2_T3_mT4_P12ihipStream_tbEUlT_E_NS1_11comp_targetILNS1_3genE4ELNS1_11target_archE910ELNS1_3gpuE8ELNS1_3repE0EEENS1_30default_config_static_selectorELNS0_4arch9wavefront6targetE0EEEvT1_
		.amdhsa_group_segment_fixed_size 0
		.amdhsa_private_segment_fixed_size 0
		.amdhsa_kernarg_size 40
		.amdhsa_user_sgpr_count 2
		.amdhsa_user_sgpr_dispatch_ptr 0
		.amdhsa_user_sgpr_queue_ptr 0
		.amdhsa_user_sgpr_kernarg_segment_ptr 1
		.amdhsa_user_sgpr_dispatch_id 0
		.amdhsa_user_sgpr_private_segment_size 0
		.amdhsa_wavefront_size32 1
		.amdhsa_uses_dynamic_stack 0
		.amdhsa_enable_private_segment 0
		.amdhsa_system_sgpr_workgroup_id_x 1
		.amdhsa_system_sgpr_workgroup_id_y 0
		.amdhsa_system_sgpr_workgroup_id_z 0
		.amdhsa_system_sgpr_workgroup_info 0
		.amdhsa_system_vgpr_workitem_id 0
		.amdhsa_next_free_vgpr 1
		.amdhsa_next_free_sgpr 1
		.amdhsa_reserve_vcc 0
		.amdhsa_float_round_mode_32 0
		.amdhsa_float_round_mode_16_64 0
		.amdhsa_float_denorm_mode_32 3
		.amdhsa_float_denorm_mode_16_64 3
		.amdhsa_fp16_overflow 0
		.amdhsa_workgroup_processor_mode 1
		.amdhsa_memory_ordered 1
		.amdhsa_forward_progress 1
		.amdhsa_inst_pref_size 0
		.amdhsa_round_robin_scheduling 0
		.amdhsa_exception_fp_ieee_invalid_op 0
		.amdhsa_exception_fp_denorm_src 0
		.amdhsa_exception_fp_ieee_div_zero 0
		.amdhsa_exception_fp_ieee_overflow 0
		.amdhsa_exception_fp_ieee_underflow 0
		.amdhsa_exception_fp_ieee_inexact 0
		.amdhsa_exception_int_div_zero 0
	.end_amdhsa_kernel
	.section	.text._ZN7rocprim17ROCPRIM_400000_NS6detail17trampoline_kernelINS0_14default_configENS1_25transform_config_selectorIN6thrust23THRUST_200600_302600_NS5tupleIffNS6_9null_typeES8_S8_S8_S8_S8_S8_S8_EELb0EEEZNS1_14transform_implILb0ES3_SA_PS9_NS6_6detail15normal_iteratorINS6_10device_ptrIS9_EEEENS0_8identityIS9_EEEE10hipError_tT2_T3_mT4_P12ihipStream_tbEUlT_E_NS1_11comp_targetILNS1_3genE4ELNS1_11target_archE910ELNS1_3gpuE8ELNS1_3repE0EEENS1_30default_config_static_selectorELNS0_4arch9wavefront6targetE0EEEvT1_,"axG",@progbits,_ZN7rocprim17ROCPRIM_400000_NS6detail17trampoline_kernelINS0_14default_configENS1_25transform_config_selectorIN6thrust23THRUST_200600_302600_NS5tupleIffNS6_9null_typeES8_S8_S8_S8_S8_S8_S8_EELb0EEEZNS1_14transform_implILb0ES3_SA_PS9_NS6_6detail15normal_iteratorINS6_10device_ptrIS9_EEEENS0_8identityIS9_EEEE10hipError_tT2_T3_mT4_P12ihipStream_tbEUlT_E_NS1_11comp_targetILNS1_3genE4ELNS1_11target_archE910ELNS1_3gpuE8ELNS1_3repE0EEENS1_30default_config_static_selectorELNS0_4arch9wavefront6targetE0EEEvT1_,comdat
.Lfunc_end84:
	.size	_ZN7rocprim17ROCPRIM_400000_NS6detail17trampoline_kernelINS0_14default_configENS1_25transform_config_selectorIN6thrust23THRUST_200600_302600_NS5tupleIffNS6_9null_typeES8_S8_S8_S8_S8_S8_S8_EELb0EEEZNS1_14transform_implILb0ES3_SA_PS9_NS6_6detail15normal_iteratorINS6_10device_ptrIS9_EEEENS0_8identityIS9_EEEE10hipError_tT2_T3_mT4_P12ihipStream_tbEUlT_E_NS1_11comp_targetILNS1_3genE4ELNS1_11target_archE910ELNS1_3gpuE8ELNS1_3repE0EEENS1_30default_config_static_selectorELNS0_4arch9wavefront6targetE0EEEvT1_, .Lfunc_end84-_ZN7rocprim17ROCPRIM_400000_NS6detail17trampoline_kernelINS0_14default_configENS1_25transform_config_selectorIN6thrust23THRUST_200600_302600_NS5tupleIffNS6_9null_typeES8_S8_S8_S8_S8_S8_S8_EELb0EEEZNS1_14transform_implILb0ES3_SA_PS9_NS6_6detail15normal_iteratorINS6_10device_ptrIS9_EEEENS0_8identityIS9_EEEE10hipError_tT2_T3_mT4_P12ihipStream_tbEUlT_E_NS1_11comp_targetILNS1_3genE4ELNS1_11target_archE910ELNS1_3gpuE8ELNS1_3repE0EEENS1_30default_config_static_selectorELNS0_4arch9wavefront6targetE0EEEvT1_
                                        ; -- End function
	.set _ZN7rocprim17ROCPRIM_400000_NS6detail17trampoline_kernelINS0_14default_configENS1_25transform_config_selectorIN6thrust23THRUST_200600_302600_NS5tupleIffNS6_9null_typeES8_S8_S8_S8_S8_S8_S8_EELb0EEEZNS1_14transform_implILb0ES3_SA_PS9_NS6_6detail15normal_iteratorINS6_10device_ptrIS9_EEEENS0_8identityIS9_EEEE10hipError_tT2_T3_mT4_P12ihipStream_tbEUlT_E_NS1_11comp_targetILNS1_3genE4ELNS1_11target_archE910ELNS1_3gpuE8ELNS1_3repE0EEENS1_30default_config_static_selectorELNS0_4arch9wavefront6targetE0EEEvT1_.num_vgpr, 0
	.set _ZN7rocprim17ROCPRIM_400000_NS6detail17trampoline_kernelINS0_14default_configENS1_25transform_config_selectorIN6thrust23THRUST_200600_302600_NS5tupleIffNS6_9null_typeES8_S8_S8_S8_S8_S8_S8_EELb0EEEZNS1_14transform_implILb0ES3_SA_PS9_NS6_6detail15normal_iteratorINS6_10device_ptrIS9_EEEENS0_8identityIS9_EEEE10hipError_tT2_T3_mT4_P12ihipStream_tbEUlT_E_NS1_11comp_targetILNS1_3genE4ELNS1_11target_archE910ELNS1_3gpuE8ELNS1_3repE0EEENS1_30default_config_static_selectorELNS0_4arch9wavefront6targetE0EEEvT1_.num_agpr, 0
	.set _ZN7rocprim17ROCPRIM_400000_NS6detail17trampoline_kernelINS0_14default_configENS1_25transform_config_selectorIN6thrust23THRUST_200600_302600_NS5tupleIffNS6_9null_typeES8_S8_S8_S8_S8_S8_S8_EELb0EEEZNS1_14transform_implILb0ES3_SA_PS9_NS6_6detail15normal_iteratorINS6_10device_ptrIS9_EEEENS0_8identityIS9_EEEE10hipError_tT2_T3_mT4_P12ihipStream_tbEUlT_E_NS1_11comp_targetILNS1_3genE4ELNS1_11target_archE910ELNS1_3gpuE8ELNS1_3repE0EEENS1_30default_config_static_selectorELNS0_4arch9wavefront6targetE0EEEvT1_.numbered_sgpr, 0
	.set _ZN7rocprim17ROCPRIM_400000_NS6detail17trampoline_kernelINS0_14default_configENS1_25transform_config_selectorIN6thrust23THRUST_200600_302600_NS5tupleIffNS6_9null_typeES8_S8_S8_S8_S8_S8_S8_EELb0EEEZNS1_14transform_implILb0ES3_SA_PS9_NS6_6detail15normal_iteratorINS6_10device_ptrIS9_EEEENS0_8identityIS9_EEEE10hipError_tT2_T3_mT4_P12ihipStream_tbEUlT_E_NS1_11comp_targetILNS1_3genE4ELNS1_11target_archE910ELNS1_3gpuE8ELNS1_3repE0EEENS1_30default_config_static_selectorELNS0_4arch9wavefront6targetE0EEEvT1_.num_named_barrier, 0
	.set _ZN7rocprim17ROCPRIM_400000_NS6detail17trampoline_kernelINS0_14default_configENS1_25transform_config_selectorIN6thrust23THRUST_200600_302600_NS5tupleIffNS6_9null_typeES8_S8_S8_S8_S8_S8_S8_EELb0EEEZNS1_14transform_implILb0ES3_SA_PS9_NS6_6detail15normal_iteratorINS6_10device_ptrIS9_EEEENS0_8identityIS9_EEEE10hipError_tT2_T3_mT4_P12ihipStream_tbEUlT_E_NS1_11comp_targetILNS1_3genE4ELNS1_11target_archE910ELNS1_3gpuE8ELNS1_3repE0EEENS1_30default_config_static_selectorELNS0_4arch9wavefront6targetE0EEEvT1_.private_seg_size, 0
	.set _ZN7rocprim17ROCPRIM_400000_NS6detail17trampoline_kernelINS0_14default_configENS1_25transform_config_selectorIN6thrust23THRUST_200600_302600_NS5tupleIffNS6_9null_typeES8_S8_S8_S8_S8_S8_S8_EELb0EEEZNS1_14transform_implILb0ES3_SA_PS9_NS6_6detail15normal_iteratorINS6_10device_ptrIS9_EEEENS0_8identityIS9_EEEE10hipError_tT2_T3_mT4_P12ihipStream_tbEUlT_E_NS1_11comp_targetILNS1_3genE4ELNS1_11target_archE910ELNS1_3gpuE8ELNS1_3repE0EEENS1_30default_config_static_selectorELNS0_4arch9wavefront6targetE0EEEvT1_.uses_vcc, 0
	.set _ZN7rocprim17ROCPRIM_400000_NS6detail17trampoline_kernelINS0_14default_configENS1_25transform_config_selectorIN6thrust23THRUST_200600_302600_NS5tupleIffNS6_9null_typeES8_S8_S8_S8_S8_S8_S8_EELb0EEEZNS1_14transform_implILb0ES3_SA_PS9_NS6_6detail15normal_iteratorINS6_10device_ptrIS9_EEEENS0_8identityIS9_EEEE10hipError_tT2_T3_mT4_P12ihipStream_tbEUlT_E_NS1_11comp_targetILNS1_3genE4ELNS1_11target_archE910ELNS1_3gpuE8ELNS1_3repE0EEENS1_30default_config_static_selectorELNS0_4arch9wavefront6targetE0EEEvT1_.uses_flat_scratch, 0
	.set _ZN7rocprim17ROCPRIM_400000_NS6detail17trampoline_kernelINS0_14default_configENS1_25transform_config_selectorIN6thrust23THRUST_200600_302600_NS5tupleIffNS6_9null_typeES8_S8_S8_S8_S8_S8_S8_EELb0EEEZNS1_14transform_implILb0ES3_SA_PS9_NS6_6detail15normal_iteratorINS6_10device_ptrIS9_EEEENS0_8identityIS9_EEEE10hipError_tT2_T3_mT4_P12ihipStream_tbEUlT_E_NS1_11comp_targetILNS1_3genE4ELNS1_11target_archE910ELNS1_3gpuE8ELNS1_3repE0EEENS1_30default_config_static_selectorELNS0_4arch9wavefront6targetE0EEEvT1_.has_dyn_sized_stack, 0
	.set _ZN7rocprim17ROCPRIM_400000_NS6detail17trampoline_kernelINS0_14default_configENS1_25transform_config_selectorIN6thrust23THRUST_200600_302600_NS5tupleIffNS6_9null_typeES8_S8_S8_S8_S8_S8_S8_EELb0EEEZNS1_14transform_implILb0ES3_SA_PS9_NS6_6detail15normal_iteratorINS6_10device_ptrIS9_EEEENS0_8identityIS9_EEEE10hipError_tT2_T3_mT4_P12ihipStream_tbEUlT_E_NS1_11comp_targetILNS1_3genE4ELNS1_11target_archE910ELNS1_3gpuE8ELNS1_3repE0EEENS1_30default_config_static_selectorELNS0_4arch9wavefront6targetE0EEEvT1_.has_recursion, 0
	.set _ZN7rocprim17ROCPRIM_400000_NS6detail17trampoline_kernelINS0_14default_configENS1_25transform_config_selectorIN6thrust23THRUST_200600_302600_NS5tupleIffNS6_9null_typeES8_S8_S8_S8_S8_S8_S8_EELb0EEEZNS1_14transform_implILb0ES3_SA_PS9_NS6_6detail15normal_iteratorINS6_10device_ptrIS9_EEEENS0_8identityIS9_EEEE10hipError_tT2_T3_mT4_P12ihipStream_tbEUlT_E_NS1_11comp_targetILNS1_3genE4ELNS1_11target_archE910ELNS1_3gpuE8ELNS1_3repE0EEENS1_30default_config_static_selectorELNS0_4arch9wavefront6targetE0EEEvT1_.has_indirect_call, 0
	.section	.AMDGPU.csdata,"",@progbits
; Kernel info:
; codeLenInByte = 0
; TotalNumSgprs: 0
; NumVgprs: 0
; ScratchSize: 0
; MemoryBound: 0
; FloatMode: 240
; IeeeMode: 1
; LDSByteSize: 0 bytes/workgroup (compile time only)
; SGPRBlocks: 0
; VGPRBlocks: 0
; NumSGPRsForWavesPerEU: 1
; NumVGPRsForWavesPerEU: 1
; Occupancy: 16
; WaveLimiterHint : 0
; COMPUTE_PGM_RSRC2:SCRATCH_EN: 0
; COMPUTE_PGM_RSRC2:USER_SGPR: 2
; COMPUTE_PGM_RSRC2:TRAP_HANDLER: 0
; COMPUTE_PGM_RSRC2:TGID_X_EN: 1
; COMPUTE_PGM_RSRC2:TGID_Y_EN: 0
; COMPUTE_PGM_RSRC2:TGID_Z_EN: 0
; COMPUTE_PGM_RSRC2:TIDIG_COMP_CNT: 0
	.section	.text._ZN7rocprim17ROCPRIM_400000_NS6detail17trampoline_kernelINS0_14default_configENS1_25transform_config_selectorIN6thrust23THRUST_200600_302600_NS5tupleIffNS6_9null_typeES8_S8_S8_S8_S8_S8_S8_EELb0EEEZNS1_14transform_implILb0ES3_SA_PS9_NS6_6detail15normal_iteratorINS6_10device_ptrIS9_EEEENS0_8identityIS9_EEEE10hipError_tT2_T3_mT4_P12ihipStream_tbEUlT_E_NS1_11comp_targetILNS1_3genE3ELNS1_11target_archE908ELNS1_3gpuE7ELNS1_3repE0EEENS1_30default_config_static_selectorELNS0_4arch9wavefront6targetE0EEEvT1_,"axG",@progbits,_ZN7rocprim17ROCPRIM_400000_NS6detail17trampoline_kernelINS0_14default_configENS1_25transform_config_selectorIN6thrust23THRUST_200600_302600_NS5tupleIffNS6_9null_typeES8_S8_S8_S8_S8_S8_S8_EELb0EEEZNS1_14transform_implILb0ES3_SA_PS9_NS6_6detail15normal_iteratorINS6_10device_ptrIS9_EEEENS0_8identityIS9_EEEE10hipError_tT2_T3_mT4_P12ihipStream_tbEUlT_E_NS1_11comp_targetILNS1_3genE3ELNS1_11target_archE908ELNS1_3gpuE7ELNS1_3repE0EEENS1_30default_config_static_selectorELNS0_4arch9wavefront6targetE0EEEvT1_,comdat
	.protected	_ZN7rocprim17ROCPRIM_400000_NS6detail17trampoline_kernelINS0_14default_configENS1_25transform_config_selectorIN6thrust23THRUST_200600_302600_NS5tupleIffNS6_9null_typeES8_S8_S8_S8_S8_S8_S8_EELb0EEEZNS1_14transform_implILb0ES3_SA_PS9_NS6_6detail15normal_iteratorINS6_10device_ptrIS9_EEEENS0_8identityIS9_EEEE10hipError_tT2_T3_mT4_P12ihipStream_tbEUlT_E_NS1_11comp_targetILNS1_3genE3ELNS1_11target_archE908ELNS1_3gpuE7ELNS1_3repE0EEENS1_30default_config_static_selectorELNS0_4arch9wavefront6targetE0EEEvT1_ ; -- Begin function _ZN7rocprim17ROCPRIM_400000_NS6detail17trampoline_kernelINS0_14default_configENS1_25transform_config_selectorIN6thrust23THRUST_200600_302600_NS5tupleIffNS6_9null_typeES8_S8_S8_S8_S8_S8_S8_EELb0EEEZNS1_14transform_implILb0ES3_SA_PS9_NS6_6detail15normal_iteratorINS6_10device_ptrIS9_EEEENS0_8identityIS9_EEEE10hipError_tT2_T3_mT4_P12ihipStream_tbEUlT_E_NS1_11comp_targetILNS1_3genE3ELNS1_11target_archE908ELNS1_3gpuE7ELNS1_3repE0EEENS1_30default_config_static_selectorELNS0_4arch9wavefront6targetE0EEEvT1_
	.globl	_ZN7rocprim17ROCPRIM_400000_NS6detail17trampoline_kernelINS0_14default_configENS1_25transform_config_selectorIN6thrust23THRUST_200600_302600_NS5tupleIffNS6_9null_typeES8_S8_S8_S8_S8_S8_S8_EELb0EEEZNS1_14transform_implILb0ES3_SA_PS9_NS6_6detail15normal_iteratorINS6_10device_ptrIS9_EEEENS0_8identityIS9_EEEE10hipError_tT2_T3_mT4_P12ihipStream_tbEUlT_E_NS1_11comp_targetILNS1_3genE3ELNS1_11target_archE908ELNS1_3gpuE7ELNS1_3repE0EEENS1_30default_config_static_selectorELNS0_4arch9wavefront6targetE0EEEvT1_
	.p2align	8
	.type	_ZN7rocprim17ROCPRIM_400000_NS6detail17trampoline_kernelINS0_14default_configENS1_25transform_config_selectorIN6thrust23THRUST_200600_302600_NS5tupleIffNS6_9null_typeES8_S8_S8_S8_S8_S8_S8_EELb0EEEZNS1_14transform_implILb0ES3_SA_PS9_NS6_6detail15normal_iteratorINS6_10device_ptrIS9_EEEENS0_8identityIS9_EEEE10hipError_tT2_T3_mT4_P12ihipStream_tbEUlT_E_NS1_11comp_targetILNS1_3genE3ELNS1_11target_archE908ELNS1_3gpuE7ELNS1_3repE0EEENS1_30default_config_static_selectorELNS0_4arch9wavefront6targetE0EEEvT1_,@function
_ZN7rocprim17ROCPRIM_400000_NS6detail17trampoline_kernelINS0_14default_configENS1_25transform_config_selectorIN6thrust23THRUST_200600_302600_NS5tupleIffNS6_9null_typeES8_S8_S8_S8_S8_S8_S8_EELb0EEEZNS1_14transform_implILb0ES3_SA_PS9_NS6_6detail15normal_iteratorINS6_10device_ptrIS9_EEEENS0_8identityIS9_EEEE10hipError_tT2_T3_mT4_P12ihipStream_tbEUlT_E_NS1_11comp_targetILNS1_3genE3ELNS1_11target_archE908ELNS1_3gpuE7ELNS1_3repE0EEENS1_30default_config_static_selectorELNS0_4arch9wavefront6targetE0EEEvT1_: ; @_ZN7rocprim17ROCPRIM_400000_NS6detail17trampoline_kernelINS0_14default_configENS1_25transform_config_selectorIN6thrust23THRUST_200600_302600_NS5tupleIffNS6_9null_typeES8_S8_S8_S8_S8_S8_S8_EELb0EEEZNS1_14transform_implILb0ES3_SA_PS9_NS6_6detail15normal_iteratorINS6_10device_ptrIS9_EEEENS0_8identityIS9_EEEE10hipError_tT2_T3_mT4_P12ihipStream_tbEUlT_E_NS1_11comp_targetILNS1_3genE3ELNS1_11target_archE908ELNS1_3gpuE7ELNS1_3repE0EEENS1_30default_config_static_selectorELNS0_4arch9wavefront6targetE0EEEvT1_
; %bb.0:
	.section	.rodata,"a",@progbits
	.p2align	6, 0x0
	.amdhsa_kernel _ZN7rocprim17ROCPRIM_400000_NS6detail17trampoline_kernelINS0_14default_configENS1_25transform_config_selectorIN6thrust23THRUST_200600_302600_NS5tupleIffNS6_9null_typeES8_S8_S8_S8_S8_S8_S8_EELb0EEEZNS1_14transform_implILb0ES3_SA_PS9_NS6_6detail15normal_iteratorINS6_10device_ptrIS9_EEEENS0_8identityIS9_EEEE10hipError_tT2_T3_mT4_P12ihipStream_tbEUlT_E_NS1_11comp_targetILNS1_3genE3ELNS1_11target_archE908ELNS1_3gpuE7ELNS1_3repE0EEENS1_30default_config_static_selectorELNS0_4arch9wavefront6targetE0EEEvT1_
		.amdhsa_group_segment_fixed_size 0
		.amdhsa_private_segment_fixed_size 0
		.amdhsa_kernarg_size 40
		.amdhsa_user_sgpr_count 2
		.amdhsa_user_sgpr_dispatch_ptr 0
		.amdhsa_user_sgpr_queue_ptr 0
		.amdhsa_user_sgpr_kernarg_segment_ptr 1
		.amdhsa_user_sgpr_dispatch_id 0
		.amdhsa_user_sgpr_private_segment_size 0
		.amdhsa_wavefront_size32 1
		.amdhsa_uses_dynamic_stack 0
		.amdhsa_enable_private_segment 0
		.amdhsa_system_sgpr_workgroup_id_x 1
		.amdhsa_system_sgpr_workgroup_id_y 0
		.amdhsa_system_sgpr_workgroup_id_z 0
		.amdhsa_system_sgpr_workgroup_info 0
		.amdhsa_system_vgpr_workitem_id 0
		.amdhsa_next_free_vgpr 1
		.amdhsa_next_free_sgpr 1
		.amdhsa_reserve_vcc 0
		.amdhsa_float_round_mode_32 0
		.amdhsa_float_round_mode_16_64 0
		.amdhsa_float_denorm_mode_32 3
		.amdhsa_float_denorm_mode_16_64 3
		.amdhsa_fp16_overflow 0
		.amdhsa_workgroup_processor_mode 1
		.amdhsa_memory_ordered 1
		.amdhsa_forward_progress 1
		.amdhsa_inst_pref_size 0
		.amdhsa_round_robin_scheduling 0
		.amdhsa_exception_fp_ieee_invalid_op 0
		.amdhsa_exception_fp_denorm_src 0
		.amdhsa_exception_fp_ieee_div_zero 0
		.amdhsa_exception_fp_ieee_overflow 0
		.amdhsa_exception_fp_ieee_underflow 0
		.amdhsa_exception_fp_ieee_inexact 0
		.amdhsa_exception_int_div_zero 0
	.end_amdhsa_kernel
	.section	.text._ZN7rocprim17ROCPRIM_400000_NS6detail17trampoline_kernelINS0_14default_configENS1_25transform_config_selectorIN6thrust23THRUST_200600_302600_NS5tupleIffNS6_9null_typeES8_S8_S8_S8_S8_S8_S8_EELb0EEEZNS1_14transform_implILb0ES3_SA_PS9_NS6_6detail15normal_iteratorINS6_10device_ptrIS9_EEEENS0_8identityIS9_EEEE10hipError_tT2_T3_mT4_P12ihipStream_tbEUlT_E_NS1_11comp_targetILNS1_3genE3ELNS1_11target_archE908ELNS1_3gpuE7ELNS1_3repE0EEENS1_30default_config_static_selectorELNS0_4arch9wavefront6targetE0EEEvT1_,"axG",@progbits,_ZN7rocprim17ROCPRIM_400000_NS6detail17trampoline_kernelINS0_14default_configENS1_25transform_config_selectorIN6thrust23THRUST_200600_302600_NS5tupleIffNS6_9null_typeES8_S8_S8_S8_S8_S8_S8_EELb0EEEZNS1_14transform_implILb0ES3_SA_PS9_NS6_6detail15normal_iteratorINS6_10device_ptrIS9_EEEENS0_8identityIS9_EEEE10hipError_tT2_T3_mT4_P12ihipStream_tbEUlT_E_NS1_11comp_targetILNS1_3genE3ELNS1_11target_archE908ELNS1_3gpuE7ELNS1_3repE0EEENS1_30default_config_static_selectorELNS0_4arch9wavefront6targetE0EEEvT1_,comdat
.Lfunc_end85:
	.size	_ZN7rocprim17ROCPRIM_400000_NS6detail17trampoline_kernelINS0_14default_configENS1_25transform_config_selectorIN6thrust23THRUST_200600_302600_NS5tupleIffNS6_9null_typeES8_S8_S8_S8_S8_S8_S8_EELb0EEEZNS1_14transform_implILb0ES3_SA_PS9_NS6_6detail15normal_iteratorINS6_10device_ptrIS9_EEEENS0_8identityIS9_EEEE10hipError_tT2_T3_mT4_P12ihipStream_tbEUlT_E_NS1_11comp_targetILNS1_3genE3ELNS1_11target_archE908ELNS1_3gpuE7ELNS1_3repE0EEENS1_30default_config_static_selectorELNS0_4arch9wavefront6targetE0EEEvT1_, .Lfunc_end85-_ZN7rocprim17ROCPRIM_400000_NS6detail17trampoline_kernelINS0_14default_configENS1_25transform_config_selectorIN6thrust23THRUST_200600_302600_NS5tupleIffNS6_9null_typeES8_S8_S8_S8_S8_S8_S8_EELb0EEEZNS1_14transform_implILb0ES3_SA_PS9_NS6_6detail15normal_iteratorINS6_10device_ptrIS9_EEEENS0_8identityIS9_EEEE10hipError_tT2_T3_mT4_P12ihipStream_tbEUlT_E_NS1_11comp_targetILNS1_3genE3ELNS1_11target_archE908ELNS1_3gpuE7ELNS1_3repE0EEENS1_30default_config_static_selectorELNS0_4arch9wavefront6targetE0EEEvT1_
                                        ; -- End function
	.set _ZN7rocprim17ROCPRIM_400000_NS6detail17trampoline_kernelINS0_14default_configENS1_25transform_config_selectorIN6thrust23THRUST_200600_302600_NS5tupleIffNS6_9null_typeES8_S8_S8_S8_S8_S8_S8_EELb0EEEZNS1_14transform_implILb0ES3_SA_PS9_NS6_6detail15normal_iteratorINS6_10device_ptrIS9_EEEENS0_8identityIS9_EEEE10hipError_tT2_T3_mT4_P12ihipStream_tbEUlT_E_NS1_11comp_targetILNS1_3genE3ELNS1_11target_archE908ELNS1_3gpuE7ELNS1_3repE0EEENS1_30default_config_static_selectorELNS0_4arch9wavefront6targetE0EEEvT1_.num_vgpr, 0
	.set _ZN7rocprim17ROCPRIM_400000_NS6detail17trampoline_kernelINS0_14default_configENS1_25transform_config_selectorIN6thrust23THRUST_200600_302600_NS5tupleIffNS6_9null_typeES8_S8_S8_S8_S8_S8_S8_EELb0EEEZNS1_14transform_implILb0ES3_SA_PS9_NS6_6detail15normal_iteratorINS6_10device_ptrIS9_EEEENS0_8identityIS9_EEEE10hipError_tT2_T3_mT4_P12ihipStream_tbEUlT_E_NS1_11comp_targetILNS1_3genE3ELNS1_11target_archE908ELNS1_3gpuE7ELNS1_3repE0EEENS1_30default_config_static_selectorELNS0_4arch9wavefront6targetE0EEEvT1_.num_agpr, 0
	.set _ZN7rocprim17ROCPRIM_400000_NS6detail17trampoline_kernelINS0_14default_configENS1_25transform_config_selectorIN6thrust23THRUST_200600_302600_NS5tupleIffNS6_9null_typeES8_S8_S8_S8_S8_S8_S8_EELb0EEEZNS1_14transform_implILb0ES3_SA_PS9_NS6_6detail15normal_iteratorINS6_10device_ptrIS9_EEEENS0_8identityIS9_EEEE10hipError_tT2_T3_mT4_P12ihipStream_tbEUlT_E_NS1_11comp_targetILNS1_3genE3ELNS1_11target_archE908ELNS1_3gpuE7ELNS1_3repE0EEENS1_30default_config_static_selectorELNS0_4arch9wavefront6targetE0EEEvT1_.numbered_sgpr, 0
	.set _ZN7rocprim17ROCPRIM_400000_NS6detail17trampoline_kernelINS0_14default_configENS1_25transform_config_selectorIN6thrust23THRUST_200600_302600_NS5tupleIffNS6_9null_typeES8_S8_S8_S8_S8_S8_S8_EELb0EEEZNS1_14transform_implILb0ES3_SA_PS9_NS6_6detail15normal_iteratorINS6_10device_ptrIS9_EEEENS0_8identityIS9_EEEE10hipError_tT2_T3_mT4_P12ihipStream_tbEUlT_E_NS1_11comp_targetILNS1_3genE3ELNS1_11target_archE908ELNS1_3gpuE7ELNS1_3repE0EEENS1_30default_config_static_selectorELNS0_4arch9wavefront6targetE0EEEvT1_.num_named_barrier, 0
	.set _ZN7rocprim17ROCPRIM_400000_NS6detail17trampoline_kernelINS0_14default_configENS1_25transform_config_selectorIN6thrust23THRUST_200600_302600_NS5tupleIffNS6_9null_typeES8_S8_S8_S8_S8_S8_S8_EELb0EEEZNS1_14transform_implILb0ES3_SA_PS9_NS6_6detail15normal_iteratorINS6_10device_ptrIS9_EEEENS0_8identityIS9_EEEE10hipError_tT2_T3_mT4_P12ihipStream_tbEUlT_E_NS1_11comp_targetILNS1_3genE3ELNS1_11target_archE908ELNS1_3gpuE7ELNS1_3repE0EEENS1_30default_config_static_selectorELNS0_4arch9wavefront6targetE0EEEvT1_.private_seg_size, 0
	.set _ZN7rocprim17ROCPRIM_400000_NS6detail17trampoline_kernelINS0_14default_configENS1_25transform_config_selectorIN6thrust23THRUST_200600_302600_NS5tupleIffNS6_9null_typeES8_S8_S8_S8_S8_S8_S8_EELb0EEEZNS1_14transform_implILb0ES3_SA_PS9_NS6_6detail15normal_iteratorINS6_10device_ptrIS9_EEEENS0_8identityIS9_EEEE10hipError_tT2_T3_mT4_P12ihipStream_tbEUlT_E_NS1_11comp_targetILNS1_3genE3ELNS1_11target_archE908ELNS1_3gpuE7ELNS1_3repE0EEENS1_30default_config_static_selectorELNS0_4arch9wavefront6targetE0EEEvT1_.uses_vcc, 0
	.set _ZN7rocprim17ROCPRIM_400000_NS6detail17trampoline_kernelINS0_14default_configENS1_25transform_config_selectorIN6thrust23THRUST_200600_302600_NS5tupleIffNS6_9null_typeES8_S8_S8_S8_S8_S8_S8_EELb0EEEZNS1_14transform_implILb0ES3_SA_PS9_NS6_6detail15normal_iteratorINS6_10device_ptrIS9_EEEENS0_8identityIS9_EEEE10hipError_tT2_T3_mT4_P12ihipStream_tbEUlT_E_NS1_11comp_targetILNS1_3genE3ELNS1_11target_archE908ELNS1_3gpuE7ELNS1_3repE0EEENS1_30default_config_static_selectorELNS0_4arch9wavefront6targetE0EEEvT1_.uses_flat_scratch, 0
	.set _ZN7rocprim17ROCPRIM_400000_NS6detail17trampoline_kernelINS0_14default_configENS1_25transform_config_selectorIN6thrust23THRUST_200600_302600_NS5tupleIffNS6_9null_typeES8_S8_S8_S8_S8_S8_S8_EELb0EEEZNS1_14transform_implILb0ES3_SA_PS9_NS6_6detail15normal_iteratorINS6_10device_ptrIS9_EEEENS0_8identityIS9_EEEE10hipError_tT2_T3_mT4_P12ihipStream_tbEUlT_E_NS1_11comp_targetILNS1_3genE3ELNS1_11target_archE908ELNS1_3gpuE7ELNS1_3repE0EEENS1_30default_config_static_selectorELNS0_4arch9wavefront6targetE0EEEvT1_.has_dyn_sized_stack, 0
	.set _ZN7rocprim17ROCPRIM_400000_NS6detail17trampoline_kernelINS0_14default_configENS1_25transform_config_selectorIN6thrust23THRUST_200600_302600_NS5tupleIffNS6_9null_typeES8_S8_S8_S8_S8_S8_S8_EELb0EEEZNS1_14transform_implILb0ES3_SA_PS9_NS6_6detail15normal_iteratorINS6_10device_ptrIS9_EEEENS0_8identityIS9_EEEE10hipError_tT2_T3_mT4_P12ihipStream_tbEUlT_E_NS1_11comp_targetILNS1_3genE3ELNS1_11target_archE908ELNS1_3gpuE7ELNS1_3repE0EEENS1_30default_config_static_selectorELNS0_4arch9wavefront6targetE0EEEvT1_.has_recursion, 0
	.set _ZN7rocprim17ROCPRIM_400000_NS6detail17trampoline_kernelINS0_14default_configENS1_25transform_config_selectorIN6thrust23THRUST_200600_302600_NS5tupleIffNS6_9null_typeES8_S8_S8_S8_S8_S8_S8_EELb0EEEZNS1_14transform_implILb0ES3_SA_PS9_NS6_6detail15normal_iteratorINS6_10device_ptrIS9_EEEENS0_8identityIS9_EEEE10hipError_tT2_T3_mT4_P12ihipStream_tbEUlT_E_NS1_11comp_targetILNS1_3genE3ELNS1_11target_archE908ELNS1_3gpuE7ELNS1_3repE0EEENS1_30default_config_static_selectorELNS0_4arch9wavefront6targetE0EEEvT1_.has_indirect_call, 0
	.section	.AMDGPU.csdata,"",@progbits
; Kernel info:
; codeLenInByte = 0
; TotalNumSgprs: 0
; NumVgprs: 0
; ScratchSize: 0
; MemoryBound: 0
; FloatMode: 240
; IeeeMode: 1
; LDSByteSize: 0 bytes/workgroup (compile time only)
; SGPRBlocks: 0
; VGPRBlocks: 0
; NumSGPRsForWavesPerEU: 1
; NumVGPRsForWavesPerEU: 1
; Occupancy: 16
; WaveLimiterHint : 0
; COMPUTE_PGM_RSRC2:SCRATCH_EN: 0
; COMPUTE_PGM_RSRC2:USER_SGPR: 2
; COMPUTE_PGM_RSRC2:TRAP_HANDLER: 0
; COMPUTE_PGM_RSRC2:TGID_X_EN: 1
; COMPUTE_PGM_RSRC2:TGID_Y_EN: 0
; COMPUTE_PGM_RSRC2:TGID_Z_EN: 0
; COMPUTE_PGM_RSRC2:TIDIG_COMP_CNT: 0
	.section	.text._ZN7rocprim17ROCPRIM_400000_NS6detail17trampoline_kernelINS0_14default_configENS1_25transform_config_selectorIN6thrust23THRUST_200600_302600_NS5tupleIffNS6_9null_typeES8_S8_S8_S8_S8_S8_S8_EELb0EEEZNS1_14transform_implILb0ES3_SA_PS9_NS6_6detail15normal_iteratorINS6_10device_ptrIS9_EEEENS0_8identityIS9_EEEE10hipError_tT2_T3_mT4_P12ihipStream_tbEUlT_E_NS1_11comp_targetILNS1_3genE2ELNS1_11target_archE906ELNS1_3gpuE6ELNS1_3repE0EEENS1_30default_config_static_selectorELNS0_4arch9wavefront6targetE0EEEvT1_,"axG",@progbits,_ZN7rocprim17ROCPRIM_400000_NS6detail17trampoline_kernelINS0_14default_configENS1_25transform_config_selectorIN6thrust23THRUST_200600_302600_NS5tupleIffNS6_9null_typeES8_S8_S8_S8_S8_S8_S8_EELb0EEEZNS1_14transform_implILb0ES3_SA_PS9_NS6_6detail15normal_iteratorINS6_10device_ptrIS9_EEEENS0_8identityIS9_EEEE10hipError_tT2_T3_mT4_P12ihipStream_tbEUlT_E_NS1_11comp_targetILNS1_3genE2ELNS1_11target_archE906ELNS1_3gpuE6ELNS1_3repE0EEENS1_30default_config_static_selectorELNS0_4arch9wavefront6targetE0EEEvT1_,comdat
	.protected	_ZN7rocprim17ROCPRIM_400000_NS6detail17trampoline_kernelINS0_14default_configENS1_25transform_config_selectorIN6thrust23THRUST_200600_302600_NS5tupleIffNS6_9null_typeES8_S8_S8_S8_S8_S8_S8_EELb0EEEZNS1_14transform_implILb0ES3_SA_PS9_NS6_6detail15normal_iteratorINS6_10device_ptrIS9_EEEENS0_8identityIS9_EEEE10hipError_tT2_T3_mT4_P12ihipStream_tbEUlT_E_NS1_11comp_targetILNS1_3genE2ELNS1_11target_archE906ELNS1_3gpuE6ELNS1_3repE0EEENS1_30default_config_static_selectorELNS0_4arch9wavefront6targetE0EEEvT1_ ; -- Begin function _ZN7rocprim17ROCPRIM_400000_NS6detail17trampoline_kernelINS0_14default_configENS1_25transform_config_selectorIN6thrust23THRUST_200600_302600_NS5tupleIffNS6_9null_typeES8_S8_S8_S8_S8_S8_S8_EELb0EEEZNS1_14transform_implILb0ES3_SA_PS9_NS6_6detail15normal_iteratorINS6_10device_ptrIS9_EEEENS0_8identityIS9_EEEE10hipError_tT2_T3_mT4_P12ihipStream_tbEUlT_E_NS1_11comp_targetILNS1_3genE2ELNS1_11target_archE906ELNS1_3gpuE6ELNS1_3repE0EEENS1_30default_config_static_selectorELNS0_4arch9wavefront6targetE0EEEvT1_
	.globl	_ZN7rocprim17ROCPRIM_400000_NS6detail17trampoline_kernelINS0_14default_configENS1_25transform_config_selectorIN6thrust23THRUST_200600_302600_NS5tupleIffNS6_9null_typeES8_S8_S8_S8_S8_S8_S8_EELb0EEEZNS1_14transform_implILb0ES3_SA_PS9_NS6_6detail15normal_iteratorINS6_10device_ptrIS9_EEEENS0_8identityIS9_EEEE10hipError_tT2_T3_mT4_P12ihipStream_tbEUlT_E_NS1_11comp_targetILNS1_3genE2ELNS1_11target_archE906ELNS1_3gpuE6ELNS1_3repE0EEENS1_30default_config_static_selectorELNS0_4arch9wavefront6targetE0EEEvT1_
	.p2align	8
	.type	_ZN7rocprim17ROCPRIM_400000_NS6detail17trampoline_kernelINS0_14default_configENS1_25transform_config_selectorIN6thrust23THRUST_200600_302600_NS5tupleIffNS6_9null_typeES8_S8_S8_S8_S8_S8_S8_EELb0EEEZNS1_14transform_implILb0ES3_SA_PS9_NS6_6detail15normal_iteratorINS6_10device_ptrIS9_EEEENS0_8identityIS9_EEEE10hipError_tT2_T3_mT4_P12ihipStream_tbEUlT_E_NS1_11comp_targetILNS1_3genE2ELNS1_11target_archE906ELNS1_3gpuE6ELNS1_3repE0EEENS1_30default_config_static_selectorELNS0_4arch9wavefront6targetE0EEEvT1_,@function
_ZN7rocprim17ROCPRIM_400000_NS6detail17trampoline_kernelINS0_14default_configENS1_25transform_config_selectorIN6thrust23THRUST_200600_302600_NS5tupleIffNS6_9null_typeES8_S8_S8_S8_S8_S8_S8_EELb0EEEZNS1_14transform_implILb0ES3_SA_PS9_NS6_6detail15normal_iteratorINS6_10device_ptrIS9_EEEENS0_8identityIS9_EEEE10hipError_tT2_T3_mT4_P12ihipStream_tbEUlT_E_NS1_11comp_targetILNS1_3genE2ELNS1_11target_archE906ELNS1_3gpuE6ELNS1_3repE0EEENS1_30default_config_static_selectorELNS0_4arch9wavefront6targetE0EEEvT1_: ; @_ZN7rocprim17ROCPRIM_400000_NS6detail17trampoline_kernelINS0_14default_configENS1_25transform_config_selectorIN6thrust23THRUST_200600_302600_NS5tupleIffNS6_9null_typeES8_S8_S8_S8_S8_S8_S8_EELb0EEEZNS1_14transform_implILb0ES3_SA_PS9_NS6_6detail15normal_iteratorINS6_10device_ptrIS9_EEEENS0_8identityIS9_EEEE10hipError_tT2_T3_mT4_P12ihipStream_tbEUlT_E_NS1_11comp_targetILNS1_3genE2ELNS1_11target_archE906ELNS1_3gpuE6ELNS1_3repE0EEENS1_30default_config_static_selectorELNS0_4arch9wavefront6targetE0EEEvT1_
; %bb.0:
	.section	.rodata,"a",@progbits
	.p2align	6, 0x0
	.amdhsa_kernel _ZN7rocprim17ROCPRIM_400000_NS6detail17trampoline_kernelINS0_14default_configENS1_25transform_config_selectorIN6thrust23THRUST_200600_302600_NS5tupleIffNS6_9null_typeES8_S8_S8_S8_S8_S8_S8_EELb0EEEZNS1_14transform_implILb0ES3_SA_PS9_NS6_6detail15normal_iteratorINS6_10device_ptrIS9_EEEENS0_8identityIS9_EEEE10hipError_tT2_T3_mT4_P12ihipStream_tbEUlT_E_NS1_11comp_targetILNS1_3genE2ELNS1_11target_archE906ELNS1_3gpuE6ELNS1_3repE0EEENS1_30default_config_static_selectorELNS0_4arch9wavefront6targetE0EEEvT1_
		.amdhsa_group_segment_fixed_size 0
		.amdhsa_private_segment_fixed_size 0
		.amdhsa_kernarg_size 40
		.amdhsa_user_sgpr_count 2
		.amdhsa_user_sgpr_dispatch_ptr 0
		.amdhsa_user_sgpr_queue_ptr 0
		.amdhsa_user_sgpr_kernarg_segment_ptr 1
		.amdhsa_user_sgpr_dispatch_id 0
		.amdhsa_user_sgpr_private_segment_size 0
		.amdhsa_wavefront_size32 1
		.amdhsa_uses_dynamic_stack 0
		.amdhsa_enable_private_segment 0
		.amdhsa_system_sgpr_workgroup_id_x 1
		.amdhsa_system_sgpr_workgroup_id_y 0
		.amdhsa_system_sgpr_workgroup_id_z 0
		.amdhsa_system_sgpr_workgroup_info 0
		.amdhsa_system_vgpr_workitem_id 0
		.amdhsa_next_free_vgpr 1
		.amdhsa_next_free_sgpr 1
		.amdhsa_reserve_vcc 0
		.amdhsa_float_round_mode_32 0
		.amdhsa_float_round_mode_16_64 0
		.amdhsa_float_denorm_mode_32 3
		.amdhsa_float_denorm_mode_16_64 3
		.amdhsa_fp16_overflow 0
		.amdhsa_workgroup_processor_mode 1
		.amdhsa_memory_ordered 1
		.amdhsa_forward_progress 1
		.amdhsa_inst_pref_size 0
		.amdhsa_round_robin_scheduling 0
		.amdhsa_exception_fp_ieee_invalid_op 0
		.amdhsa_exception_fp_denorm_src 0
		.amdhsa_exception_fp_ieee_div_zero 0
		.amdhsa_exception_fp_ieee_overflow 0
		.amdhsa_exception_fp_ieee_underflow 0
		.amdhsa_exception_fp_ieee_inexact 0
		.amdhsa_exception_int_div_zero 0
	.end_amdhsa_kernel
	.section	.text._ZN7rocprim17ROCPRIM_400000_NS6detail17trampoline_kernelINS0_14default_configENS1_25transform_config_selectorIN6thrust23THRUST_200600_302600_NS5tupleIffNS6_9null_typeES8_S8_S8_S8_S8_S8_S8_EELb0EEEZNS1_14transform_implILb0ES3_SA_PS9_NS6_6detail15normal_iteratorINS6_10device_ptrIS9_EEEENS0_8identityIS9_EEEE10hipError_tT2_T3_mT4_P12ihipStream_tbEUlT_E_NS1_11comp_targetILNS1_3genE2ELNS1_11target_archE906ELNS1_3gpuE6ELNS1_3repE0EEENS1_30default_config_static_selectorELNS0_4arch9wavefront6targetE0EEEvT1_,"axG",@progbits,_ZN7rocprim17ROCPRIM_400000_NS6detail17trampoline_kernelINS0_14default_configENS1_25transform_config_selectorIN6thrust23THRUST_200600_302600_NS5tupleIffNS6_9null_typeES8_S8_S8_S8_S8_S8_S8_EELb0EEEZNS1_14transform_implILb0ES3_SA_PS9_NS6_6detail15normal_iteratorINS6_10device_ptrIS9_EEEENS0_8identityIS9_EEEE10hipError_tT2_T3_mT4_P12ihipStream_tbEUlT_E_NS1_11comp_targetILNS1_3genE2ELNS1_11target_archE906ELNS1_3gpuE6ELNS1_3repE0EEENS1_30default_config_static_selectorELNS0_4arch9wavefront6targetE0EEEvT1_,comdat
.Lfunc_end86:
	.size	_ZN7rocprim17ROCPRIM_400000_NS6detail17trampoline_kernelINS0_14default_configENS1_25transform_config_selectorIN6thrust23THRUST_200600_302600_NS5tupleIffNS6_9null_typeES8_S8_S8_S8_S8_S8_S8_EELb0EEEZNS1_14transform_implILb0ES3_SA_PS9_NS6_6detail15normal_iteratorINS6_10device_ptrIS9_EEEENS0_8identityIS9_EEEE10hipError_tT2_T3_mT4_P12ihipStream_tbEUlT_E_NS1_11comp_targetILNS1_3genE2ELNS1_11target_archE906ELNS1_3gpuE6ELNS1_3repE0EEENS1_30default_config_static_selectorELNS0_4arch9wavefront6targetE0EEEvT1_, .Lfunc_end86-_ZN7rocprim17ROCPRIM_400000_NS6detail17trampoline_kernelINS0_14default_configENS1_25transform_config_selectorIN6thrust23THRUST_200600_302600_NS5tupleIffNS6_9null_typeES8_S8_S8_S8_S8_S8_S8_EELb0EEEZNS1_14transform_implILb0ES3_SA_PS9_NS6_6detail15normal_iteratorINS6_10device_ptrIS9_EEEENS0_8identityIS9_EEEE10hipError_tT2_T3_mT4_P12ihipStream_tbEUlT_E_NS1_11comp_targetILNS1_3genE2ELNS1_11target_archE906ELNS1_3gpuE6ELNS1_3repE0EEENS1_30default_config_static_selectorELNS0_4arch9wavefront6targetE0EEEvT1_
                                        ; -- End function
	.set _ZN7rocprim17ROCPRIM_400000_NS6detail17trampoline_kernelINS0_14default_configENS1_25transform_config_selectorIN6thrust23THRUST_200600_302600_NS5tupleIffNS6_9null_typeES8_S8_S8_S8_S8_S8_S8_EELb0EEEZNS1_14transform_implILb0ES3_SA_PS9_NS6_6detail15normal_iteratorINS6_10device_ptrIS9_EEEENS0_8identityIS9_EEEE10hipError_tT2_T3_mT4_P12ihipStream_tbEUlT_E_NS1_11comp_targetILNS1_3genE2ELNS1_11target_archE906ELNS1_3gpuE6ELNS1_3repE0EEENS1_30default_config_static_selectorELNS0_4arch9wavefront6targetE0EEEvT1_.num_vgpr, 0
	.set _ZN7rocprim17ROCPRIM_400000_NS6detail17trampoline_kernelINS0_14default_configENS1_25transform_config_selectorIN6thrust23THRUST_200600_302600_NS5tupleIffNS6_9null_typeES8_S8_S8_S8_S8_S8_S8_EELb0EEEZNS1_14transform_implILb0ES3_SA_PS9_NS6_6detail15normal_iteratorINS6_10device_ptrIS9_EEEENS0_8identityIS9_EEEE10hipError_tT2_T3_mT4_P12ihipStream_tbEUlT_E_NS1_11comp_targetILNS1_3genE2ELNS1_11target_archE906ELNS1_3gpuE6ELNS1_3repE0EEENS1_30default_config_static_selectorELNS0_4arch9wavefront6targetE0EEEvT1_.num_agpr, 0
	.set _ZN7rocprim17ROCPRIM_400000_NS6detail17trampoline_kernelINS0_14default_configENS1_25transform_config_selectorIN6thrust23THRUST_200600_302600_NS5tupleIffNS6_9null_typeES8_S8_S8_S8_S8_S8_S8_EELb0EEEZNS1_14transform_implILb0ES3_SA_PS9_NS6_6detail15normal_iteratorINS6_10device_ptrIS9_EEEENS0_8identityIS9_EEEE10hipError_tT2_T3_mT4_P12ihipStream_tbEUlT_E_NS1_11comp_targetILNS1_3genE2ELNS1_11target_archE906ELNS1_3gpuE6ELNS1_3repE0EEENS1_30default_config_static_selectorELNS0_4arch9wavefront6targetE0EEEvT1_.numbered_sgpr, 0
	.set _ZN7rocprim17ROCPRIM_400000_NS6detail17trampoline_kernelINS0_14default_configENS1_25transform_config_selectorIN6thrust23THRUST_200600_302600_NS5tupleIffNS6_9null_typeES8_S8_S8_S8_S8_S8_S8_EELb0EEEZNS1_14transform_implILb0ES3_SA_PS9_NS6_6detail15normal_iteratorINS6_10device_ptrIS9_EEEENS0_8identityIS9_EEEE10hipError_tT2_T3_mT4_P12ihipStream_tbEUlT_E_NS1_11comp_targetILNS1_3genE2ELNS1_11target_archE906ELNS1_3gpuE6ELNS1_3repE0EEENS1_30default_config_static_selectorELNS0_4arch9wavefront6targetE0EEEvT1_.num_named_barrier, 0
	.set _ZN7rocprim17ROCPRIM_400000_NS6detail17trampoline_kernelINS0_14default_configENS1_25transform_config_selectorIN6thrust23THRUST_200600_302600_NS5tupleIffNS6_9null_typeES8_S8_S8_S8_S8_S8_S8_EELb0EEEZNS1_14transform_implILb0ES3_SA_PS9_NS6_6detail15normal_iteratorINS6_10device_ptrIS9_EEEENS0_8identityIS9_EEEE10hipError_tT2_T3_mT4_P12ihipStream_tbEUlT_E_NS1_11comp_targetILNS1_3genE2ELNS1_11target_archE906ELNS1_3gpuE6ELNS1_3repE0EEENS1_30default_config_static_selectorELNS0_4arch9wavefront6targetE0EEEvT1_.private_seg_size, 0
	.set _ZN7rocprim17ROCPRIM_400000_NS6detail17trampoline_kernelINS0_14default_configENS1_25transform_config_selectorIN6thrust23THRUST_200600_302600_NS5tupleIffNS6_9null_typeES8_S8_S8_S8_S8_S8_S8_EELb0EEEZNS1_14transform_implILb0ES3_SA_PS9_NS6_6detail15normal_iteratorINS6_10device_ptrIS9_EEEENS0_8identityIS9_EEEE10hipError_tT2_T3_mT4_P12ihipStream_tbEUlT_E_NS1_11comp_targetILNS1_3genE2ELNS1_11target_archE906ELNS1_3gpuE6ELNS1_3repE0EEENS1_30default_config_static_selectorELNS0_4arch9wavefront6targetE0EEEvT1_.uses_vcc, 0
	.set _ZN7rocprim17ROCPRIM_400000_NS6detail17trampoline_kernelINS0_14default_configENS1_25transform_config_selectorIN6thrust23THRUST_200600_302600_NS5tupleIffNS6_9null_typeES8_S8_S8_S8_S8_S8_S8_EELb0EEEZNS1_14transform_implILb0ES3_SA_PS9_NS6_6detail15normal_iteratorINS6_10device_ptrIS9_EEEENS0_8identityIS9_EEEE10hipError_tT2_T3_mT4_P12ihipStream_tbEUlT_E_NS1_11comp_targetILNS1_3genE2ELNS1_11target_archE906ELNS1_3gpuE6ELNS1_3repE0EEENS1_30default_config_static_selectorELNS0_4arch9wavefront6targetE0EEEvT1_.uses_flat_scratch, 0
	.set _ZN7rocprim17ROCPRIM_400000_NS6detail17trampoline_kernelINS0_14default_configENS1_25transform_config_selectorIN6thrust23THRUST_200600_302600_NS5tupleIffNS6_9null_typeES8_S8_S8_S8_S8_S8_S8_EELb0EEEZNS1_14transform_implILb0ES3_SA_PS9_NS6_6detail15normal_iteratorINS6_10device_ptrIS9_EEEENS0_8identityIS9_EEEE10hipError_tT2_T3_mT4_P12ihipStream_tbEUlT_E_NS1_11comp_targetILNS1_3genE2ELNS1_11target_archE906ELNS1_3gpuE6ELNS1_3repE0EEENS1_30default_config_static_selectorELNS0_4arch9wavefront6targetE0EEEvT1_.has_dyn_sized_stack, 0
	.set _ZN7rocprim17ROCPRIM_400000_NS6detail17trampoline_kernelINS0_14default_configENS1_25transform_config_selectorIN6thrust23THRUST_200600_302600_NS5tupleIffNS6_9null_typeES8_S8_S8_S8_S8_S8_S8_EELb0EEEZNS1_14transform_implILb0ES3_SA_PS9_NS6_6detail15normal_iteratorINS6_10device_ptrIS9_EEEENS0_8identityIS9_EEEE10hipError_tT2_T3_mT4_P12ihipStream_tbEUlT_E_NS1_11comp_targetILNS1_3genE2ELNS1_11target_archE906ELNS1_3gpuE6ELNS1_3repE0EEENS1_30default_config_static_selectorELNS0_4arch9wavefront6targetE0EEEvT1_.has_recursion, 0
	.set _ZN7rocprim17ROCPRIM_400000_NS6detail17trampoline_kernelINS0_14default_configENS1_25transform_config_selectorIN6thrust23THRUST_200600_302600_NS5tupleIffNS6_9null_typeES8_S8_S8_S8_S8_S8_S8_EELb0EEEZNS1_14transform_implILb0ES3_SA_PS9_NS6_6detail15normal_iteratorINS6_10device_ptrIS9_EEEENS0_8identityIS9_EEEE10hipError_tT2_T3_mT4_P12ihipStream_tbEUlT_E_NS1_11comp_targetILNS1_3genE2ELNS1_11target_archE906ELNS1_3gpuE6ELNS1_3repE0EEENS1_30default_config_static_selectorELNS0_4arch9wavefront6targetE0EEEvT1_.has_indirect_call, 0
	.section	.AMDGPU.csdata,"",@progbits
; Kernel info:
; codeLenInByte = 0
; TotalNumSgprs: 0
; NumVgprs: 0
; ScratchSize: 0
; MemoryBound: 0
; FloatMode: 240
; IeeeMode: 1
; LDSByteSize: 0 bytes/workgroup (compile time only)
; SGPRBlocks: 0
; VGPRBlocks: 0
; NumSGPRsForWavesPerEU: 1
; NumVGPRsForWavesPerEU: 1
; Occupancy: 16
; WaveLimiterHint : 0
; COMPUTE_PGM_RSRC2:SCRATCH_EN: 0
; COMPUTE_PGM_RSRC2:USER_SGPR: 2
; COMPUTE_PGM_RSRC2:TRAP_HANDLER: 0
; COMPUTE_PGM_RSRC2:TGID_X_EN: 1
; COMPUTE_PGM_RSRC2:TGID_Y_EN: 0
; COMPUTE_PGM_RSRC2:TGID_Z_EN: 0
; COMPUTE_PGM_RSRC2:TIDIG_COMP_CNT: 0
	.section	.text._ZN7rocprim17ROCPRIM_400000_NS6detail17trampoline_kernelINS0_14default_configENS1_25transform_config_selectorIN6thrust23THRUST_200600_302600_NS5tupleIffNS6_9null_typeES8_S8_S8_S8_S8_S8_S8_EELb0EEEZNS1_14transform_implILb0ES3_SA_PS9_NS6_6detail15normal_iteratorINS6_10device_ptrIS9_EEEENS0_8identityIS9_EEEE10hipError_tT2_T3_mT4_P12ihipStream_tbEUlT_E_NS1_11comp_targetILNS1_3genE10ELNS1_11target_archE1201ELNS1_3gpuE5ELNS1_3repE0EEENS1_30default_config_static_selectorELNS0_4arch9wavefront6targetE0EEEvT1_,"axG",@progbits,_ZN7rocprim17ROCPRIM_400000_NS6detail17trampoline_kernelINS0_14default_configENS1_25transform_config_selectorIN6thrust23THRUST_200600_302600_NS5tupleIffNS6_9null_typeES8_S8_S8_S8_S8_S8_S8_EELb0EEEZNS1_14transform_implILb0ES3_SA_PS9_NS6_6detail15normal_iteratorINS6_10device_ptrIS9_EEEENS0_8identityIS9_EEEE10hipError_tT2_T3_mT4_P12ihipStream_tbEUlT_E_NS1_11comp_targetILNS1_3genE10ELNS1_11target_archE1201ELNS1_3gpuE5ELNS1_3repE0EEENS1_30default_config_static_selectorELNS0_4arch9wavefront6targetE0EEEvT1_,comdat
	.protected	_ZN7rocprim17ROCPRIM_400000_NS6detail17trampoline_kernelINS0_14default_configENS1_25transform_config_selectorIN6thrust23THRUST_200600_302600_NS5tupleIffNS6_9null_typeES8_S8_S8_S8_S8_S8_S8_EELb0EEEZNS1_14transform_implILb0ES3_SA_PS9_NS6_6detail15normal_iteratorINS6_10device_ptrIS9_EEEENS0_8identityIS9_EEEE10hipError_tT2_T3_mT4_P12ihipStream_tbEUlT_E_NS1_11comp_targetILNS1_3genE10ELNS1_11target_archE1201ELNS1_3gpuE5ELNS1_3repE0EEENS1_30default_config_static_selectorELNS0_4arch9wavefront6targetE0EEEvT1_ ; -- Begin function _ZN7rocprim17ROCPRIM_400000_NS6detail17trampoline_kernelINS0_14default_configENS1_25transform_config_selectorIN6thrust23THRUST_200600_302600_NS5tupleIffNS6_9null_typeES8_S8_S8_S8_S8_S8_S8_EELb0EEEZNS1_14transform_implILb0ES3_SA_PS9_NS6_6detail15normal_iteratorINS6_10device_ptrIS9_EEEENS0_8identityIS9_EEEE10hipError_tT2_T3_mT4_P12ihipStream_tbEUlT_E_NS1_11comp_targetILNS1_3genE10ELNS1_11target_archE1201ELNS1_3gpuE5ELNS1_3repE0EEENS1_30default_config_static_selectorELNS0_4arch9wavefront6targetE0EEEvT1_
	.globl	_ZN7rocprim17ROCPRIM_400000_NS6detail17trampoline_kernelINS0_14default_configENS1_25transform_config_selectorIN6thrust23THRUST_200600_302600_NS5tupleIffNS6_9null_typeES8_S8_S8_S8_S8_S8_S8_EELb0EEEZNS1_14transform_implILb0ES3_SA_PS9_NS6_6detail15normal_iteratorINS6_10device_ptrIS9_EEEENS0_8identityIS9_EEEE10hipError_tT2_T3_mT4_P12ihipStream_tbEUlT_E_NS1_11comp_targetILNS1_3genE10ELNS1_11target_archE1201ELNS1_3gpuE5ELNS1_3repE0EEENS1_30default_config_static_selectorELNS0_4arch9wavefront6targetE0EEEvT1_
	.p2align	8
	.type	_ZN7rocprim17ROCPRIM_400000_NS6detail17trampoline_kernelINS0_14default_configENS1_25transform_config_selectorIN6thrust23THRUST_200600_302600_NS5tupleIffNS6_9null_typeES8_S8_S8_S8_S8_S8_S8_EELb0EEEZNS1_14transform_implILb0ES3_SA_PS9_NS6_6detail15normal_iteratorINS6_10device_ptrIS9_EEEENS0_8identityIS9_EEEE10hipError_tT2_T3_mT4_P12ihipStream_tbEUlT_E_NS1_11comp_targetILNS1_3genE10ELNS1_11target_archE1201ELNS1_3gpuE5ELNS1_3repE0EEENS1_30default_config_static_selectorELNS0_4arch9wavefront6targetE0EEEvT1_,@function
_ZN7rocprim17ROCPRIM_400000_NS6detail17trampoline_kernelINS0_14default_configENS1_25transform_config_selectorIN6thrust23THRUST_200600_302600_NS5tupleIffNS6_9null_typeES8_S8_S8_S8_S8_S8_S8_EELb0EEEZNS1_14transform_implILb0ES3_SA_PS9_NS6_6detail15normal_iteratorINS6_10device_ptrIS9_EEEENS0_8identityIS9_EEEE10hipError_tT2_T3_mT4_P12ihipStream_tbEUlT_E_NS1_11comp_targetILNS1_3genE10ELNS1_11target_archE1201ELNS1_3gpuE5ELNS1_3repE0EEENS1_30default_config_static_selectorELNS0_4arch9wavefront6targetE0EEEvT1_: ; @_ZN7rocprim17ROCPRIM_400000_NS6detail17trampoline_kernelINS0_14default_configENS1_25transform_config_selectorIN6thrust23THRUST_200600_302600_NS5tupleIffNS6_9null_typeES8_S8_S8_S8_S8_S8_S8_EELb0EEEZNS1_14transform_implILb0ES3_SA_PS9_NS6_6detail15normal_iteratorINS6_10device_ptrIS9_EEEENS0_8identityIS9_EEEE10hipError_tT2_T3_mT4_P12ihipStream_tbEUlT_E_NS1_11comp_targetILNS1_3genE10ELNS1_11target_archE1201ELNS1_3gpuE5ELNS1_3repE0EEENS1_30default_config_static_selectorELNS0_4arch9wavefront6targetE0EEEvT1_
; %bb.0:
	s_clause 0x1
	s_load_b256 s[4:11], s[0:1], 0x0
	s_load_b32 s12, s[0:1], 0x28
	s_lshl_b32 s0, ttmp9, 11
	s_mov_b32 s1, 0
	v_lshlrev_b32_e32 v5, 3, v0
	s_wait_kmcnt 0x0
	s_mov_b32 s9, -1
	s_lshl_b64 s[2:3], s[6:7], 3
	s_add_co_i32 s12, s12, -1
	s_add_nc_u64 s[6:7], s[4:5], s[2:3]
	s_lshl_b64 s[4:5], s[0:1], 3
	s_add_nc_u64 s[2:3], s[10:11], s[2:3]
	s_cmp_lg_u32 ttmp9, s12
	s_add_nc_u64 s[6:7], s[6:7], s[4:5]
	s_cbranch_scc0 .LBB87_2
; %bb.1:
	s_clause 0x1
	global_load_b64 v[1:2], v5, s[6:7]
	global_load_b64 v[3:4], v5, s[6:7] offset:8192
	s_add_nc_u64 s[10:11], s[2:3], s[4:5]
	s_mov_b32 s9, 0
	v_add_co_u32 v6, s1, s10, v5
	s_delay_alu instid0(VALU_DEP_1)
	v_add_co_ci_u32_e64 v7, null, s11, 0, s1
	s_wait_loadcnt 0x1
	flat_store_b64 v[6:7], v[1:2]
	s_wait_loadcnt 0x0
	flat_store_b64 v[6:7], v[3:4] offset:8192
.LBB87_2:
	s_and_not1_b32 vcc_lo, exec_lo, s9
	s_cbranch_vccnz .LBB87_13
; %bb.3:
	s_sub_co_i32 s1, s8, s0
	v_dual_mov_b32 v2, 0 :: v_dual_mov_b32 v1, 0
	s_wait_alu 0xfffe
	v_cmp_gt_u32_e32 vcc_lo, s1, v0
	s_and_saveexec_b32 s0, vcc_lo
	s_cbranch_execz .LBB87_5
; %bb.4:
	global_load_b64 v[1:2], v5, s[6:7]
.LBB87_5:
	s_wait_alu 0xfffe
	s_or_b32 exec_lo, exec_lo, s0
	v_or_b32_e32 v3, 0x400, v0
	s_delay_alu instid0(VALU_DEP_1) | instskip(SKIP_2) | instid1(SALU_CYCLE_1)
	v_cmp_gt_u32_e64 s0, s1, v3
	v_cmp_le_u32_e64 s1, s1, v3
	s_and_saveexec_b32 s8, s1
	s_xor_b32 s1, exec_lo, s8
; %bb.6:
                                        ; implicit-def: $vgpr5
; %bb.7:
	s_wait_alu 0xfffe
	s_or_saveexec_b32 s1, s1
	v_dual_mov_b32 v3, 0 :: v_dual_mov_b32 v4, 0
	s_wait_alu 0xfffe
	s_xor_b32 exec_lo, exec_lo, s1
	s_cbranch_execz .LBB87_9
; %bb.8:
	global_load_b64 v[3:4], v5, s[6:7] offset:8192
.LBB87_9:
	s_or_b32 exec_lo, exec_lo, s1
	v_lshlrev_b32_e32 v0, 3, v0
	s_add_nc_u64 s[2:3], s[2:3], s[4:5]
	s_delay_alu instid0(VALU_DEP_1) | instid1(SALU_CYCLE_1)
	v_add_co_u32 v5, s1, s2, v0
	s_wait_alu 0xf1ff
	v_add_co_ci_u32_e64 v6, null, s3, 0, s1
	s_and_saveexec_b32 s1, vcc_lo
	s_cbranch_execz .LBB87_11
; %bb.10:
	s_wait_loadcnt 0x0
	flat_store_b64 v[5:6], v[1:2]
.LBB87_11:
	s_wait_alu 0xfffe
	s_or_b32 exec_lo, exec_lo, s1
	s_and_saveexec_b32 s1, s0
	s_cbranch_execz .LBB87_13
; %bb.12:
	s_wait_loadcnt 0x0
	flat_store_b64 v[5:6], v[3:4] offset:8192
.LBB87_13:
	s_endpgm
	.section	.rodata,"a",@progbits
	.p2align	6, 0x0
	.amdhsa_kernel _ZN7rocprim17ROCPRIM_400000_NS6detail17trampoline_kernelINS0_14default_configENS1_25transform_config_selectorIN6thrust23THRUST_200600_302600_NS5tupleIffNS6_9null_typeES8_S8_S8_S8_S8_S8_S8_EELb0EEEZNS1_14transform_implILb0ES3_SA_PS9_NS6_6detail15normal_iteratorINS6_10device_ptrIS9_EEEENS0_8identityIS9_EEEE10hipError_tT2_T3_mT4_P12ihipStream_tbEUlT_E_NS1_11comp_targetILNS1_3genE10ELNS1_11target_archE1201ELNS1_3gpuE5ELNS1_3repE0EEENS1_30default_config_static_selectorELNS0_4arch9wavefront6targetE0EEEvT1_
		.amdhsa_group_segment_fixed_size 0
		.amdhsa_private_segment_fixed_size 0
		.amdhsa_kernarg_size 296
		.amdhsa_user_sgpr_count 2
		.amdhsa_user_sgpr_dispatch_ptr 0
		.amdhsa_user_sgpr_queue_ptr 0
		.amdhsa_user_sgpr_kernarg_segment_ptr 1
		.amdhsa_user_sgpr_dispatch_id 0
		.amdhsa_user_sgpr_private_segment_size 0
		.amdhsa_wavefront_size32 1
		.amdhsa_uses_dynamic_stack 0
		.amdhsa_enable_private_segment 0
		.amdhsa_system_sgpr_workgroup_id_x 1
		.amdhsa_system_sgpr_workgroup_id_y 0
		.amdhsa_system_sgpr_workgroup_id_z 0
		.amdhsa_system_sgpr_workgroup_info 0
		.amdhsa_system_vgpr_workitem_id 0
		.amdhsa_next_free_vgpr 8
		.amdhsa_next_free_sgpr 13
		.amdhsa_reserve_vcc 1
		.amdhsa_float_round_mode_32 0
		.amdhsa_float_round_mode_16_64 0
		.amdhsa_float_denorm_mode_32 3
		.amdhsa_float_denorm_mode_16_64 3
		.amdhsa_fp16_overflow 0
		.amdhsa_workgroup_processor_mode 1
		.amdhsa_memory_ordered 1
		.amdhsa_forward_progress 1
		.amdhsa_inst_pref_size 4
		.amdhsa_round_robin_scheduling 0
		.amdhsa_exception_fp_ieee_invalid_op 0
		.amdhsa_exception_fp_denorm_src 0
		.amdhsa_exception_fp_ieee_div_zero 0
		.amdhsa_exception_fp_ieee_overflow 0
		.amdhsa_exception_fp_ieee_underflow 0
		.amdhsa_exception_fp_ieee_inexact 0
		.amdhsa_exception_int_div_zero 0
	.end_amdhsa_kernel
	.section	.text._ZN7rocprim17ROCPRIM_400000_NS6detail17trampoline_kernelINS0_14default_configENS1_25transform_config_selectorIN6thrust23THRUST_200600_302600_NS5tupleIffNS6_9null_typeES8_S8_S8_S8_S8_S8_S8_EELb0EEEZNS1_14transform_implILb0ES3_SA_PS9_NS6_6detail15normal_iteratorINS6_10device_ptrIS9_EEEENS0_8identityIS9_EEEE10hipError_tT2_T3_mT4_P12ihipStream_tbEUlT_E_NS1_11comp_targetILNS1_3genE10ELNS1_11target_archE1201ELNS1_3gpuE5ELNS1_3repE0EEENS1_30default_config_static_selectorELNS0_4arch9wavefront6targetE0EEEvT1_,"axG",@progbits,_ZN7rocprim17ROCPRIM_400000_NS6detail17trampoline_kernelINS0_14default_configENS1_25transform_config_selectorIN6thrust23THRUST_200600_302600_NS5tupleIffNS6_9null_typeES8_S8_S8_S8_S8_S8_S8_EELb0EEEZNS1_14transform_implILb0ES3_SA_PS9_NS6_6detail15normal_iteratorINS6_10device_ptrIS9_EEEENS0_8identityIS9_EEEE10hipError_tT2_T3_mT4_P12ihipStream_tbEUlT_E_NS1_11comp_targetILNS1_3genE10ELNS1_11target_archE1201ELNS1_3gpuE5ELNS1_3repE0EEENS1_30default_config_static_selectorELNS0_4arch9wavefront6targetE0EEEvT1_,comdat
.Lfunc_end87:
	.size	_ZN7rocprim17ROCPRIM_400000_NS6detail17trampoline_kernelINS0_14default_configENS1_25transform_config_selectorIN6thrust23THRUST_200600_302600_NS5tupleIffNS6_9null_typeES8_S8_S8_S8_S8_S8_S8_EELb0EEEZNS1_14transform_implILb0ES3_SA_PS9_NS6_6detail15normal_iteratorINS6_10device_ptrIS9_EEEENS0_8identityIS9_EEEE10hipError_tT2_T3_mT4_P12ihipStream_tbEUlT_E_NS1_11comp_targetILNS1_3genE10ELNS1_11target_archE1201ELNS1_3gpuE5ELNS1_3repE0EEENS1_30default_config_static_selectorELNS0_4arch9wavefront6targetE0EEEvT1_, .Lfunc_end87-_ZN7rocprim17ROCPRIM_400000_NS6detail17trampoline_kernelINS0_14default_configENS1_25transform_config_selectorIN6thrust23THRUST_200600_302600_NS5tupleIffNS6_9null_typeES8_S8_S8_S8_S8_S8_S8_EELb0EEEZNS1_14transform_implILb0ES3_SA_PS9_NS6_6detail15normal_iteratorINS6_10device_ptrIS9_EEEENS0_8identityIS9_EEEE10hipError_tT2_T3_mT4_P12ihipStream_tbEUlT_E_NS1_11comp_targetILNS1_3genE10ELNS1_11target_archE1201ELNS1_3gpuE5ELNS1_3repE0EEENS1_30default_config_static_selectorELNS0_4arch9wavefront6targetE0EEEvT1_
                                        ; -- End function
	.set _ZN7rocprim17ROCPRIM_400000_NS6detail17trampoline_kernelINS0_14default_configENS1_25transform_config_selectorIN6thrust23THRUST_200600_302600_NS5tupleIffNS6_9null_typeES8_S8_S8_S8_S8_S8_S8_EELb0EEEZNS1_14transform_implILb0ES3_SA_PS9_NS6_6detail15normal_iteratorINS6_10device_ptrIS9_EEEENS0_8identityIS9_EEEE10hipError_tT2_T3_mT4_P12ihipStream_tbEUlT_E_NS1_11comp_targetILNS1_3genE10ELNS1_11target_archE1201ELNS1_3gpuE5ELNS1_3repE0EEENS1_30default_config_static_selectorELNS0_4arch9wavefront6targetE0EEEvT1_.num_vgpr, 8
	.set _ZN7rocprim17ROCPRIM_400000_NS6detail17trampoline_kernelINS0_14default_configENS1_25transform_config_selectorIN6thrust23THRUST_200600_302600_NS5tupleIffNS6_9null_typeES8_S8_S8_S8_S8_S8_S8_EELb0EEEZNS1_14transform_implILb0ES3_SA_PS9_NS6_6detail15normal_iteratorINS6_10device_ptrIS9_EEEENS0_8identityIS9_EEEE10hipError_tT2_T3_mT4_P12ihipStream_tbEUlT_E_NS1_11comp_targetILNS1_3genE10ELNS1_11target_archE1201ELNS1_3gpuE5ELNS1_3repE0EEENS1_30default_config_static_selectorELNS0_4arch9wavefront6targetE0EEEvT1_.num_agpr, 0
	.set _ZN7rocprim17ROCPRIM_400000_NS6detail17trampoline_kernelINS0_14default_configENS1_25transform_config_selectorIN6thrust23THRUST_200600_302600_NS5tupleIffNS6_9null_typeES8_S8_S8_S8_S8_S8_S8_EELb0EEEZNS1_14transform_implILb0ES3_SA_PS9_NS6_6detail15normal_iteratorINS6_10device_ptrIS9_EEEENS0_8identityIS9_EEEE10hipError_tT2_T3_mT4_P12ihipStream_tbEUlT_E_NS1_11comp_targetILNS1_3genE10ELNS1_11target_archE1201ELNS1_3gpuE5ELNS1_3repE0EEENS1_30default_config_static_selectorELNS0_4arch9wavefront6targetE0EEEvT1_.numbered_sgpr, 13
	.set _ZN7rocprim17ROCPRIM_400000_NS6detail17trampoline_kernelINS0_14default_configENS1_25transform_config_selectorIN6thrust23THRUST_200600_302600_NS5tupleIffNS6_9null_typeES8_S8_S8_S8_S8_S8_S8_EELb0EEEZNS1_14transform_implILb0ES3_SA_PS9_NS6_6detail15normal_iteratorINS6_10device_ptrIS9_EEEENS0_8identityIS9_EEEE10hipError_tT2_T3_mT4_P12ihipStream_tbEUlT_E_NS1_11comp_targetILNS1_3genE10ELNS1_11target_archE1201ELNS1_3gpuE5ELNS1_3repE0EEENS1_30default_config_static_selectorELNS0_4arch9wavefront6targetE0EEEvT1_.num_named_barrier, 0
	.set _ZN7rocprim17ROCPRIM_400000_NS6detail17trampoline_kernelINS0_14default_configENS1_25transform_config_selectorIN6thrust23THRUST_200600_302600_NS5tupleIffNS6_9null_typeES8_S8_S8_S8_S8_S8_S8_EELb0EEEZNS1_14transform_implILb0ES3_SA_PS9_NS6_6detail15normal_iteratorINS6_10device_ptrIS9_EEEENS0_8identityIS9_EEEE10hipError_tT2_T3_mT4_P12ihipStream_tbEUlT_E_NS1_11comp_targetILNS1_3genE10ELNS1_11target_archE1201ELNS1_3gpuE5ELNS1_3repE0EEENS1_30default_config_static_selectorELNS0_4arch9wavefront6targetE0EEEvT1_.private_seg_size, 0
	.set _ZN7rocprim17ROCPRIM_400000_NS6detail17trampoline_kernelINS0_14default_configENS1_25transform_config_selectorIN6thrust23THRUST_200600_302600_NS5tupleIffNS6_9null_typeES8_S8_S8_S8_S8_S8_S8_EELb0EEEZNS1_14transform_implILb0ES3_SA_PS9_NS6_6detail15normal_iteratorINS6_10device_ptrIS9_EEEENS0_8identityIS9_EEEE10hipError_tT2_T3_mT4_P12ihipStream_tbEUlT_E_NS1_11comp_targetILNS1_3genE10ELNS1_11target_archE1201ELNS1_3gpuE5ELNS1_3repE0EEENS1_30default_config_static_selectorELNS0_4arch9wavefront6targetE0EEEvT1_.uses_vcc, 1
	.set _ZN7rocprim17ROCPRIM_400000_NS6detail17trampoline_kernelINS0_14default_configENS1_25transform_config_selectorIN6thrust23THRUST_200600_302600_NS5tupleIffNS6_9null_typeES8_S8_S8_S8_S8_S8_S8_EELb0EEEZNS1_14transform_implILb0ES3_SA_PS9_NS6_6detail15normal_iteratorINS6_10device_ptrIS9_EEEENS0_8identityIS9_EEEE10hipError_tT2_T3_mT4_P12ihipStream_tbEUlT_E_NS1_11comp_targetILNS1_3genE10ELNS1_11target_archE1201ELNS1_3gpuE5ELNS1_3repE0EEENS1_30default_config_static_selectorELNS0_4arch9wavefront6targetE0EEEvT1_.uses_flat_scratch, 0
	.set _ZN7rocprim17ROCPRIM_400000_NS6detail17trampoline_kernelINS0_14default_configENS1_25transform_config_selectorIN6thrust23THRUST_200600_302600_NS5tupleIffNS6_9null_typeES8_S8_S8_S8_S8_S8_S8_EELb0EEEZNS1_14transform_implILb0ES3_SA_PS9_NS6_6detail15normal_iteratorINS6_10device_ptrIS9_EEEENS0_8identityIS9_EEEE10hipError_tT2_T3_mT4_P12ihipStream_tbEUlT_E_NS1_11comp_targetILNS1_3genE10ELNS1_11target_archE1201ELNS1_3gpuE5ELNS1_3repE0EEENS1_30default_config_static_selectorELNS0_4arch9wavefront6targetE0EEEvT1_.has_dyn_sized_stack, 0
	.set _ZN7rocprim17ROCPRIM_400000_NS6detail17trampoline_kernelINS0_14default_configENS1_25transform_config_selectorIN6thrust23THRUST_200600_302600_NS5tupleIffNS6_9null_typeES8_S8_S8_S8_S8_S8_S8_EELb0EEEZNS1_14transform_implILb0ES3_SA_PS9_NS6_6detail15normal_iteratorINS6_10device_ptrIS9_EEEENS0_8identityIS9_EEEE10hipError_tT2_T3_mT4_P12ihipStream_tbEUlT_E_NS1_11comp_targetILNS1_3genE10ELNS1_11target_archE1201ELNS1_3gpuE5ELNS1_3repE0EEENS1_30default_config_static_selectorELNS0_4arch9wavefront6targetE0EEEvT1_.has_recursion, 0
	.set _ZN7rocprim17ROCPRIM_400000_NS6detail17trampoline_kernelINS0_14default_configENS1_25transform_config_selectorIN6thrust23THRUST_200600_302600_NS5tupleIffNS6_9null_typeES8_S8_S8_S8_S8_S8_S8_EELb0EEEZNS1_14transform_implILb0ES3_SA_PS9_NS6_6detail15normal_iteratorINS6_10device_ptrIS9_EEEENS0_8identityIS9_EEEE10hipError_tT2_T3_mT4_P12ihipStream_tbEUlT_E_NS1_11comp_targetILNS1_3genE10ELNS1_11target_archE1201ELNS1_3gpuE5ELNS1_3repE0EEENS1_30default_config_static_selectorELNS0_4arch9wavefront6targetE0EEEvT1_.has_indirect_call, 0
	.section	.AMDGPU.csdata,"",@progbits
; Kernel info:
; codeLenInByte = 388
; TotalNumSgprs: 15
; NumVgprs: 8
; ScratchSize: 0
; MemoryBound: 0
; FloatMode: 240
; IeeeMode: 1
; LDSByteSize: 0 bytes/workgroup (compile time only)
; SGPRBlocks: 0
; VGPRBlocks: 0
; NumSGPRsForWavesPerEU: 15
; NumVGPRsForWavesPerEU: 8
; Occupancy: 16
; WaveLimiterHint : 1
; COMPUTE_PGM_RSRC2:SCRATCH_EN: 0
; COMPUTE_PGM_RSRC2:USER_SGPR: 2
; COMPUTE_PGM_RSRC2:TRAP_HANDLER: 0
; COMPUTE_PGM_RSRC2:TGID_X_EN: 1
; COMPUTE_PGM_RSRC2:TGID_Y_EN: 0
; COMPUTE_PGM_RSRC2:TGID_Z_EN: 0
; COMPUTE_PGM_RSRC2:TIDIG_COMP_CNT: 0
	.section	.text._ZN7rocprim17ROCPRIM_400000_NS6detail17trampoline_kernelINS0_14default_configENS1_25transform_config_selectorIN6thrust23THRUST_200600_302600_NS5tupleIffNS6_9null_typeES8_S8_S8_S8_S8_S8_S8_EELb0EEEZNS1_14transform_implILb0ES3_SA_PS9_NS6_6detail15normal_iteratorINS6_10device_ptrIS9_EEEENS0_8identityIS9_EEEE10hipError_tT2_T3_mT4_P12ihipStream_tbEUlT_E_NS1_11comp_targetILNS1_3genE10ELNS1_11target_archE1200ELNS1_3gpuE4ELNS1_3repE0EEENS1_30default_config_static_selectorELNS0_4arch9wavefront6targetE0EEEvT1_,"axG",@progbits,_ZN7rocprim17ROCPRIM_400000_NS6detail17trampoline_kernelINS0_14default_configENS1_25transform_config_selectorIN6thrust23THRUST_200600_302600_NS5tupleIffNS6_9null_typeES8_S8_S8_S8_S8_S8_S8_EELb0EEEZNS1_14transform_implILb0ES3_SA_PS9_NS6_6detail15normal_iteratorINS6_10device_ptrIS9_EEEENS0_8identityIS9_EEEE10hipError_tT2_T3_mT4_P12ihipStream_tbEUlT_E_NS1_11comp_targetILNS1_3genE10ELNS1_11target_archE1200ELNS1_3gpuE4ELNS1_3repE0EEENS1_30default_config_static_selectorELNS0_4arch9wavefront6targetE0EEEvT1_,comdat
	.protected	_ZN7rocprim17ROCPRIM_400000_NS6detail17trampoline_kernelINS0_14default_configENS1_25transform_config_selectorIN6thrust23THRUST_200600_302600_NS5tupleIffNS6_9null_typeES8_S8_S8_S8_S8_S8_S8_EELb0EEEZNS1_14transform_implILb0ES3_SA_PS9_NS6_6detail15normal_iteratorINS6_10device_ptrIS9_EEEENS0_8identityIS9_EEEE10hipError_tT2_T3_mT4_P12ihipStream_tbEUlT_E_NS1_11comp_targetILNS1_3genE10ELNS1_11target_archE1200ELNS1_3gpuE4ELNS1_3repE0EEENS1_30default_config_static_selectorELNS0_4arch9wavefront6targetE0EEEvT1_ ; -- Begin function _ZN7rocprim17ROCPRIM_400000_NS6detail17trampoline_kernelINS0_14default_configENS1_25transform_config_selectorIN6thrust23THRUST_200600_302600_NS5tupleIffNS6_9null_typeES8_S8_S8_S8_S8_S8_S8_EELb0EEEZNS1_14transform_implILb0ES3_SA_PS9_NS6_6detail15normal_iteratorINS6_10device_ptrIS9_EEEENS0_8identityIS9_EEEE10hipError_tT2_T3_mT4_P12ihipStream_tbEUlT_E_NS1_11comp_targetILNS1_3genE10ELNS1_11target_archE1200ELNS1_3gpuE4ELNS1_3repE0EEENS1_30default_config_static_selectorELNS0_4arch9wavefront6targetE0EEEvT1_
	.globl	_ZN7rocprim17ROCPRIM_400000_NS6detail17trampoline_kernelINS0_14default_configENS1_25transform_config_selectorIN6thrust23THRUST_200600_302600_NS5tupleIffNS6_9null_typeES8_S8_S8_S8_S8_S8_S8_EELb0EEEZNS1_14transform_implILb0ES3_SA_PS9_NS6_6detail15normal_iteratorINS6_10device_ptrIS9_EEEENS0_8identityIS9_EEEE10hipError_tT2_T3_mT4_P12ihipStream_tbEUlT_E_NS1_11comp_targetILNS1_3genE10ELNS1_11target_archE1200ELNS1_3gpuE4ELNS1_3repE0EEENS1_30default_config_static_selectorELNS0_4arch9wavefront6targetE0EEEvT1_
	.p2align	8
	.type	_ZN7rocprim17ROCPRIM_400000_NS6detail17trampoline_kernelINS0_14default_configENS1_25transform_config_selectorIN6thrust23THRUST_200600_302600_NS5tupleIffNS6_9null_typeES8_S8_S8_S8_S8_S8_S8_EELb0EEEZNS1_14transform_implILb0ES3_SA_PS9_NS6_6detail15normal_iteratorINS6_10device_ptrIS9_EEEENS0_8identityIS9_EEEE10hipError_tT2_T3_mT4_P12ihipStream_tbEUlT_E_NS1_11comp_targetILNS1_3genE10ELNS1_11target_archE1200ELNS1_3gpuE4ELNS1_3repE0EEENS1_30default_config_static_selectorELNS0_4arch9wavefront6targetE0EEEvT1_,@function
_ZN7rocprim17ROCPRIM_400000_NS6detail17trampoline_kernelINS0_14default_configENS1_25transform_config_selectorIN6thrust23THRUST_200600_302600_NS5tupleIffNS6_9null_typeES8_S8_S8_S8_S8_S8_S8_EELb0EEEZNS1_14transform_implILb0ES3_SA_PS9_NS6_6detail15normal_iteratorINS6_10device_ptrIS9_EEEENS0_8identityIS9_EEEE10hipError_tT2_T3_mT4_P12ihipStream_tbEUlT_E_NS1_11comp_targetILNS1_3genE10ELNS1_11target_archE1200ELNS1_3gpuE4ELNS1_3repE0EEENS1_30default_config_static_selectorELNS0_4arch9wavefront6targetE0EEEvT1_: ; @_ZN7rocprim17ROCPRIM_400000_NS6detail17trampoline_kernelINS0_14default_configENS1_25transform_config_selectorIN6thrust23THRUST_200600_302600_NS5tupleIffNS6_9null_typeES8_S8_S8_S8_S8_S8_S8_EELb0EEEZNS1_14transform_implILb0ES3_SA_PS9_NS6_6detail15normal_iteratorINS6_10device_ptrIS9_EEEENS0_8identityIS9_EEEE10hipError_tT2_T3_mT4_P12ihipStream_tbEUlT_E_NS1_11comp_targetILNS1_3genE10ELNS1_11target_archE1200ELNS1_3gpuE4ELNS1_3repE0EEENS1_30default_config_static_selectorELNS0_4arch9wavefront6targetE0EEEvT1_
; %bb.0:
	.section	.rodata,"a",@progbits
	.p2align	6, 0x0
	.amdhsa_kernel _ZN7rocprim17ROCPRIM_400000_NS6detail17trampoline_kernelINS0_14default_configENS1_25transform_config_selectorIN6thrust23THRUST_200600_302600_NS5tupleIffNS6_9null_typeES8_S8_S8_S8_S8_S8_S8_EELb0EEEZNS1_14transform_implILb0ES3_SA_PS9_NS6_6detail15normal_iteratorINS6_10device_ptrIS9_EEEENS0_8identityIS9_EEEE10hipError_tT2_T3_mT4_P12ihipStream_tbEUlT_E_NS1_11comp_targetILNS1_3genE10ELNS1_11target_archE1200ELNS1_3gpuE4ELNS1_3repE0EEENS1_30default_config_static_selectorELNS0_4arch9wavefront6targetE0EEEvT1_
		.amdhsa_group_segment_fixed_size 0
		.amdhsa_private_segment_fixed_size 0
		.amdhsa_kernarg_size 40
		.amdhsa_user_sgpr_count 2
		.amdhsa_user_sgpr_dispatch_ptr 0
		.amdhsa_user_sgpr_queue_ptr 0
		.amdhsa_user_sgpr_kernarg_segment_ptr 1
		.amdhsa_user_sgpr_dispatch_id 0
		.amdhsa_user_sgpr_private_segment_size 0
		.amdhsa_wavefront_size32 1
		.amdhsa_uses_dynamic_stack 0
		.amdhsa_enable_private_segment 0
		.amdhsa_system_sgpr_workgroup_id_x 1
		.amdhsa_system_sgpr_workgroup_id_y 0
		.amdhsa_system_sgpr_workgroup_id_z 0
		.amdhsa_system_sgpr_workgroup_info 0
		.amdhsa_system_vgpr_workitem_id 0
		.amdhsa_next_free_vgpr 1
		.amdhsa_next_free_sgpr 1
		.amdhsa_reserve_vcc 0
		.amdhsa_float_round_mode_32 0
		.amdhsa_float_round_mode_16_64 0
		.amdhsa_float_denorm_mode_32 3
		.amdhsa_float_denorm_mode_16_64 3
		.amdhsa_fp16_overflow 0
		.amdhsa_workgroup_processor_mode 1
		.amdhsa_memory_ordered 1
		.amdhsa_forward_progress 1
		.amdhsa_inst_pref_size 0
		.amdhsa_round_robin_scheduling 0
		.amdhsa_exception_fp_ieee_invalid_op 0
		.amdhsa_exception_fp_denorm_src 0
		.amdhsa_exception_fp_ieee_div_zero 0
		.amdhsa_exception_fp_ieee_overflow 0
		.amdhsa_exception_fp_ieee_underflow 0
		.amdhsa_exception_fp_ieee_inexact 0
		.amdhsa_exception_int_div_zero 0
	.end_amdhsa_kernel
	.section	.text._ZN7rocprim17ROCPRIM_400000_NS6detail17trampoline_kernelINS0_14default_configENS1_25transform_config_selectorIN6thrust23THRUST_200600_302600_NS5tupleIffNS6_9null_typeES8_S8_S8_S8_S8_S8_S8_EELb0EEEZNS1_14transform_implILb0ES3_SA_PS9_NS6_6detail15normal_iteratorINS6_10device_ptrIS9_EEEENS0_8identityIS9_EEEE10hipError_tT2_T3_mT4_P12ihipStream_tbEUlT_E_NS1_11comp_targetILNS1_3genE10ELNS1_11target_archE1200ELNS1_3gpuE4ELNS1_3repE0EEENS1_30default_config_static_selectorELNS0_4arch9wavefront6targetE0EEEvT1_,"axG",@progbits,_ZN7rocprim17ROCPRIM_400000_NS6detail17trampoline_kernelINS0_14default_configENS1_25transform_config_selectorIN6thrust23THRUST_200600_302600_NS5tupleIffNS6_9null_typeES8_S8_S8_S8_S8_S8_S8_EELb0EEEZNS1_14transform_implILb0ES3_SA_PS9_NS6_6detail15normal_iteratorINS6_10device_ptrIS9_EEEENS0_8identityIS9_EEEE10hipError_tT2_T3_mT4_P12ihipStream_tbEUlT_E_NS1_11comp_targetILNS1_3genE10ELNS1_11target_archE1200ELNS1_3gpuE4ELNS1_3repE0EEENS1_30default_config_static_selectorELNS0_4arch9wavefront6targetE0EEEvT1_,comdat
.Lfunc_end88:
	.size	_ZN7rocprim17ROCPRIM_400000_NS6detail17trampoline_kernelINS0_14default_configENS1_25transform_config_selectorIN6thrust23THRUST_200600_302600_NS5tupleIffNS6_9null_typeES8_S8_S8_S8_S8_S8_S8_EELb0EEEZNS1_14transform_implILb0ES3_SA_PS9_NS6_6detail15normal_iteratorINS6_10device_ptrIS9_EEEENS0_8identityIS9_EEEE10hipError_tT2_T3_mT4_P12ihipStream_tbEUlT_E_NS1_11comp_targetILNS1_3genE10ELNS1_11target_archE1200ELNS1_3gpuE4ELNS1_3repE0EEENS1_30default_config_static_selectorELNS0_4arch9wavefront6targetE0EEEvT1_, .Lfunc_end88-_ZN7rocprim17ROCPRIM_400000_NS6detail17trampoline_kernelINS0_14default_configENS1_25transform_config_selectorIN6thrust23THRUST_200600_302600_NS5tupleIffNS6_9null_typeES8_S8_S8_S8_S8_S8_S8_EELb0EEEZNS1_14transform_implILb0ES3_SA_PS9_NS6_6detail15normal_iteratorINS6_10device_ptrIS9_EEEENS0_8identityIS9_EEEE10hipError_tT2_T3_mT4_P12ihipStream_tbEUlT_E_NS1_11comp_targetILNS1_3genE10ELNS1_11target_archE1200ELNS1_3gpuE4ELNS1_3repE0EEENS1_30default_config_static_selectorELNS0_4arch9wavefront6targetE0EEEvT1_
                                        ; -- End function
	.set _ZN7rocprim17ROCPRIM_400000_NS6detail17trampoline_kernelINS0_14default_configENS1_25transform_config_selectorIN6thrust23THRUST_200600_302600_NS5tupleIffNS6_9null_typeES8_S8_S8_S8_S8_S8_S8_EELb0EEEZNS1_14transform_implILb0ES3_SA_PS9_NS6_6detail15normal_iteratorINS6_10device_ptrIS9_EEEENS0_8identityIS9_EEEE10hipError_tT2_T3_mT4_P12ihipStream_tbEUlT_E_NS1_11comp_targetILNS1_3genE10ELNS1_11target_archE1200ELNS1_3gpuE4ELNS1_3repE0EEENS1_30default_config_static_selectorELNS0_4arch9wavefront6targetE0EEEvT1_.num_vgpr, 0
	.set _ZN7rocprim17ROCPRIM_400000_NS6detail17trampoline_kernelINS0_14default_configENS1_25transform_config_selectorIN6thrust23THRUST_200600_302600_NS5tupleIffNS6_9null_typeES8_S8_S8_S8_S8_S8_S8_EELb0EEEZNS1_14transform_implILb0ES3_SA_PS9_NS6_6detail15normal_iteratorINS6_10device_ptrIS9_EEEENS0_8identityIS9_EEEE10hipError_tT2_T3_mT4_P12ihipStream_tbEUlT_E_NS1_11comp_targetILNS1_3genE10ELNS1_11target_archE1200ELNS1_3gpuE4ELNS1_3repE0EEENS1_30default_config_static_selectorELNS0_4arch9wavefront6targetE0EEEvT1_.num_agpr, 0
	.set _ZN7rocprim17ROCPRIM_400000_NS6detail17trampoline_kernelINS0_14default_configENS1_25transform_config_selectorIN6thrust23THRUST_200600_302600_NS5tupleIffNS6_9null_typeES8_S8_S8_S8_S8_S8_S8_EELb0EEEZNS1_14transform_implILb0ES3_SA_PS9_NS6_6detail15normal_iteratorINS6_10device_ptrIS9_EEEENS0_8identityIS9_EEEE10hipError_tT2_T3_mT4_P12ihipStream_tbEUlT_E_NS1_11comp_targetILNS1_3genE10ELNS1_11target_archE1200ELNS1_3gpuE4ELNS1_3repE0EEENS1_30default_config_static_selectorELNS0_4arch9wavefront6targetE0EEEvT1_.numbered_sgpr, 0
	.set _ZN7rocprim17ROCPRIM_400000_NS6detail17trampoline_kernelINS0_14default_configENS1_25transform_config_selectorIN6thrust23THRUST_200600_302600_NS5tupleIffNS6_9null_typeES8_S8_S8_S8_S8_S8_S8_EELb0EEEZNS1_14transform_implILb0ES3_SA_PS9_NS6_6detail15normal_iteratorINS6_10device_ptrIS9_EEEENS0_8identityIS9_EEEE10hipError_tT2_T3_mT4_P12ihipStream_tbEUlT_E_NS1_11comp_targetILNS1_3genE10ELNS1_11target_archE1200ELNS1_3gpuE4ELNS1_3repE0EEENS1_30default_config_static_selectorELNS0_4arch9wavefront6targetE0EEEvT1_.num_named_barrier, 0
	.set _ZN7rocprim17ROCPRIM_400000_NS6detail17trampoline_kernelINS0_14default_configENS1_25transform_config_selectorIN6thrust23THRUST_200600_302600_NS5tupleIffNS6_9null_typeES8_S8_S8_S8_S8_S8_S8_EELb0EEEZNS1_14transform_implILb0ES3_SA_PS9_NS6_6detail15normal_iteratorINS6_10device_ptrIS9_EEEENS0_8identityIS9_EEEE10hipError_tT2_T3_mT4_P12ihipStream_tbEUlT_E_NS1_11comp_targetILNS1_3genE10ELNS1_11target_archE1200ELNS1_3gpuE4ELNS1_3repE0EEENS1_30default_config_static_selectorELNS0_4arch9wavefront6targetE0EEEvT1_.private_seg_size, 0
	.set _ZN7rocprim17ROCPRIM_400000_NS6detail17trampoline_kernelINS0_14default_configENS1_25transform_config_selectorIN6thrust23THRUST_200600_302600_NS5tupleIffNS6_9null_typeES8_S8_S8_S8_S8_S8_S8_EELb0EEEZNS1_14transform_implILb0ES3_SA_PS9_NS6_6detail15normal_iteratorINS6_10device_ptrIS9_EEEENS0_8identityIS9_EEEE10hipError_tT2_T3_mT4_P12ihipStream_tbEUlT_E_NS1_11comp_targetILNS1_3genE10ELNS1_11target_archE1200ELNS1_3gpuE4ELNS1_3repE0EEENS1_30default_config_static_selectorELNS0_4arch9wavefront6targetE0EEEvT1_.uses_vcc, 0
	.set _ZN7rocprim17ROCPRIM_400000_NS6detail17trampoline_kernelINS0_14default_configENS1_25transform_config_selectorIN6thrust23THRUST_200600_302600_NS5tupleIffNS6_9null_typeES8_S8_S8_S8_S8_S8_S8_EELb0EEEZNS1_14transform_implILb0ES3_SA_PS9_NS6_6detail15normal_iteratorINS6_10device_ptrIS9_EEEENS0_8identityIS9_EEEE10hipError_tT2_T3_mT4_P12ihipStream_tbEUlT_E_NS1_11comp_targetILNS1_3genE10ELNS1_11target_archE1200ELNS1_3gpuE4ELNS1_3repE0EEENS1_30default_config_static_selectorELNS0_4arch9wavefront6targetE0EEEvT1_.uses_flat_scratch, 0
	.set _ZN7rocprim17ROCPRIM_400000_NS6detail17trampoline_kernelINS0_14default_configENS1_25transform_config_selectorIN6thrust23THRUST_200600_302600_NS5tupleIffNS6_9null_typeES8_S8_S8_S8_S8_S8_S8_EELb0EEEZNS1_14transform_implILb0ES3_SA_PS9_NS6_6detail15normal_iteratorINS6_10device_ptrIS9_EEEENS0_8identityIS9_EEEE10hipError_tT2_T3_mT4_P12ihipStream_tbEUlT_E_NS1_11comp_targetILNS1_3genE10ELNS1_11target_archE1200ELNS1_3gpuE4ELNS1_3repE0EEENS1_30default_config_static_selectorELNS0_4arch9wavefront6targetE0EEEvT1_.has_dyn_sized_stack, 0
	.set _ZN7rocprim17ROCPRIM_400000_NS6detail17trampoline_kernelINS0_14default_configENS1_25transform_config_selectorIN6thrust23THRUST_200600_302600_NS5tupleIffNS6_9null_typeES8_S8_S8_S8_S8_S8_S8_EELb0EEEZNS1_14transform_implILb0ES3_SA_PS9_NS6_6detail15normal_iteratorINS6_10device_ptrIS9_EEEENS0_8identityIS9_EEEE10hipError_tT2_T3_mT4_P12ihipStream_tbEUlT_E_NS1_11comp_targetILNS1_3genE10ELNS1_11target_archE1200ELNS1_3gpuE4ELNS1_3repE0EEENS1_30default_config_static_selectorELNS0_4arch9wavefront6targetE0EEEvT1_.has_recursion, 0
	.set _ZN7rocprim17ROCPRIM_400000_NS6detail17trampoline_kernelINS0_14default_configENS1_25transform_config_selectorIN6thrust23THRUST_200600_302600_NS5tupleIffNS6_9null_typeES8_S8_S8_S8_S8_S8_S8_EELb0EEEZNS1_14transform_implILb0ES3_SA_PS9_NS6_6detail15normal_iteratorINS6_10device_ptrIS9_EEEENS0_8identityIS9_EEEE10hipError_tT2_T3_mT4_P12ihipStream_tbEUlT_E_NS1_11comp_targetILNS1_3genE10ELNS1_11target_archE1200ELNS1_3gpuE4ELNS1_3repE0EEENS1_30default_config_static_selectorELNS0_4arch9wavefront6targetE0EEEvT1_.has_indirect_call, 0
	.section	.AMDGPU.csdata,"",@progbits
; Kernel info:
; codeLenInByte = 0
; TotalNumSgprs: 0
; NumVgprs: 0
; ScratchSize: 0
; MemoryBound: 0
; FloatMode: 240
; IeeeMode: 1
; LDSByteSize: 0 bytes/workgroup (compile time only)
; SGPRBlocks: 0
; VGPRBlocks: 0
; NumSGPRsForWavesPerEU: 1
; NumVGPRsForWavesPerEU: 1
; Occupancy: 16
; WaveLimiterHint : 0
; COMPUTE_PGM_RSRC2:SCRATCH_EN: 0
; COMPUTE_PGM_RSRC2:USER_SGPR: 2
; COMPUTE_PGM_RSRC2:TRAP_HANDLER: 0
; COMPUTE_PGM_RSRC2:TGID_X_EN: 1
; COMPUTE_PGM_RSRC2:TGID_Y_EN: 0
; COMPUTE_PGM_RSRC2:TGID_Z_EN: 0
; COMPUTE_PGM_RSRC2:TIDIG_COMP_CNT: 0
	.section	.text._ZN7rocprim17ROCPRIM_400000_NS6detail17trampoline_kernelINS0_14default_configENS1_25transform_config_selectorIN6thrust23THRUST_200600_302600_NS5tupleIffNS6_9null_typeES8_S8_S8_S8_S8_S8_S8_EELb0EEEZNS1_14transform_implILb0ES3_SA_PS9_NS6_6detail15normal_iteratorINS6_10device_ptrIS9_EEEENS0_8identityIS9_EEEE10hipError_tT2_T3_mT4_P12ihipStream_tbEUlT_E_NS1_11comp_targetILNS1_3genE9ELNS1_11target_archE1100ELNS1_3gpuE3ELNS1_3repE0EEENS1_30default_config_static_selectorELNS0_4arch9wavefront6targetE0EEEvT1_,"axG",@progbits,_ZN7rocprim17ROCPRIM_400000_NS6detail17trampoline_kernelINS0_14default_configENS1_25transform_config_selectorIN6thrust23THRUST_200600_302600_NS5tupleIffNS6_9null_typeES8_S8_S8_S8_S8_S8_S8_EELb0EEEZNS1_14transform_implILb0ES3_SA_PS9_NS6_6detail15normal_iteratorINS6_10device_ptrIS9_EEEENS0_8identityIS9_EEEE10hipError_tT2_T3_mT4_P12ihipStream_tbEUlT_E_NS1_11comp_targetILNS1_3genE9ELNS1_11target_archE1100ELNS1_3gpuE3ELNS1_3repE0EEENS1_30default_config_static_selectorELNS0_4arch9wavefront6targetE0EEEvT1_,comdat
	.protected	_ZN7rocprim17ROCPRIM_400000_NS6detail17trampoline_kernelINS0_14default_configENS1_25transform_config_selectorIN6thrust23THRUST_200600_302600_NS5tupleIffNS6_9null_typeES8_S8_S8_S8_S8_S8_S8_EELb0EEEZNS1_14transform_implILb0ES3_SA_PS9_NS6_6detail15normal_iteratorINS6_10device_ptrIS9_EEEENS0_8identityIS9_EEEE10hipError_tT2_T3_mT4_P12ihipStream_tbEUlT_E_NS1_11comp_targetILNS1_3genE9ELNS1_11target_archE1100ELNS1_3gpuE3ELNS1_3repE0EEENS1_30default_config_static_selectorELNS0_4arch9wavefront6targetE0EEEvT1_ ; -- Begin function _ZN7rocprim17ROCPRIM_400000_NS6detail17trampoline_kernelINS0_14default_configENS1_25transform_config_selectorIN6thrust23THRUST_200600_302600_NS5tupleIffNS6_9null_typeES8_S8_S8_S8_S8_S8_S8_EELb0EEEZNS1_14transform_implILb0ES3_SA_PS9_NS6_6detail15normal_iteratorINS6_10device_ptrIS9_EEEENS0_8identityIS9_EEEE10hipError_tT2_T3_mT4_P12ihipStream_tbEUlT_E_NS1_11comp_targetILNS1_3genE9ELNS1_11target_archE1100ELNS1_3gpuE3ELNS1_3repE0EEENS1_30default_config_static_selectorELNS0_4arch9wavefront6targetE0EEEvT1_
	.globl	_ZN7rocprim17ROCPRIM_400000_NS6detail17trampoline_kernelINS0_14default_configENS1_25transform_config_selectorIN6thrust23THRUST_200600_302600_NS5tupleIffNS6_9null_typeES8_S8_S8_S8_S8_S8_S8_EELb0EEEZNS1_14transform_implILb0ES3_SA_PS9_NS6_6detail15normal_iteratorINS6_10device_ptrIS9_EEEENS0_8identityIS9_EEEE10hipError_tT2_T3_mT4_P12ihipStream_tbEUlT_E_NS1_11comp_targetILNS1_3genE9ELNS1_11target_archE1100ELNS1_3gpuE3ELNS1_3repE0EEENS1_30default_config_static_selectorELNS0_4arch9wavefront6targetE0EEEvT1_
	.p2align	8
	.type	_ZN7rocprim17ROCPRIM_400000_NS6detail17trampoline_kernelINS0_14default_configENS1_25transform_config_selectorIN6thrust23THRUST_200600_302600_NS5tupleIffNS6_9null_typeES8_S8_S8_S8_S8_S8_S8_EELb0EEEZNS1_14transform_implILb0ES3_SA_PS9_NS6_6detail15normal_iteratorINS6_10device_ptrIS9_EEEENS0_8identityIS9_EEEE10hipError_tT2_T3_mT4_P12ihipStream_tbEUlT_E_NS1_11comp_targetILNS1_3genE9ELNS1_11target_archE1100ELNS1_3gpuE3ELNS1_3repE0EEENS1_30default_config_static_selectorELNS0_4arch9wavefront6targetE0EEEvT1_,@function
_ZN7rocprim17ROCPRIM_400000_NS6detail17trampoline_kernelINS0_14default_configENS1_25transform_config_selectorIN6thrust23THRUST_200600_302600_NS5tupleIffNS6_9null_typeES8_S8_S8_S8_S8_S8_S8_EELb0EEEZNS1_14transform_implILb0ES3_SA_PS9_NS6_6detail15normal_iteratorINS6_10device_ptrIS9_EEEENS0_8identityIS9_EEEE10hipError_tT2_T3_mT4_P12ihipStream_tbEUlT_E_NS1_11comp_targetILNS1_3genE9ELNS1_11target_archE1100ELNS1_3gpuE3ELNS1_3repE0EEENS1_30default_config_static_selectorELNS0_4arch9wavefront6targetE0EEEvT1_: ; @_ZN7rocprim17ROCPRIM_400000_NS6detail17trampoline_kernelINS0_14default_configENS1_25transform_config_selectorIN6thrust23THRUST_200600_302600_NS5tupleIffNS6_9null_typeES8_S8_S8_S8_S8_S8_S8_EELb0EEEZNS1_14transform_implILb0ES3_SA_PS9_NS6_6detail15normal_iteratorINS6_10device_ptrIS9_EEEENS0_8identityIS9_EEEE10hipError_tT2_T3_mT4_P12ihipStream_tbEUlT_E_NS1_11comp_targetILNS1_3genE9ELNS1_11target_archE1100ELNS1_3gpuE3ELNS1_3repE0EEENS1_30default_config_static_selectorELNS0_4arch9wavefront6targetE0EEEvT1_
; %bb.0:
	.section	.rodata,"a",@progbits
	.p2align	6, 0x0
	.amdhsa_kernel _ZN7rocprim17ROCPRIM_400000_NS6detail17trampoline_kernelINS0_14default_configENS1_25transform_config_selectorIN6thrust23THRUST_200600_302600_NS5tupleIffNS6_9null_typeES8_S8_S8_S8_S8_S8_S8_EELb0EEEZNS1_14transform_implILb0ES3_SA_PS9_NS6_6detail15normal_iteratorINS6_10device_ptrIS9_EEEENS0_8identityIS9_EEEE10hipError_tT2_T3_mT4_P12ihipStream_tbEUlT_E_NS1_11comp_targetILNS1_3genE9ELNS1_11target_archE1100ELNS1_3gpuE3ELNS1_3repE0EEENS1_30default_config_static_selectorELNS0_4arch9wavefront6targetE0EEEvT1_
		.amdhsa_group_segment_fixed_size 0
		.amdhsa_private_segment_fixed_size 0
		.amdhsa_kernarg_size 40
		.amdhsa_user_sgpr_count 2
		.amdhsa_user_sgpr_dispatch_ptr 0
		.amdhsa_user_sgpr_queue_ptr 0
		.amdhsa_user_sgpr_kernarg_segment_ptr 1
		.amdhsa_user_sgpr_dispatch_id 0
		.amdhsa_user_sgpr_private_segment_size 0
		.amdhsa_wavefront_size32 1
		.amdhsa_uses_dynamic_stack 0
		.amdhsa_enable_private_segment 0
		.amdhsa_system_sgpr_workgroup_id_x 1
		.amdhsa_system_sgpr_workgroup_id_y 0
		.amdhsa_system_sgpr_workgroup_id_z 0
		.amdhsa_system_sgpr_workgroup_info 0
		.amdhsa_system_vgpr_workitem_id 0
		.amdhsa_next_free_vgpr 1
		.amdhsa_next_free_sgpr 1
		.amdhsa_reserve_vcc 0
		.amdhsa_float_round_mode_32 0
		.amdhsa_float_round_mode_16_64 0
		.amdhsa_float_denorm_mode_32 3
		.amdhsa_float_denorm_mode_16_64 3
		.amdhsa_fp16_overflow 0
		.amdhsa_workgroup_processor_mode 1
		.amdhsa_memory_ordered 1
		.amdhsa_forward_progress 1
		.amdhsa_inst_pref_size 0
		.amdhsa_round_robin_scheduling 0
		.amdhsa_exception_fp_ieee_invalid_op 0
		.amdhsa_exception_fp_denorm_src 0
		.amdhsa_exception_fp_ieee_div_zero 0
		.amdhsa_exception_fp_ieee_overflow 0
		.amdhsa_exception_fp_ieee_underflow 0
		.amdhsa_exception_fp_ieee_inexact 0
		.amdhsa_exception_int_div_zero 0
	.end_amdhsa_kernel
	.section	.text._ZN7rocprim17ROCPRIM_400000_NS6detail17trampoline_kernelINS0_14default_configENS1_25transform_config_selectorIN6thrust23THRUST_200600_302600_NS5tupleIffNS6_9null_typeES8_S8_S8_S8_S8_S8_S8_EELb0EEEZNS1_14transform_implILb0ES3_SA_PS9_NS6_6detail15normal_iteratorINS6_10device_ptrIS9_EEEENS0_8identityIS9_EEEE10hipError_tT2_T3_mT4_P12ihipStream_tbEUlT_E_NS1_11comp_targetILNS1_3genE9ELNS1_11target_archE1100ELNS1_3gpuE3ELNS1_3repE0EEENS1_30default_config_static_selectorELNS0_4arch9wavefront6targetE0EEEvT1_,"axG",@progbits,_ZN7rocprim17ROCPRIM_400000_NS6detail17trampoline_kernelINS0_14default_configENS1_25transform_config_selectorIN6thrust23THRUST_200600_302600_NS5tupleIffNS6_9null_typeES8_S8_S8_S8_S8_S8_S8_EELb0EEEZNS1_14transform_implILb0ES3_SA_PS9_NS6_6detail15normal_iteratorINS6_10device_ptrIS9_EEEENS0_8identityIS9_EEEE10hipError_tT2_T3_mT4_P12ihipStream_tbEUlT_E_NS1_11comp_targetILNS1_3genE9ELNS1_11target_archE1100ELNS1_3gpuE3ELNS1_3repE0EEENS1_30default_config_static_selectorELNS0_4arch9wavefront6targetE0EEEvT1_,comdat
.Lfunc_end89:
	.size	_ZN7rocprim17ROCPRIM_400000_NS6detail17trampoline_kernelINS0_14default_configENS1_25transform_config_selectorIN6thrust23THRUST_200600_302600_NS5tupleIffNS6_9null_typeES8_S8_S8_S8_S8_S8_S8_EELb0EEEZNS1_14transform_implILb0ES3_SA_PS9_NS6_6detail15normal_iteratorINS6_10device_ptrIS9_EEEENS0_8identityIS9_EEEE10hipError_tT2_T3_mT4_P12ihipStream_tbEUlT_E_NS1_11comp_targetILNS1_3genE9ELNS1_11target_archE1100ELNS1_3gpuE3ELNS1_3repE0EEENS1_30default_config_static_selectorELNS0_4arch9wavefront6targetE0EEEvT1_, .Lfunc_end89-_ZN7rocprim17ROCPRIM_400000_NS6detail17trampoline_kernelINS0_14default_configENS1_25transform_config_selectorIN6thrust23THRUST_200600_302600_NS5tupleIffNS6_9null_typeES8_S8_S8_S8_S8_S8_S8_EELb0EEEZNS1_14transform_implILb0ES3_SA_PS9_NS6_6detail15normal_iteratorINS6_10device_ptrIS9_EEEENS0_8identityIS9_EEEE10hipError_tT2_T3_mT4_P12ihipStream_tbEUlT_E_NS1_11comp_targetILNS1_3genE9ELNS1_11target_archE1100ELNS1_3gpuE3ELNS1_3repE0EEENS1_30default_config_static_selectorELNS0_4arch9wavefront6targetE0EEEvT1_
                                        ; -- End function
	.set _ZN7rocprim17ROCPRIM_400000_NS6detail17trampoline_kernelINS0_14default_configENS1_25transform_config_selectorIN6thrust23THRUST_200600_302600_NS5tupleIffNS6_9null_typeES8_S8_S8_S8_S8_S8_S8_EELb0EEEZNS1_14transform_implILb0ES3_SA_PS9_NS6_6detail15normal_iteratorINS6_10device_ptrIS9_EEEENS0_8identityIS9_EEEE10hipError_tT2_T3_mT4_P12ihipStream_tbEUlT_E_NS1_11comp_targetILNS1_3genE9ELNS1_11target_archE1100ELNS1_3gpuE3ELNS1_3repE0EEENS1_30default_config_static_selectorELNS0_4arch9wavefront6targetE0EEEvT1_.num_vgpr, 0
	.set _ZN7rocprim17ROCPRIM_400000_NS6detail17trampoline_kernelINS0_14default_configENS1_25transform_config_selectorIN6thrust23THRUST_200600_302600_NS5tupleIffNS6_9null_typeES8_S8_S8_S8_S8_S8_S8_EELb0EEEZNS1_14transform_implILb0ES3_SA_PS9_NS6_6detail15normal_iteratorINS6_10device_ptrIS9_EEEENS0_8identityIS9_EEEE10hipError_tT2_T3_mT4_P12ihipStream_tbEUlT_E_NS1_11comp_targetILNS1_3genE9ELNS1_11target_archE1100ELNS1_3gpuE3ELNS1_3repE0EEENS1_30default_config_static_selectorELNS0_4arch9wavefront6targetE0EEEvT1_.num_agpr, 0
	.set _ZN7rocprim17ROCPRIM_400000_NS6detail17trampoline_kernelINS0_14default_configENS1_25transform_config_selectorIN6thrust23THRUST_200600_302600_NS5tupleIffNS6_9null_typeES8_S8_S8_S8_S8_S8_S8_EELb0EEEZNS1_14transform_implILb0ES3_SA_PS9_NS6_6detail15normal_iteratorINS6_10device_ptrIS9_EEEENS0_8identityIS9_EEEE10hipError_tT2_T3_mT4_P12ihipStream_tbEUlT_E_NS1_11comp_targetILNS1_3genE9ELNS1_11target_archE1100ELNS1_3gpuE3ELNS1_3repE0EEENS1_30default_config_static_selectorELNS0_4arch9wavefront6targetE0EEEvT1_.numbered_sgpr, 0
	.set _ZN7rocprim17ROCPRIM_400000_NS6detail17trampoline_kernelINS0_14default_configENS1_25transform_config_selectorIN6thrust23THRUST_200600_302600_NS5tupleIffNS6_9null_typeES8_S8_S8_S8_S8_S8_S8_EELb0EEEZNS1_14transform_implILb0ES3_SA_PS9_NS6_6detail15normal_iteratorINS6_10device_ptrIS9_EEEENS0_8identityIS9_EEEE10hipError_tT2_T3_mT4_P12ihipStream_tbEUlT_E_NS1_11comp_targetILNS1_3genE9ELNS1_11target_archE1100ELNS1_3gpuE3ELNS1_3repE0EEENS1_30default_config_static_selectorELNS0_4arch9wavefront6targetE0EEEvT1_.num_named_barrier, 0
	.set _ZN7rocprim17ROCPRIM_400000_NS6detail17trampoline_kernelINS0_14default_configENS1_25transform_config_selectorIN6thrust23THRUST_200600_302600_NS5tupleIffNS6_9null_typeES8_S8_S8_S8_S8_S8_S8_EELb0EEEZNS1_14transform_implILb0ES3_SA_PS9_NS6_6detail15normal_iteratorINS6_10device_ptrIS9_EEEENS0_8identityIS9_EEEE10hipError_tT2_T3_mT4_P12ihipStream_tbEUlT_E_NS1_11comp_targetILNS1_3genE9ELNS1_11target_archE1100ELNS1_3gpuE3ELNS1_3repE0EEENS1_30default_config_static_selectorELNS0_4arch9wavefront6targetE0EEEvT1_.private_seg_size, 0
	.set _ZN7rocprim17ROCPRIM_400000_NS6detail17trampoline_kernelINS0_14default_configENS1_25transform_config_selectorIN6thrust23THRUST_200600_302600_NS5tupleIffNS6_9null_typeES8_S8_S8_S8_S8_S8_S8_EELb0EEEZNS1_14transform_implILb0ES3_SA_PS9_NS6_6detail15normal_iteratorINS6_10device_ptrIS9_EEEENS0_8identityIS9_EEEE10hipError_tT2_T3_mT4_P12ihipStream_tbEUlT_E_NS1_11comp_targetILNS1_3genE9ELNS1_11target_archE1100ELNS1_3gpuE3ELNS1_3repE0EEENS1_30default_config_static_selectorELNS0_4arch9wavefront6targetE0EEEvT1_.uses_vcc, 0
	.set _ZN7rocprim17ROCPRIM_400000_NS6detail17trampoline_kernelINS0_14default_configENS1_25transform_config_selectorIN6thrust23THRUST_200600_302600_NS5tupleIffNS6_9null_typeES8_S8_S8_S8_S8_S8_S8_EELb0EEEZNS1_14transform_implILb0ES3_SA_PS9_NS6_6detail15normal_iteratorINS6_10device_ptrIS9_EEEENS0_8identityIS9_EEEE10hipError_tT2_T3_mT4_P12ihipStream_tbEUlT_E_NS1_11comp_targetILNS1_3genE9ELNS1_11target_archE1100ELNS1_3gpuE3ELNS1_3repE0EEENS1_30default_config_static_selectorELNS0_4arch9wavefront6targetE0EEEvT1_.uses_flat_scratch, 0
	.set _ZN7rocprim17ROCPRIM_400000_NS6detail17trampoline_kernelINS0_14default_configENS1_25transform_config_selectorIN6thrust23THRUST_200600_302600_NS5tupleIffNS6_9null_typeES8_S8_S8_S8_S8_S8_S8_EELb0EEEZNS1_14transform_implILb0ES3_SA_PS9_NS6_6detail15normal_iteratorINS6_10device_ptrIS9_EEEENS0_8identityIS9_EEEE10hipError_tT2_T3_mT4_P12ihipStream_tbEUlT_E_NS1_11comp_targetILNS1_3genE9ELNS1_11target_archE1100ELNS1_3gpuE3ELNS1_3repE0EEENS1_30default_config_static_selectorELNS0_4arch9wavefront6targetE0EEEvT1_.has_dyn_sized_stack, 0
	.set _ZN7rocprim17ROCPRIM_400000_NS6detail17trampoline_kernelINS0_14default_configENS1_25transform_config_selectorIN6thrust23THRUST_200600_302600_NS5tupleIffNS6_9null_typeES8_S8_S8_S8_S8_S8_S8_EELb0EEEZNS1_14transform_implILb0ES3_SA_PS9_NS6_6detail15normal_iteratorINS6_10device_ptrIS9_EEEENS0_8identityIS9_EEEE10hipError_tT2_T3_mT4_P12ihipStream_tbEUlT_E_NS1_11comp_targetILNS1_3genE9ELNS1_11target_archE1100ELNS1_3gpuE3ELNS1_3repE0EEENS1_30default_config_static_selectorELNS0_4arch9wavefront6targetE0EEEvT1_.has_recursion, 0
	.set _ZN7rocprim17ROCPRIM_400000_NS6detail17trampoline_kernelINS0_14default_configENS1_25transform_config_selectorIN6thrust23THRUST_200600_302600_NS5tupleIffNS6_9null_typeES8_S8_S8_S8_S8_S8_S8_EELb0EEEZNS1_14transform_implILb0ES3_SA_PS9_NS6_6detail15normal_iteratorINS6_10device_ptrIS9_EEEENS0_8identityIS9_EEEE10hipError_tT2_T3_mT4_P12ihipStream_tbEUlT_E_NS1_11comp_targetILNS1_3genE9ELNS1_11target_archE1100ELNS1_3gpuE3ELNS1_3repE0EEENS1_30default_config_static_selectorELNS0_4arch9wavefront6targetE0EEEvT1_.has_indirect_call, 0
	.section	.AMDGPU.csdata,"",@progbits
; Kernel info:
; codeLenInByte = 0
; TotalNumSgprs: 0
; NumVgprs: 0
; ScratchSize: 0
; MemoryBound: 0
; FloatMode: 240
; IeeeMode: 1
; LDSByteSize: 0 bytes/workgroup (compile time only)
; SGPRBlocks: 0
; VGPRBlocks: 0
; NumSGPRsForWavesPerEU: 1
; NumVGPRsForWavesPerEU: 1
; Occupancy: 16
; WaveLimiterHint : 0
; COMPUTE_PGM_RSRC2:SCRATCH_EN: 0
; COMPUTE_PGM_RSRC2:USER_SGPR: 2
; COMPUTE_PGM_RSRC2:TRAP_HANDLER: 0
; COMPUTE_PGM_RSRC2:TGID_X_EN: 1
; COMPUTE_PGM_RSRC2:TGID_Y_EN: 0
; COMPUTE_PGM_RSRC2:TGID_Z_EN: 0
; COMPUTE_PGM_RSRC2:TIDIG_COMP_CNT: 0
	.section	.text._ZN7rocprim17ROCPRIM_400000_NS6detail17trampoline_kernelINS0_14default_configENS1_25transform_config_selectorIN6thrust23THRUST_200600_302600_NS5tupleIffNS6_9null_typeES8_S8_S8_S8_S8_S8_S8_EELb0EEEZNS1_14transform_implILb0ES3_SA_PS9_NS6_6detail15normal_iteratorINS6_10device_ptrIS9_EEEENS0_8identityIS9_EEEE10hipError_tT2_T3_mT4_P12ihipStream_tbEUlT_E_NS1_11comp_targetILNS1_3genE8ELNS1_11target_archE1030ELNS1_3gpuE2ELNS1_3repE0EEENS1_30default_config_static_selectorELNS0_4arch9wavefront6targetE0EEEvT1_,"axG",@progbits,_ZN7rocprim17ROCPRIM_400000_NS6detail17trampoline_kernelINS0_14default_configENS1_25transform_config_selectorIN6thrust23THRUST_200600_302600_NS5tupleIffNS6_9null_typeES8_S8_S8_S8_S8_S8_S8_EELb0EEEZNS1_14transform_implILb0ES3_SA_PS9_NS6_6detail15normal_iteratorINS6_10device_ptrIS9_EEEENS0_8identityIS9_EEEE10hipError_tT2_T3_mT4_P12ihipStream_tbEUlT_E_NS1_11comp_targetILNS1_3genE8ELNS1_11target_archE1030ELNS1_3gpuE2ELNS1_3repE0EEENS1_30default_config_static_selectorELNS0_4arch9wavefront6targetE0EEEvT1_,comdat
	.protected	_ZN7rocprim17ROCPRIM_400000_NS6detail17trampoline_kernelINS0_14default_configENS1_25transform_config_selectorIN6thrust23THRUST_200600_302600_NS5tupleIffNS6_9null_typeES8_S8_S8_S8_S8_S8_S8_EELb0EEEZNS1_14transform_implILb0ES3_SA_PS9_NS6_6detail15normal_iteratorINS6_10device_ptrIS9_EEEENS0_8identityIS9_EEEE10hipError_tT2_T3_mT4_P12ihipStream_tbEUlT_E_NS1_11comp_targetILNS1_3genE8ELNS1_11target_archE1030ELNS1_3gpuE2ELNS1_3repE0EEENS1_30default_config_static_selectorELNS0_4arch9wavefront6targetE0EEEvT1_ ; -- Begin function _ZN7rocprim17ROCPRIM_400000_NS6detail17trampoline_kernelINS0_14default_configENS1_25transform_config_selectorIN6thrust23THRUST_200600_302600_NS5tupleIffNS6_9null_typeES8_S8_S8_S8_S8_S8_S8_EELb0EEEZNS1_14transform_implILb0ES3_SA_PS9_NS6_6detail15normal_iteratorINS6_10device_ptrIS9_EEEENS0_8identityIS9_EEEE10hipError_tT2_T3_mT4_P12ihipStream_tbEUlT_E_NS1_11comp_targetILNS1_3genE8ELNS1_11target_archE1030ELNS1_3gpuE2ELNS1_3repE0EEENS1_30default_config_static_selectorELNS0_4arch9wavefront6targetE0EEEvT1_
	.globl	_ZN7rocprim17ROCPRIM_400000_NS6detail17trampoline_kernelINS0_14default_configENS1_25transform_config_selectorIN6thrust23THRUST_200600_302600_NS5tupleIffNS6_9null_typeES8_S8_S8_S8_S8_S8_S8_EELb0EEEZNS1_14transform_implILb0ES3_SA_PS9_NS6_6detail15normal_iteratorINS6_10device_ptrIS9_EEEENS0_8identityIS9_EEEE10hipError_tT2_T3_mT4_P12ihipStream_tbEUlT_E_NS1_11comp_targetILNS1_3genE8ELNS1_11target_archE1030ELNS1_3gpuE2ELNS1_3repE0EEENS1_30default_config_static_selectorELNS0_4arch9wavefront6targetE0EEEvT1_
	.p2align	8
	.type	_ZN7rocprim17ROCPRIM_400000_NS6detail17trampoline_kernelINS0_14default_configENS1_25transform_config_selectorIN6thrust23THRUST_200600_302600_NS5tupleIffNS6_9null_typeES8_S8_S8_S8_S8_S8_S8_EELb0EEEZNS1_14transform_implILb0ES3_SA_PS9_NS6_6detail15normal_iteratorINS6_10device_ptrIS9_EEEENS0_8identityIS9_EEEE10hipError_tT2_T3_mT4_P12ihipStream_tbEUlT_E_NS1_11comp_targetILNS1_3genE8ELNS1_11target_archE1030ELNS1_3gpuE2ELNS1_3repE0EEENS1_30default_config_static_selectorELNS0_4arch9wavefront6targetE0EEEvT1_,@function
_ZN7rocprim17ROCPRIM_400000_NS6detail17trampoline_kernelINS0_14default_configENS1_25transform_config_selectorIN6thrust23THRUST_200600_302600_NS5tupleIffNS6_9null_typeES8_S8_S8_S8_S8_S8_S8_EELb0EEEZNS1_14transform_implILb0ES3_SA_PS9_NS6_6detail15normal_iteratorINS6_10device_ptrIS9_EEEENS0_8identityIS9_EEEE10hipError_tT2_T3_mT4_P12ihipStream_tbEUlT_E_NS1_11comp_targetILNS1_3genE8ELNS1_11target_archE1030ELNS1_3gpuE2ELNS1_3repE0EEENS1_30default_config_static_selectorELNS0_4arch9wavefront6targetE0EEEvT1_: ; @_ZN7rocprim17ROCPRIM_400000_NS6detail17trampoline_kernelINS0_14default_configENS1_25transform_config_selectorIN6thrust23THRUST_200600_302600_NS5tupleIffNS6_9null_typeES8_S8_S8_S8_S8_S8_S8_EELb0EEEZNS1_14transform_implILb0ES3_SA_PS9_NS6_6detail15normal_iteratorINS6_10device_ptrIS9_EEEENS0_8identityIS9_EEEE10hipError_tT2_T3_mT4_P12ihipStream_tbEUlT_E_NS1_11comp_targetILNS1_3genE8ELNS1_11target_archE1030ELNS1_3gpuE2ELNS1_3repE0EEENS1_30default_config_static_selectorELNS0_4arch9wavefront6targetE0EEEvT1_
; %bb.0:
	.section	.rodata,"a",@progbits
	.p2align	6, 0x0
	.amdhsa_kernel _ZN7rocprim17ROCPRIM_400000_NS6detail17trampoline_kernelINS0_14default_configENS1_25transform_config_selectorIN6thrust23THRUST_200600_302600_NS5tupleIffNS6_9null_typeES8_S8_S8_S8_S8_S8_S8_EELb0EEEZNS1_14transform_implILb0ES3_SA_PS9_NS6_6detail15normal_iteratorINS6_10device_ptrIS9_EEEENS0_8identityIS9_EEEE10hipError_tT2_T3_mT4_P12ihipStream_tbEUlT_E_NS1_11comp_targetILNS1_3genE8ELNS1_11target_archE1030ELNS1_3gpuE2ELNS1_3repE0EEENS1_30default_config_static_selectorELNS0_4arch9wavefront6targetE0EEEvT1_
		.amdhsa_group_segment_fixed_size 0
		.amdhsa_private_segment_fixed_size 0
		.amdhsa_kernarg_size 40
		.amdhsa_user_sgpr_count 2
		.amdhsa_user_sgpr_dispatch_ptr 0
		.amdhsa_user_sgpr_queue_ptr 0
		.amdhsa_user_sgpr_kernarg_segment_ptr 1
		.amdhsa_user_sgpr_dispatch_id 0
		.amdhsa_user_sgpr_private_segment_size 0
		.amdhsa_wavefront_size32 1
		.amdhsa_uses_dynamic_stack 0
		.amdhsa_enable_private_segment 0
		.amdhsa_system_sgpr_workgroup_id_x 1
		.amdhsa_system_sgpr_workgroup_id_y 0
		.amdhsa_system_sgpr_workgroup_id_z 0
		.amdhsa_system_sgpr_workgroup_info 0
		.amdhsa_system_vgpr_workitem_id 0
		.amdhsa_next_free_vgpr 1
		.amdhsa_next_free_sgpr 1
		.amdhsa_reserve_vcc 0
		.amdhsa_float_round_mode_32 0
		.amdhsa_float_round_mode_16_64 0
		.amdhsa_float_denorm_mode_32 3
		.amdhsa_float_denorm_mode_16_64 3
		.amdhsa_fp16_overflow 0
		.amdhsa_workgroup_processor_mode 1
		.amdhsa_memory_ordered 1
		.amdhsa_forward_progress 1
		.amdhsa_inst_pref_size 0
		.amdhsa_round_robin_scheduling 0
		.amdhsa_exception_fp_ieee_invalid_op 0
		.amdhsa_exception_fp_denorm_src 0
		.amdhsa_exception_fp_ieee_div_zero 0
		.amdhsa_exception_fp_ieee_overflow 0
		.amdhsa_exception_fp_ieee_underflow 0
		.amdhsa_exception_fp_ieee_inexact 0
		.amdhsa_exception_int_div_zero 0
	.end_amdhsa_kernel
	.section	.text._ZN7rocprim17ROCPRIM_400000_NS6detail17trampoline_kernelINS0_14default_configENS1_25transform_config_selectorIN6thrust23THRUST_200600_302600_NS5tupleIffNS6_9null_typeES8_S8_S8_S8_S8_S8_S8_EELb0EEEZNS1_14transform_implILb0ES3_SA_PS9_NS6_6detail15normal_iteratorINS6_10device_ptrIS9_EEEENS0_8identityIS9_EEEE10hipError_tT2_T3_mT4_P12ihipStream_tbEUlT_E_NS1_11comp_targetILNS1_3genE8ELNS1_11target_archE1030ELNS1_3gpuE2ELNS1_3repE0EEENS1_30default_config_static_selectorELNS0_4arch9wavefront6targetE0EEEvT1_,"axG",@progbits,_ZN7rocprim17ROCPRIM_400000_NS6detail17trampoline_kernelINS0_14default_configENS1_25transform_config_selectorIN6thrust23THRUST_200600_302600_NS5tupleIffNS6_9null_typeES8_S8_S8_S8_S8_S8_S8_EELb0EEEZNS1_14transform_implILb0ES3_SA_PS9_NS6_6detail15normal_iteratorINS6_10device_ptrIS9_EEEENS0_8identityIS9_EEEE10hipError_tT2_T3_mT4_P12ihipStream_tbEUlT_E_NS1_11comp_targetILNS1_3genE8ELNS1_11target_archE1030ELNS1_3gpuE2ELNS1_3repE0EEENS1_30default_config_static_selectorELNS0_4arch9wavefront6targetE0EEEvT1_,comdat
.Lfunc_end90:
	.size	_ZN7rocprim17ROCPRIM_400000_NS6detail17trampoline_kernelINS0_14default_configENS1_25transform_config_selectorIN6thrust23THRUST_200600_302600_NS5tupleIffNS6_9null_typeES8_S8_S8_S8_S8_S8_S8_EELb0EEEZNS1_14transform_implILb0ES3_SA_PS9_NS6_6detail15normal_iteratorINS6_10device_ptrIS9_EEEENS0_8identityIS9_EEEE10hipError_tT2_T3_mT4_P12ihipStream_tbEUlT_E_NS1_11comp_targetILNS1_3genE8ELNS1_11target_archE1030ELNS1_3gpuE2ELNS1_3repE0EEENS1_30default_config_static_selectorELNS0_4arch9wavefront6targetE0EEEvT1_, .Lfunc_end90-_ZN7rocprim17ROCPRIM_400000_NS6detail17trampoline_kernelINS0_14default_configENS1_25transform_config_selectorIN6thrust23THRUST_200600_302600_NS5tupleIffNS6_9null_typeES8_S8_S8_S8_S8_S8_S8_EELb0EEEZNS1_14transform_implILb0ES3_SA_PS9_NS6_6detail15normal_iteratorINS6_10device_ptrIS9_EEEENS0_8identityIS9_EEEE10hipError_tT2_T3_mT4_P12ihipStream_tbEUlT_E_NS1_11comp_targetILNS1_3genE8ELNS1_11target_archE1030ELNS1_3gpuE2ELNS1_3repE0EEENS1_30default_config_static_selectorELNS0_4arch9wavefront6targetE0EEEvT1_
                                        ; -- End function
	.set _ZN7rocprim17ROCPRIM_400000_NS6detail17trampoline_kernelINS0_14default_configENS1_25transform_config_selectorIN6thrust23THRUST_200600_302600_NS5tupleIffNS6_9null_typeES8_S8_S8_S8_S8_S8_S8_EELb0EEEZNS1_14transform_implILb0ES3_SA_PS9_NS6_6detail15normal_iteratorINS6_10device_ptrIS9_EEEENS0_8identityIS9_EEEE10hipError_tT2_T3_mT4_P12ihipStream_tbEUlT_E_NS1_11comp_targetILNS1_3genE8ELNS1_11target_archE1030ELNS1_3gpuE2ELNS1_3repE0EEENS1_30default_config_static_selectorELNS0_4arch9wavefront6targetE0EEEvT1_.num_vgpr, 0
	.set _ZN7rocprim17ROCPRIM_400000_NS6detail17trampoline_kernelINS0_14default_configENS1_25transform_config_selectorIN6thrust23THRUST_200600_302600_NS5tupleIffNS6_9null_typeES8_S8_S8_S8_S8_S8_S8_EELb0EEEZNS1_14transform_implILb0ES3_SA_PS9_NS6_6detail15normal_iteratorINS6_10device_ptrIS9_EEEENS0_8identityIS9_EEEE10hipError_tT2_T3_mT4_P12ihipStream_tbEUlT_E_NS1_11comp_targetILNS1_3genE8ELNS1_11target_archE1030ELNS1_3gpuE2ELNS1_3repE0EEENS1_30default_config_static_selectorELNS0_4arch9wavefront6targetE0EEEvT1_.num_agpr, 0
	.set _ZN7rocprim17ROCPRIM_400000_NS6detail17trampoline_kernelINS0_14default_configENS1_25transform_config_selectorIN6thrust23THRUST_200600_302600_NS5tupleIffNS6_9null_typeES8_S8_S8_S8_S8_S8_S8_EELb0EEEZNS1_14transform_implILb0ES3_SA_PS9_NS6_6detail15normal_iteratorINS6_10device_ptrIS9_EEEENS0_8identityIS9_EEEE10hipError_tT2_T3_mT4_P12ihipStream_tbEUlT_E_NS1_11comp_targetILNS1_3genE8ELNS1_11target_archE1030ELNS1_3gpuE2ELNS1_3repE0EEENS1_30default_config_static_selectorELNS0_4arch9wavefront6targetE0EEEvT1_.numbered_sgpr, 0
	.set _ZN7rocprim17ROCPRIM_400000_NS6detail17trampoline_kernelINS0_14default_configENS1_25transform_config_selectorIN6thrust23THRUST_200600_302600_NS5tupleIffNS6_9null_typeES8_S8_S8_S8_S8_S8_S8_EELb0EEEZNS1_14transform_implILb0ES3_SA_PS9_NS6_6detail15normal_iteratorINS6_10device_ptrIS9_EEEENS0_8identityIS9_EEEE10hipError_tT2_T3_mT4_P12ihipStream_tbEUlT_E_NS1_11comp_targetILNS1_3genE8ELNS1_11target_archE1030ELNS1_3gpuE2ELNS1_3repE0EEENS1_30default_config_static_selectorELNS0_4arch9wavefront6targetE0EEEvT1_.num_named_barrier, 0
	.set _ZN7rocprim17ROCPRIM_400000_NS6detail17trampoline_kernelINS0_14default_configENS1_25transform_config_selectorIN6thrust23THRUST_200600_302600_NS5tupleIffNS6_9null_typeES8_S8_S8_S8_S8_S8_S8_EELb0EEEZNS1_14transform_implILb0ES3_SA_PS9_NS6_6detail15normal_iteratorINS6_10device_ptrIS9_EEEENS0_8identityIS9_EEEE10hipError_tT2_T3_mT4_P12ihipStream_tbEUlT_E_NS1_11comp_targetILNS1_3genE8ELNS1_11target_archE1030ELNS1_3gpuE2ELNS1_3repE0EEENS1_30default_config_static_selectorELNS0_4arch9wavefront6targetE0EEEvT1_.private_seg_size, 0
	.set _ZN7rocprim17ROCPRIM_400000_NS6detail17trampoline_kernelINS0_14default_configENS1_25transform_config_selectorIN6thrust23THRUST_200600_302600_NS5tupleIffNS6_9null_typeES8_S8_S8_S8_S8_S8_S8_EELb0EEEZNS1_14transform_implILb0ES3_SA_PS9_NS6_6detail15normal_iteratorINS6_10device_ptrIS9_EEEENS0_8identityIS9_EEEE10hipError_tT2_T3_mT4_P12ihipStream_tbEUlT_E_NS1_11comp_targetILNS1_3genE8ELNS1_11target_archE1030ELNS1_3gpuE2ELNS1_3repE0EEENS1_30default_config_static_selectorELNS0_4arch9wavefront6targetE0EEEvT1_.uses_vcc, 0
	.set _ZN7rocprim17ROCPRIM_400000_NS6detail17trampoline_kernelINS0_14default_configENS1_25transform_config_selectorIN6thrust23THRUST_200600_302600_NS5tupleIffNS6_9null_typeES8_S8_S8_S8_S8_S8_S8_EELb0EEEZNS1_14transform_implILb0ES3_SA_PS9_NS6_6detail15normal_iteratorINS6_10device_ptrIS9_EEEENS0_8identityIS9_EEEE10hipError_tT2_T3_mT4_P12ihipStream_tbEUlT_E_NS1_11comp_targetILNS1_3genE8ELNS1_11target_archE1030ELNS1_3gpuE2ELNS1_3repE0EEENS1_30default_config_static_selectorELNS0_4arch9wavefront6targetE0EEEvT1_.uses_flat_scratch, 0
	.set _ZN7rocprim17ROCPRIM_400000_NS6detail17trampoline_kernelINS0_14default_configENS1_25transform_config_selectorIN6thrust23THRUST_200600_302600_NS5tupleIffNS6_9null_typeES8_S8_S8_S8_S8_S8_S8_EELb0EEEZNS1_14transform_implILb0ES3_SA_PS9_NS6_6detail15normal_iteratorINS6_10device_ptrIS9_EEEENS0_8identityIS9_EEEE10hipError_tT2_T3_mT4_P12ihipStream_tbEUlT_E_NS1_11comp_targetILNS1_3genE8ELNS1_11target_archE1030ELNS1_3gpuE2ELNS1_3repE0EEENS1_30default_config_static_selectorELNS0_4arch9wavefront6targetE0EEEvT1_.has_dyn_sized_stack, 0
	.set _ZN7rocprim17ROCPRIM_400000_NS6detail17trampoline_kernelINS0_14default_configENS1_25transform_config_selectorIN6thrust23THRUST_200600_302600_NS5tupleIffNS6_9null_typeES8_S8_S8_S8_S8_S8_S8_EELb0EEEZNS1_14transform_implILb0ES3_SA_PS9_NS6_6detail15normal_iteratorINS6_10device_ptrIS9_EEEENS0_8identityIS9_EEEE10hipError_tT2_T3_mT4_P12ihipStream_tbEUlT_E_NS1_11comp_targetILNS1_3genE8ELNS1_11target_archE1030ELNS1_3gpuE2ELNS1_3repE0EEENS1_30default_config_static_selectorELNS0_4arch9wavefront6targetE0EEEvT1_.has_recursion, 0
	.set _ZN7rocprim17ROCPRIM_400000_NS6detail17trampoline_kernelINS0_14default_configENS1_25transform_config_selectorIN6thrust23THRUST_200600_302600_NS5tupleIffNS6_9null_typeES8_S8_S8_S8_S8_S8_S8_EELb0EEEZNS1_14transform_implILb0ES3_SA_PS9_NS6_6detail15normal_iteratorINS6_10device_ptrIS9_EEEENS0_8identityIS9_EEEE10hipError_tT2_T3_mT4_P12ihipStream_tbEUlT_E_NS1_11comp_targetILNS1_3genE8ELNS1_11target_archE1030ELNS1_3gpuE2ELNS1_3repE0EEENS1_30default_config_static_selectorELNS0_4arch9wavefront6targetE0EEEvT1_.has_indirect_call, 0
	.section	.AMDGPU.csdata,"",@progbits
; Kernel info:
; codeLenInByte = 0
; TotalNumSgprs: 0
; NumVgprs: 0
; ScratchSize: 0
; MemoryBound: 0
; FloatMode: 240
; IeeeMode: 1
; LDSByteSize: 0 bytes/workgroup (compile time only)
; SGPRBlocks: 0
; VGPRBlocks: 0
; NumSGPRsForWavesPerEU: 1
; NumVGPRsForWavesPerEU: 1
; Occupancy: 16
; WaveLimiterHint : 0
; COMPUTE_PGM_RSRC2:SCRATCH_EN: 0
; COMPUTE_PGM_RSRC2:USER_SGPR: 2
; COMPUTE_PGM_RSRC2:TRAP_HANDLER: 0
; COMPUTE_PGM_RSRC2:TGID_X_EN: 1
; COMPUTE_PGM_RSRC2:TGID_Y_EN: 0
; COMPUTE_PGM_RSRC2:TGID_Z_EN: 0
; COMPUTE_PGM_RSRC2:TIDIG_COMP_CNT: 0
	.section	.text._ZN7rocprim17ROCPRIM_400000_NS6detail17trampoline_kernelINS0_14default_configENS1_38merge_sort_block_merge_config_selectorIjN6thrust23THRUST_200600_302600_NS5tupleIffNS6_9null_typeES8_S8_S8_S8_S8_S8_S8_EEEEZZNS1_27merge_sort_block_merge_implIS3_NS6_6detail15normal_iteratorINS6_10device_ptrIjEEEENSD_INSE_IS9_EEEEjNS1_19radix_merge_compareILb0ELb1EjNS0_19identity_decomposerEEEEE10hipError_tT0_T1_T2_jT3_P12ihipStream_tbPNSt15iterator_traitsISN_E10value_typeEPNST_ISO_E10value_typeEPSP_NS1_7vsmem_tEENKUlT_SN_SO_SP_E_clIPjSG_PS9_SI_EESM_S12_SN_SO_SP_EUlS12_E_NS1_11comp_targetILNS1_3genE0ELNS1_11target_archE4294967295ELNS1_3gpuE0ELNS1_3repE0EEENS1_48merge_mergepath_partition_config_static_selectorELNS0_4arch9wavefront6targetE0EEEvSO_,"axG",@progbits,_ZN7rocprim17ROCPRIM_400000_NS6detail17trampoline_kernelINS0_14default_configENS1_38merge_sort_block_merge_config_selectorIjN6thrust23THRUST_200600_302600_NS5tupleIffNS6_9null_typeES8_S8_S8_S8_S8_S8_S8_EEEEZZNS1_27merge_sort_block_merge_implIS3_NS6_6detail15normal_iteratorINS6_10device_ptrIjEEEENSD_INSE_IS9_EEEEjNS1_19radix_merge_compareILb0ELb1EjNS0_19identity_decomposerEEEEE10hipError_tT0_T1_T2_jT3_P12ihipStream_tbPNSt15iterator_traitsISN_E10value_typeEPNST_ISO_E10value_typeEPSP_NS1_7vsmem_tEENKUlT_SN_SO_SP_E_clIPjSG_PS9_SI_EESM_S12_SN_SO_SP_EUlS12_E_NS1_11comp_targetILNS1_3genE0ELNS1_11target_archE4294967295ELNS1_3gpuE0ELNS1_3repE0EEENS1_48merge_mergepath_partition_config_static_selectorELNS0_4arch9wavefront6targetE0EEEvSO_,comdat
	.protected	_ZN7rocprim17ROCPRIM_400000_NS6detail17trampoline_kernelINS0_14default_configENS1_38merge_sort_block_merge_config_selectorIjN6thrust23THRUST_200600_302600_NS5tupleIffNS6_9null_typeES8_S8_S8_S8_S8_S8_S8_EEEEZZNS1_27merge_sort_block_merge_implIS3_NS6_6detail15normal_iteratorINS6_10device_ptrIjEEEENSD_INSE_IS9_EEEEjNS1_19radix_merge_compareILb0ELb1EjNS0_19identity_decomposerEEEEE10hipError_tT0_T1_T2_jT3_P12ihipStream_tbPNSt15iterator_traitsISN_E10value_typeEPNST_ISO_E10value_typeEPSP_NS1_7vsmem_tEENKUlT_SN_SO_SP_E_clIPjSG_PS9_SI_EESM_S12_SN_SO_SP_EUlS12_E_NS1_11comp_targetILNS1_3genE0ELNS1_11target_archE4294967295ELNS1_3gpuE0ELNS1_3repE0EEENS1_48merge_mergepath_partition_config_static_selectorELNS0_4arch9wavefront6targetE0EEEvSO_ ; -- Begin function _ZN7rocprim17ROCPRIM_400000_NS6detail17trampoline_kernelINS0_14default_configENS1_38merge_sort_block_merge_config_selectorIjN6thrust23THRUST_200600_302600_NS5tupleIffNS6_9null_typeES8_S8_S8_S8_S8_S8_S8_EEEEZZNS1_27merge_sort_block_merge_implIS3_NS6_6detail15normal_iteratorINS6_10device_ptrIjEEEENSD_INSE_IS9_EEEEjNS1_19radix_merge_compareILb0ELb1EjNS0_19identity_decomposerEEEEE10hipError_tT0_T1_T2_jT3_P12ihipStream_tbPNSt15iterator_traitsISN_E10value_typeEPNST_ISO_E10value_typeEPSP_NS1_7vsmem_tEENKUlT_SN_SO_SP_E_clIPjSG_PS9_SI_EESM_S12_SN_SO_SP_EUlS12_E_NS1_11comp_targetILNS1_3genE0ELNS1_11target_archE4294967295ELNS1_3gpuE0ELNS1_3repE0EEENS1_48merge_mergepath_partition_config_static_selectorELNS0_4arch9wavefront6targetE0EEEvSO_
	.globl	_ZN7rocprim17ROCPRIM_400000_NS6detail17trampoline_kernelINS0_14default_configENS1_38merge_sort_block_merge_config_selectorIjN6thrust23THRUST_200600_302600_NS5tupleIffNS6_9null_typeES8_S8_S8_S8_S8_S8_S8_EEEEZZNS1_27merge_sort_block_merge_implIS3_NS6_6detail15normal_iteratorINS6_10device_ptrIjEEEENSD_INSE_IS9_EEEEjNS1_19radix_merge_compareILb0ELb1EjNS0_19identity_decomposerEEEEE10hipError_tT0_T1_T2_jT3_P12ihipStream_tbPNSt15iterator_traitsISN_E10value_typeEPNST_ISO_E10value_typeEPSP_NS1_7vsmem_tEENKUlT_SN_SO_SP_E_clIPjSG_PS9_SI_EESM_S12_SN_SO_SP_EUlS12_E_NS1_11comp_targetILNS1_3genE0ELNS1_11target_archE4294967295ELNS1_3gpuE0ELNS1_3repE0EEENS1_48merge_mergepath_partition_config_static_selectorELNS0_4arch9wavefront6targetE0EEEvSO_
	.p2align	8
	.type	_ZN7rocprim17ROCPRIM_400000_NS6detail17trampoline_kernelINS0_14default_configENS1_38merge_sort_block_merge_config_selectorIjN6thrust23THRUST_200600_302600_NS5tupleIffNS6_9null_typeES8_S8_S8_S8_S8_S8_S8_EEEEZZNS1_27merge_sort_block_merge_implIS3_NS6_6detail15normal_iteratorINS6_10device_ptrIjEEEENSD_INSE_IS9_EEEEjNS1_19radix_merge_compareILb0ELb1EjNS0_19identity_decomposerEEEEE10hipError_tT0_T1_T2_jT3_P12ihipStream_tbPNSt15iterator_traitsISN_E10value_typeEPNST_ISO_E10value_typeEPSP_NS1_7vsmem_tEENKUlT_SN_SO_SP_E_clIPjSG_PS9_SI_EESM_S12_SN_SO_SP_EUlS12_E_NS1_11comp_targetILNS1_3genE0ELNS1_11target_archE4294967295ELNS1_3gpuE0ELNS1_3repE0EEENS1_48merge_mergepath_partition_config_static_selectorELNS0_4arch9wavefront6targetE0EEEvSO_,@function
_ZN7rocprim17ROCPRIM_400000_NS6detail17trampoline_kernelINS0_14default_configENS1_38merge_sort_block_merge_config_selectorIjN6thrust23THRUST_200600_302600_NS5tupleIffNS6_9null_typeES8_S8_S8_S8_S8_S8_S8_EEEEZZNS1_27merge_sort_block_merge_implIS3_NS6_6detail15normal_iteratorINS6_10device_ptrIjEEEENSD_INSE_IS9_EEEEjNS1_19radix_merge_compareILb0ELb1EjNS0_19identity_decomposerEEEEE10hipError_tT0_T1_T2_jT3_P12ihipStream_tbPNSt15iterator_traitsISN_E10value_typeEPNST_ISO_E10value_typeEPSP_NS1_7vsmem_tEENKUlT_SN_SO_SP_E_clIPjSG_PS9_SI_EESM_S12_SN_SO_SP_EUlS12_E_NS1_11comp_targetILNS1_3genE0ELNS1_11target_archE4294967295ELNS1_3gpuE0ELNS1_3repE0EEENS1_48merge_mergepath_partition_config_static_selectorELNS0_4arch9wavefront6targetE0EEEvSO_: ; @_ZN7rocprim17ROCPRIM_400000_NS6detail17trampoline_kernelINS0_14default_configENS1_38merge_sort_block_merge_config_selectorIjN6thrust23THRUST_200600_302600_NS5tupleIffNS6_9null_typeES8_S8_S8_S8_S8_S8_S8_EEEEZZNS1_27merge_sort_block_merge_implIS3_NS6_6detail15normal_iteratorINS6_10device_ptrIjEEEENSD_INSE_IS9_EEEEjNS1_19radix_merge_compareILb0ELb1EjNS0_19identity_decomposerEEEEE10hipError_tT0_T1_T2_jT3_P12ihipStream_tbPNSt15iterator_traitsISN_E10value_typeEPNST_ISO_E10value_typeEPSP_NS1_7vsmem_tEENKUlT_SN_SO_SP_E_clIPjSG_PS9_SI_EESM_S12_SN_SO_SP_EUlS12_E_NS1_11comp_targetILNS1_3genE0ELNS1_11target_archE4294967295ELNS1_3gpuE0ELNS1_3repE0EEENS1_48merge_mergepath_partition_config_static_selectorELNS0_4arch9wavefront6targetE0EEEvSO_
; %bb.0:
	.section	.rodata,"a",@progbits
	.p2align	6, 0x0
	.amdhsa_kernel _ZN7rocprim17ROCPRIM_400000_NS6detail17trampoline_kernelINS0_14default_configENS1_38merge_sort_block_merge_config_selectorIjN6thrust23THRUST_200600_302600_NS5tupleIffNS6_9null_typeES8_S8_S8_S8_S8_S8_S8_EEEEZZNS1_27merge_sort_block_merge_implIS3_NS6_6detail15normal_iteratorINS6_10device_ptrIjEEEENSD_INSE_IS9_EEEEjNS1_19radix_merge_compareILb0ELb1EjNS0_19identity_decomposerEEEEE10hipError_tT0_T1_T2_jT3_P12ihipStream_tbPNSt15iterator_traitsISN_E10value_typeEPNST_ISO_E10value_typeEPSP_NS1_7vsmem_tEENKUlT_SN_SO_SP_E_clIPjSG_PS9_SI_EESM_S12_SN_SO_SP_EUlS12_E_NS1_11comp_targetILNS1_3genE0ELNS1_11target_archE4294967295ELNS1_3gpuE0ELNS1_3repE0EEENS1_48merge_mergepath_partition_config_static_selectorELNS0_4arch9wavefront6targetE0EEEvSO_
		.amdhsa_group_segment_fixed_size 0
		.amdhsa_private_segment_fixed_size 0
		.amdhsa_kernarg_size 40
		.amdhsa_user_sgpr_count 2
		.amdhsa_user_sgpr_dispatch_ptr 0
		.amdhsa_user_sgpr_queue_ptr 0
		.amdhsa_user_sgpr_kernarg_segment_ptr 1
		.amdhsa_user_sgpr_dispatch_id 0
		.amdhsa_user_sgpr_private_segment_size 0
		.amdhsa_wavefront_size32 1
		.amdhsa_uses_dynamic_stack 0
		.amdhsa_enable_private_segment 0
		.amdhsa_system_sgpr_workgroup_id_x 1
		.amdhsa_system_sgpr_workgroup_id_y 0
		.amdhsa_system_sgpr_workgroup_id_z 0
		.amdhsa_system_sgpr_workgroup_info 0
		.amdhsa_system_vgpr_workitem_id 0
		.amdhsa_next_free_vgpr 1
		.amdhsa_next_free_sgpr 1
		.amdhsa_reserve_vcc 0
		.amdhsa_float_round_mode_32 0
		.amdhsa_float_round_mode_16_64 0
		.amdhsa_float_denorm_mode_32 3
		.amdhsa_float_denorm_mode_16_64 3
		.amdhsa_fp16_overflow 0
		.amdhsa_workgroup_processor_mode 1
		.amdhsa_memory_ordered 1
		.amdhsa_forward_progress 1
		.amdhsa_inst_pref_size 0
		.amdhsa_round_robin_scheduling 0
		.amdhsa_exception_fp_ieee_invalid_op 0
		.amdhsa_exception_fp_denorm_src 0
		.amdhsa_exception_fp_ieee_div_zero 0
		.amdhsa_exception_fp_ieee_overflow 0
		.amdhsa_exception_fp_ieee_underflow 0
		.amdhsa_exception_fp_ieee_inexact 0
		.amdhsa_exception_int_div_zero 0
	.end_amdhsa_kernel
	.section	.text._ZN7rocprim17ROCPRIM_400000_NS6detail17trampoline_kernelINS0_14default_configENS1_38merge_sort_block_merge_config_selectorIjN6thrust23THRUST_200600_302600_NS5tupleIffNS6_9null_typeES8_S8_S8_S8_S8_S8_S8_EEEEZZNS1_27merge_sort_block_merge_implIS3_NS6_6detail15normal_iteratorINS6_10device_ptrIjEEEENSD_INSE_IS9_EEEEjNS1_19radix_merge_compareILb0ELb1EjNS0_19identity_decomposerEEEEE10hipError_tT0_T1_T2_jT3_P12ihipStream_tbPNSt15iterator_traitsISN_E10value_typeEPNST_ISO_E10value_typeEPSP_NS1_7vsmem_tEENKUlT_SN_SO_SP_E_clIPjSG_PS9_SI_EESM_S12_SN_SO_SP_EUlS12_E_NS1_11comp_targetILNS1_3genE0ELNS1_11target_archE4294967295ELNS1_3gpuE0ELNS1_3repE0EEENS1_48merge_mergepath_partition_config_static_selectorELNS0_4arch9wavefront6targetE0EEEvSO_,"axG",@progbits,_ZN7rocprim17ROCPRIM_400000_NS6detail17trampoline_kernelINS0_14default_configENS1_38merge_sort_block_merge_config_selectorIjN6thrust23THRUST_200600_302600_NS5tupleIffNS6_9null_typeES8_S8_S8_S8_S8_S8_S8_EEEEZZNS1_27merge_sort_block_merge_implIS3_NS6_6detail15normal_iteratorINS6_10device_ptrIjEEEENSD_INSE_IS9_EEEEjNS1_19radix_merge_compareILb0ELb1EjNS0_19identity_decomposerEEEEE10hipError_tT0_T1_T2_jT3_P12ihipStream_tbPNSt15iterator_traitsISN_E10value_typeEPNST_ISO_E10value_typeEPSP_NS1_7vsmem_tEENKUlT_SN_SO_SP_E_clIPjSG_PS9_SI_EESM_S12_SN_SO_SP_EUlS12_E_NS1_11comp_targetILNS1_3genE0ELNS1_11target_archE4294967295ELNS1_3gpuE0ELNS1_3repE0EEENS1_48merge_mergepath_partition_config_static_selectorELNS0_4arch9wavefront6targetE0EEEvSO_,comdat
.Lfunc_end91:
	.size	_ZN7rocprim17ROCPRIM_400000_NS6detail17trampoline_kernelINS0_14default_configENS1_38merge_sort_block_merge_config_selectorIjN6thrust23THRUST_200600_302600_NS5tupleIffNS6_9null_typeES8_S8_S8_S8_S8_S8_S8_EEEEZZNS1_27merge_sort_block_merge_implIS3_NS6_6detail15normal_iteratorINS6_10device_ptrIjEEEENSD_INSE_IS9_EEEEjNS1_19radix_merge_compareILb0ELb1EjNS0_19identity_decomposerEEEEE10hipError_tT0_T1_T2_jT3_P12ihipStream_tbPNSt15iterator_traitsISN_E10value_typeEPNST_ISO_E10value_typeEPSP_NS1_7vsmem_tEENKUlT_SN_SO_SP_E_clIPjSG_PS9_SI_EESM_S12_SN_SO_SP_EUlS12_E_NS1_11comp_targetILNS1_3genE0ELNS1_11target_archE4294967295ELNS1_3gpuE0ELNS1_3repE0EEENS1_48merge_mergepath_partition_config_static_selectorELNS0_4arch9wavefront6targetE0EEEvSO_, .Lfunc_end91-_ZN7rocprim17ROCPRIM_400000_NS6detail17trampoline_kernelINS0_14default_configENS1_38merge_sort_block_merge_config_selectorIjN6thrust23THRUST_200600_302600_NS5tupleIffNS6_9null_typeES8_S8_S8_S8_S8_S8_S8_EEEEZZNS1_27merge_sort_block_merge_implIS3_NS6_6detail15normal_iteratorINS6_10device_ptrIjEEEENSD_INSE_IS9_EEEEjNS1_19radix_merge_compareILb0ELb1EjNS0_19identity_decomposerEEEEE10hipError_tT0_T1_T2_jT3_P12ihipStream_tbPNSt15iterator_traitsISN_E10value_typeEPNST_ISO_E10value_typeEPSP_NS1_7vsmem_tEENKUlT_SN_SO_SP_E_clIPjSG_PS9_SI_EESM_S12_SN_SO_SP_EUlS12_E_NS1_11comp_targetILNS1_3genE0ELNS1_11target_archE4294967295ELNS1_3gpuE0ELNS1_3repE0EEENS1_48merge_mergepath_partition_config_static_selectorELNS0_4arch9wavefront6targetE0EEEvSO_
                                        ; -- End function
	.set _ZN7rocprim17ROCPRIM_400000_NS6detail17trampoline_kernelINS0_14default_configENS1_38merge_sort_block_merge_config_selectorIjN6thrust23THRUST_200600_302600_NS5tupleIffNS6_9null_typeES8_S8_S8_S8_S8_S8_S8_EEEEZZNS1_27merge_sort_block_merge_implIS3_NS6_6detail15normal_iteratorINS6_10device_ptrIjEEEENSD_INSE_IS9_EEEEjNS1_19radix_merge_compareILb0ELb1EjNS0_19identity_decomposerEEEEE10hipError_tT0_T1_T2_jT3_P12ihipStream_tbPNSt15iterator_traitsISN_E10value_typeEPNST_ISO_E10value_typeEPSP_NS1_7vsmem_tEENKUlT_SN_SO_SP_E_clIPjSG_PS9_SI_EESM_S12_SN_SO_SP_EUlS12_E_NS1_11comp_targetILNS1_3genE0ELNS1_11target_archE4294967295ELNS1_3gpuE0ELNS1_3repE0EEENS1_48merge_mergepath_partition_config_static_selectorELNS0_4arch9wavefront6targetE0EEEvSO_.num_vgpr, 0
	.set _ZN7rocprim17ROCPRIM_400000_NS6detail17trampoline_kernelINS0_14default_configENS1_38merge_sort_block_merge_config_selectorIjN6thrust23THRUST_200600_302600_NS5tupleIffNS6_9null_typeES8_S8_S8_S8_S8_S8_S8_EEEEZZNS1_27merge_sort_block_merge_implIS3_NS6_6detail15normal_iteratorINS6_10device_ptrIjEEEENSD_INSE_IS9_EEEEjNS1_19radix_merge_compareILb0ELb1EjNS0_19identity_decomposerEEEEE10hipError_tT0_T1_T2_jT3_P12ihipStream_tbPNSt15iterator_traitsISN_E10value_typeEPNST_ISO_E10value_typeEPSP_NS1_7vsmem_tEENKUlT_SN_SO_SP_E_clIPjSG_PS9_SI_EESM_S12_SN_SO_SP_EUlS12_E_NS1_11comp_targetILNS1_3genE0ELNS1_11target_archE4294967295ELNS1_3gpuE0ELNS1_3repE0EEENS1_48merge_mergepath_partition_config_static_selectorELNS0_4arch9wavefront6targetE0EEEvSO_.num_agpr, 0
	.set _ZN7rocprim17ROCPRIM_400000_NS6detail17trampoline_kernelINS0_14default_configENS1_38merge_sort_block_merge_config_selectorIjN6thrust23THRUST_200600_302600_NS5tupleIffNS6_9null_typeES8_S8_S8_S8_S8_S8_S8_EEEEZZNS1_27merge_sort_block_merge_implIS3_NS6_6detail15normal_iteratorINS6_10device_ptrIjEEEENSD_INSE_IS9_EEEEjNS1_19radix_merge_compareILb0ELb1EjNS0_19identity_decomposerEEEEE10hipError_tT0_T1_T2_jT3_P12ihipStream_tbPNSt15iterator_traitsISN_E10value_typeEPNST_ISO_E10value_typeEPSP_NS1_7vsmem_tEENKUlT_SN_SO_SP_E_clIPjSG_PS9_SI_EESM_S12_SN_SO_SP_EUlS12_E_NS1_11comp_targetILNS1_3genE0ELNS1_11target_archE4294967295ELNS1_3gpuE0ELNS1_3repE0EEENS1_48merge_mergepath_partition_config_static_selectorELNS0_4arch9wavefront6targetE0EEEvSO_.numbered_sgpr, 0
	.set _ZN7rocprim17ROCPRIM_400000_NS6detail17trampoline_kernelINS0_14default_configENS1_38merge_sort_block_merge_config_selectorIjN6thrust23THRUST_200600_302600_NS5tupleIffNS6_9null_typeES8_S8_S8_S8_S8_S8_S8_EEEEZZNS1_27merge_sort_block_merge_implIS3_NS6_6detail15normal_iteratorINS6_10device_ptrIjEEEENSD_INSE_IS9_EEEEjNS1_19radix_merge_compareILb0ELb1EjNS0_19identity_decomposerEEEEE10hipError_tT0_T1_T2_jT3_P12ihipStream_tbPNSt15iterator_traitsISN_E10value_typeEPNST_ISO_E10value_typeEPSP_NS1_7vsmem_tEENKUlT_SN_SO_SP_E_clIPjSG_PS9_SI_EESM_S12_SN_SO_SP_EUlS12_E_NS1_11comp_targetILNS1_3genE0ELNS1_11target_archE4294967295ELNS1_3gpuE0ELNS1_3repE0EEENS1_48merge_mergepath_partition_config_static_selectorELNS0_4arch9wavefront6targetE0EEEvSO_.num_named_barrier, 0
	.set _ZN7rocprim17ROCPRIM_400000_NS6detail17trampoline_kernelINS0_14default_configENS1_38merge_sort_block_merge_config_selectorIjN6thrust23THRUST_200600_302600_NS5tupleIffNS6_9null_typeES8_S8_S8_S8_S8_S8_S8_EEEEZZNS1_27merge_sort_block_merge_implIS3_NS6_6detail15normal_iteratorINS6_10device_ptrIjEEEENSD_INSE_IS9_EEEEjNS1_19radix_merge_compareILb0ELb1EjNS0_19identity_decomposerEEEEE10hipError_tT0_T1_T2_jT3_P12ihipStream_tbPNSt15iterator_traitsISN_E10value_typeEPNST_ISO_E10value_typeEPSP_NS1_7vsmem_tEENKUlT_SN_SO_SP_E_clIPjSG_PS9_SI_EESM_S12_SN_SO_SP_EUlS12_E_NS1_11comp_targetILNS1_3genE0ELNS1_11target_archE4294967295ELNS1_3gpuE0ELNS1_3repE0EEENS1_48merge_mergepath_partition_config_static_selectorELNS0_4arch9wavefront6targetE0EEEvSO_.private_seg_size, 0
	.set _ZN7rocprim17ROCPRIM_400000_NS6detail17trampoline_kernelINS0_14default_configENS1_38merge_sort_block_merge_config_selectorIjN6thrust23THRUST_200600_302600_NS5tupleIffNS6_9null_typeES8_S8_S8_S8_S8_S8_S8_EEEEZZNS1_27merge_sort_block_merge_implIS3_NS6_6detail15normal_iteratorINS6_10device_ptrIjEEEENSD_INSE_IS9_EEEEjNS1_19radix_merge_compareILb0ELb1EjNS0_19identity_decomposerEEEEE10hipError_tT0_T1_T2_jT3_P12ihipStream_tbPNSt15iterator_traitsISN_E10value_typeEPNST_ISO_E10value_typeEPSP_NS1_7vsmem_tEENKUlT_SN_SO_SP_E_clIPjSG_PS9_SI_EESM_S12_SN_SO_SP_EUlS12_E_NS1_11comp_targetILNS1_3genE0ELNS1_11target_archE4294967295ELNS1_3gpuE0ELNS1_3repE0EEENS1_48merge_mergepath_partition_config_static_selectorELNS0_4arch9wavefront6targetE0EEEvSO_.uses_vcc, 0
	.set _ZN7rocprim17ROCPRIM_400000_NS6detail17trampoline_kernelINS0_14default_configENS1_38merge_sort_block_merge_config_selectorIjN6thrust23THRUST_200600_302600_NS5tupleIffNS6_9null_typeES8_S8_S8_S8_S8_S8_S8_EEEEZZNS1_27merge_sort_block_merge_implIS3_NS6_6detail15normal_iteratorINS6_10device_ptrIjEEEENSD_INSE_IS9_EEEEjNS1_19radix_merge_compareILb0ELb1EjNS0_19identity_decomposerEEEEE10hipError_tT0_T1_T2_jT3_P12ihipStream_tbPNSt15iterator_traitsISN_E10value_typeEPNST_ISO_E10value_typeEPSP_NS1_7vsmem_tEENKUlT_SN_SO_SP_E_clIPjSG_PS9_SI_EESM_S12_SN_SO_SP_EUlS12_E_NS1_11comp_targetILNS1_3genE0ELNS1_11target_archE4294967295ELNS1_3gpuE0ELNS1_3repE0EEENS1_48merge_mergepath_partition_config_static_selectorELNS0_4arch9wavefront6targetE0EEEvSO_.uses_flat_scratch, 0
	.set _ZN7rocprim17ROCPRIM_400000_NS6detail17trampoline_kernelINS0_14default_configENS1_38merge_sort_block_merge_config_selectorIjN6thrust23THRUST_200600_302600_NS5tupleIffNS6_9null_typeES8_S8_S8_S8_S8_S8_S8_EEEEZZNS1_27merge_sort_block_merge_implIS3_NS6_6detail15normal_iteratorINS6_10device_ptrIjEEEENSD_INSE_IS9_EEEEjNS1_19radix_merge_compareILb0ELb1EjNS0_19identity_decomposerEEEEE10hipError_tT0_T1_T2_jT3_P12ihipStream_tbPNSt15iterator_traitsISN_E10value_typeEPNST_ISO_E10value_typeEPSP_NS1_7vsmem_tEENKUlT_SN_SO_SP_E_clIPjSG_PS9_SI_EESM_S12_SN_SO_SP_EUlS12_E_NS1_11comp_targetILNS1_3genE0ELNS1_11target_archE4294967295ELNS1_3gpuE0ELNS1_3repE0EEENS1_48merge_mergepath_partition_config_static_selectorELNS0_4arch9wavefront6targetE0EEEvSO_.has_dyn_sized_stack, 0
	.set _ZN7rocprim17ROCPRIM_400000_NS6detail17trampoline_kernelINS0_14default_configENS1_38merge_sort_block_merge_config_selectorIjN6thrust23THRUST_200600_302600_NS5tupleIffNS6_9null_typeES8_S8_S8_S8_S8_S8_S8_EEEEZZNS1_27merge_sort_block_merge_implIS3_NS6_6detail15normal_iteratorINS6_10device_ptrIjEEEENSD_INSE_IS9_EEEEjNS1_19radix_merge_compareILb0ELb1EjNS0_19identity_decomposerEEEEE10hipError_tT0_T1_T2_jT3_P12ihipStream_tbPNSt15iterator_traitsISN_E10value_typeEPNST_ISO_E10value_typeEPSP_NS1_7vsmem_tEENKUlT_SN_SO_SP_E_clIPjSG_PS9_SI_EESM_S12_SN_SO_SP_EUlS12_E_NS1_11comp_targetILNS1_3genE0ELNS1_11target_archE4294967295ELNS1_3gpuE0ELNS1_3repE0EEENS1_48merge_mergepath_partition_config_static_selectorELNS0_4arch9wavefront6targetE0EEEvSO_.has_recursion, 0
	.set _ZN7rocprim17ROCPRIM_400000_NS6detail17trampoline_kernelINS0_14default_configENS1_38merge_sort_block_merge_config_selectorIjN6thrust23THRUST_200600_302600_NS5tupleIffNS6_9null_typeES8_S8_S8_S8_S8_S8_S8_EEEEZZNS1_27merge_sort_block_merge_implIS3_NS6_6detail15normal_iteratorINS6_10device_ptrIjEEEENSD_INSE_IS9_EEEEjNS1_19radix_merge_compareILb0ELb1EjNS0_19identity_decomposerEEEEE10hipError_tT0_T1_T2_jT3_P12ihipStream_tbPNSt15iterator_traitsISN_E10value_typeEPNST_ISO_E10value_typeEPSP_NS1_7vsmem_tEENKUlT_SN_SO_SP_E_clIPjSG_PS9_SI_EESM_S12_SN_SO_SP_EUlS12_E_NS1_11comp_targetILNS1_3genE0ELNS1_11target_archE4294967295ELNS1_3gpuE0ELNS1_3repE0EEENS1_48merge_mergepath_partition_config_static_selectorELNS0_4arch9wavefront6targetE0EEEvSO_.has_indirect_call, 0
	.section	.AMDGPU.csdata,"",@progbits
; Kernel info:
; codeLenInByte = 0
; TotalNumSgprs: 0
; NumVgprs: 0
; ScratchSize: 0
; MemoryBound: 0
; FloatMode: 240
; IeeeMode: 1
; LDSByteSize: 0 bytes/workgroup (compile time only)
; SGPRBlocks: 0
; VGPRBlocks: 0
; NumSGPRsForWavesPerEU: 1
; NumVGPRsForWavesPerEU: 1
; Occupancy: 16
; WaveLimiterHint : 0
; COMPUTE_PGM_RSRC2:SCRATCH_EN: 0
; COMPUTE_PGM_RSRC2:USER_SGPR: 2
; COMPUTE_PGM_RSRC2:TRAP_HANDLER: 0
; COMPUTE_PGM_RSRC2:TGID_X_EN: 1
; COMPUTE_PGM_RSRC2:TGID_Y_EN: 0
; COMPUTE_PGM_RSRC2:TGID_Z_EN: 0
; COMPUTE_PGM_RSRC2:TIDIG_COMP_CNT: 0
	.section	.text._ZN7rocprim17ROCPRIM_400000_NS6detail17trampoline_kernelINS0_14default_configENS1_38merge_sort_block_merge_config_selectorIjN6thrust23THRUST_200600_302600_NS5tupleIffNS6_9null_typeES8_S8_S8_S8_S8_S8_S8_EEEEZZNS1_27merge_sort_block_merge_implIS3_NS6_6detail15normal_iteratorINS6_10device_ptrIjEEEENSD_INSE_IS9_EEEEjNS1_19radix_merge_compareILb0ELb1EjNS0_19identity_decomposerEEEEE10hipError_tT0_T1_T2_jT3_P12ihipStream_tbPNSt15iterator_traitsISN_E10value_typeEPNST_ISO_E10value_typeEPSP_NS1_7vsmem_tEENKUlT_SN_SO_SP_E_clIPjSG_PS9_SI_EESM_S12_SN_SO_SP_EUlS12_E_NS1_11comp_targetILNS1_3genE10ELNS1_11target_archE1201ELNS1_3gpuE5ELNS1_3repE0EEENS1_48merge_mergepath_partition_config_static_selectorELNS0_4arch9wavefront6targetE0EEEvSO_,"axG",@progbits,_ZN7rocprim17ROCPRIM_400000_NS6detail17trampoline_kernelINS0_14default_configENS1_38merge_sort_block_merge_config_selectorIjN6thrust23THRUST_200600_302600_NS5tupleIffNS6_9null_typeES8_S8_S8_S8_S8_S8_S8_EEEEZZNS1_27merge_sort_block_merge_implIS3_NS6_6detail15normal_iteratorINS6_10device_ptrIjEEEENSD_INSE_IS9_EEEEjNS1_19radix_merge_compareILb0ELb1EjNS0_19identity_decomposerEEEEE10hipError_tT0_T1_T2_jT3_P12ihipStream_tbPNSt15iterator_traitsISN_E10value_typeEPNST_ISO_E10value_typeEPSP_NS1_7vsmem_tEENKUlT_SN_SO_SP_E_clIPjSG_PS9_SI_EESM_S12_SN_SO_SP_EUlS12_E_NS1_11comp_targetILNS1_3genE10ELNS1_11target_archE1201ELNS1_3gpuE5ELNS1_3repE0EEENS1_48merge_mergepath_partition_config_static_selectorELNS0_4arch9wavefront6targetE0EEEvSO_,comdat
	.protected	_ZN7rocprim17ROCPRIM_400000_NS6detail17trampoline_kernelINS0_14default_configENS1_38merge_sort_block_merge_config_selectorIjN6thrust23THRUST_200600_302600_NS5tupleIffNS6_9null_typeES8_S8_S8_S8_S8_S8_S8_EEEEZZNS1_27merge_sort_block_merge_implIS3_NS6_6detail15normal_iteratorINS6_10device_ptrIjEEEENSD_INSE_IS9_EEEEjNS1_19radix_merge_compareILb0ELb1EjNS0_19identity_decomposerEEEEE10hipError_tT0_T1_T2_jT3_P12ihipStream_tbPNSt15iterator_traitsISN_E10value_typeEPNST_ISO_E10value_typeEPSP_NS1_7vsmem_tEENKUlT_SN_SO_SP_E_clIPjSG_PS9_SI_EESM_S12_SN_SO_SP_EUlS12_E_NS1_11comp_targetILNS1_3genE10ELNS1_11target_archE1201ELNS1_3gpuE5ELNS1_3repE0EEENS1_48merge_mergepath_partition_config_static_selectorELNS0_4arch9wavefront6targetE0EEEvSO_ ; -- Begin function _ZN7rocprim17ROCPRIM_400000_NS6detail17trampoline_kernelINS0_14default_configENS1_38merge_sort_block_merge_config_selectorIjN6thrust23THRUST_200600_302600_NS5tupleIffNS6_9null_typeES8_S8_S8_S8_S8_S8_S8_EEEEZZNS1_27merge_sort_block_merge_implIS3_NS6_6detail15normal_iteratorINS6_10device_ptrIjEEEENSD_INSE_IS9_EEEEjNS1_19radix_merge_compareILb0ELb1EjNS0_19identity_decomposerEEEEE10hipError_tT0_T1_T2_jT3_P12ihipStream_tbPNSt15iterator_traitsISN_E10value_typeEPNST_ISO_E10value_typeEPSP_NS1_7vsmem_tEENKUlT_SN_SO_SP_E_clIPjSG_PS9_SI_EESM_S12_SN_SO_SP_EUlS12_E_NS1_11comp_targetILNS1_3genE10ELNS1_11target_archE1201ELNS1_3gpuE5ELNS1_3repE0EEENS1_48merge_mergepath_partition_config_static_selectorELNS0_4arch9wavefront6targetE0EEEvSO_
	.globl	_ZN7rocprim17ROCPRIM_400000_NS6detail17trampoline_kernelINS0_14default_configENS1_38merge_sort_block_merge_config_selectorIjN6thrust23THRUST_200600_302600_NS5tupleIffNS6_9null_typeES8_S8_S8_S8_S8_S8_S8_EEEEZZNS1_27merge_sort_block_merge_implIS3_NS6_6detail15normal_iteratorINS6_10device_ptrIjEEEENSD_INSE_IS9_EEEEjNS1_19radix_merge_compareILb0ELb1EjNS0_19identity_decomposerEEEEE10hipError_tT0_T1_T2_jT3_P12ihipStream_tbPNSt15iterator_traitsISN_E10value_typeEPNST_ISO_E10value_typeEPSP_NS1_7vsmem_tEENKUlT_SN_SO_SP_E_clIPjSG_PS9_SI_EESM_S12_SN_SO_SP_EUlS12_E_NS1_11comp_targetILNS1_3genE10ELNS1_11target_archE1201ELNS1_3gpuE5ELNS1_3repE0EEENS1_48merge_mergepath_partition_config_static_selectorELNS0_4arch9wavefront6targetE0EEEvSO_
	.p2align	8
	.type	_ZN7rocprim17ROCPRIM_400000_NS6detail17trampoline_kernelINS0_14default_configENS1_38merge_sort_block_merge_config_selectorIjN6thrust23THRUST_200600_302600_NS5tupleIffNS6_9null_typeES8_S8_S8_S8_S8_S8_S8_EEEEZZNS1_27merge_sort_block_merge_implIS3_NS6_6detail15normal_iteratorINS6_10device_ptrIjEEEENSD_INSE_IS9_EEEEjNS1_19radix_merge_compareILb0ELb1EjNS0_19identity_decomposerEEEEE10hipError_tT0_T1_T2_jT3_P12ihipStream_tbPNSt15iterator_traitsISN_E10value_typeEPNST_ISO_E10value_typeEPSP_NS1_7vsmem_tEENKUlT_SN_SO_SP_E_clIPjSG_PS9_SI_EESM_S12_SN_SO_SP_EUlS12_E_NS1_11comp_targetILNS1_3genE10ELNS1_11target_archE1201ELNS1_3gpuE5ELNS1_3repE0EEENS1_48merge_mergepath_partition_config_static_selectorELNS0_4arch9wavefront6targetE0EEEvSO_,@function
_ZN7rocprim17ROCPRIM_400000_NS6detail17trampoline_kernelINS0_14default_configENS1_38merge_sort_block_merge_config_selectorIjN6thrust23THRUST_200600_302600_NS5tupleIffNS6_9null_typeES8_S8_S8_S8_S8_S8_S8_EEEEZZNS1_27merge_sort_block_merge_implIS3_NS6_6detail15normal_iteratorINS6_10device_ptrIjEEEENSD_INSE_IS9_EEEEjNS1_19radix_merge_compareILb0ELb1EjNS0_19identity_decomposerEEEEE10hipError_tT0_T1_T2_jT3_P12ihipStream_tbPNSt15iterator_traitsISN_E10value_typeEPNST_ISO_E10value_typeEPSP_NS1_7vsmem_tEENKUlT_SN_SO_SP_E_clIPjSG_PS9_SI_EESM_S12_SN_SO_SP_EUlS12_E_NS1_11comp_targetILNS1_3genE10ELNS1_11target_archE1201ELNS1_3gpuE5ELNS1_3repE0EEENS1_48merge_mergepath_partition_config_static_selectorELNS0_4arch9wavefront6targetE0EEEvSO_: ; @_ZN7rocprim17ROCPRIM_400000_NS6detail17trampoline_kernelINS0_14default_configENS1_38merge_sort_block_merge_config_selectorIjN6thrust23THRUST_200600_302600_NS5tupleIffNS6_9null_typeES8_S8_S8_S8_S8_S8_S8_EEEEZZNS1_27merge_sort_block_merge_implIS3_NS6_6detail15normal_iteratorINS6_10device_ptrIjEEEENSD_INSE_IS9_EEEEjNS1_19radix_merge_compareILb0ELb1EjNS0_19identity_decomposerEEEEE10hipError_tT0_T1_T2_jT3_P12ihipStream_tbPNSt15iterator_traitsISN_E10value_typeEPNST_ISO_E10value_typeEPSP_NS1_7vsmem_tEENKUlT_SN_SO_SP_E_clIPjSG_PS9_SI_EESM_S12_SN_SO_SP_EUlS12_E_NS1_11comp_targetILNS1_3genE10ELNS1_11target_archE1201ELNS1_3gpuE5ELNS1_3repE0EEENS1_48merge_mergepath_partition_config_static_selectorELNS0_4arch9wavefront6targetE0EEEvSO_
; %bb.0:
	s_load_b32 s2, s[0:1], 0x0
	v_lshl_or_b32 v0, ttmp9, 7, v0
	s_wait_kmcnt 0x0
	s_delay_alu instid0(VALU_DEP_1)
	v_cmp_gt_u32_e32 vcc_lo, s2, v0
	s_and_saveexec_b32 s2, vcc_lo
	s_cbranch_execz .LBB92_6
; %bb.1:
	s_load_b64 s[2:3], s[0:1], 0x4
	s_mov_b32 s6, 0
	s_wait_kmcnt 0x0
	s_lshr_b32 s4, s2, 9
	s_delay_alu instid0(SALU_CYCLE_1) | instskip(NEXT) | instid1(SALU_CYCLE_1)
	s_and_b32 s4, s4, 0x7ffffe
	s_sub_co_i32 s5, 0, s4
	s_add_co_i32 s4, s4, -1
	v_and_b32_e32 v1, s5, v0
	v_and_b32_e32 v5, s4, v0
	s_load_b64 s[4:5], s[0:1], 0x20
	s_delay_alu instid0(VALU_DEP_2) | instskip(NEXT) | instid1(VALU_DEP_1)
	v_lshlrev_b32_e32 v1, 10, v1
	v_add_nc_u32_e32 v2, s2, v1
	s_delay_alu instid0(VALU_DEP_1) | instskip(SKIP_1) | instid1(VALU_DEP_2)
	v_min_u32_e32 v4, s3, v2
	v_min_u32_e32 v2, s3, v1
	v_add_nc_u32_e32 v3, s2, v4
	s_delay_alu instid0(VALU_DEP_1) | instskip(SKIP_2) | instid1(VALU_DEP_2)
	v_min_u32_e32 v1, s3, v3
	v_lshlrev_b32_e32 v3, 10, v5
	s_mov_b32 s3, exec_lo
	v_sub_nc_u32_e32 v5, v1, v2
	v_sub_nc_u32_e32 v6, v1, v4
	s_delay_alu instid0(VALU_DEP_2) | instskip(SKIP_1) | instid1(VALU_DEP_2)
	v_min_u32_e32 v1, v5, v3
	v_sub_nc_u32_e32 v3, v4, v2
	v_sub_nc_u32_e64 v6, v1, v6 clamp
	s_delay_alu instid0(VALU_DEP_2) | instskip(NEXT) | instid1(VALU_DEP_1)
	v_min_u32_e32 v7, v1, v3
	v_cmpx_lt_u32_e64 v6, v7
	s_cbranch_execz .LBB92_5
; %bb.2:
	s_load_b96 s[0:2], s[0:1], 0x10
	v_mov_b32_e32 v5, 0
	s_delay_alu instid0(VALU_DEP_1) | instskip(SKIP_1) | instid1(VALU_DEP_2)
	v_mov_b32_e32 v3, v5
	v_lshlrev_b64_e32 v[10:11], 2, v[4:5]
	v_lshlrev_b64_e32 v[8:9], 2, v[2:3]
	s_wait_kmcnt 0x0
	s_delay_alu instid0(VALU_DEP_1) | instskip(NEXT) | instid1(VALU_DEP_1)
	v_add_co_u32 v3, vcc_lo, s0, v8
	v_add_co_ci_u32_e64 v8, null, s1, v9, vcc_lo
	s_delay_alu instid0(VALU_DEP_4)
	v_add_co_u32 v9, vcc_lo, s0, v10
	s_wait_alu 0xfffd
	v_add_co_ci_u32_e64 v10, null, s1, v11, vcc_lo
.LBB92_3:                               ; =>This Inner Loop Header: Depth=1
	v_add_nc_u32_e32 v4, v7, v6
	v_mov_b32_e32 v12, v5
	s_delay_alu instid0(VALU_DEP_2) | instskip(NEXT) | instid1(VALU_DEP_1)
	v_lshrrev_b32_e32 v4, 1, v4
	v_xad_u32 v11, v4, -1, v1
	v_lshlrev_b64_e32 v[13:14], 2, v[4:5]
	s_delay_alu instid0(VALU_DEP_2) | instskip(NEXT) | instid1(VALU_DEP_2)
	v_lshlrev_b64_e32 v[11:12], 2, v[11:12]
	v_add_co_u32 v13, vcc_lo, v3, v13
	s_wait_alu 0xfffd
	s_delay_alu instid0(VALU_DEP_3) | instskip(NEXT) | instid1(VALU_DEP_3)
	v_add_co_ci_u32_e64 v14, null, v8, v14, vcc_lo
	v_add_co_u32 v11, vcc_lo, v9, v11
	s_wait_alu 0xfffd
	v_add_co_ci_u32_e64 v12, null, v10, v12, vcc_lo
	s_clause 0x1
	global_load_b32 v13, v[13:14], off
	global_load_b32 v11, v[11:12], off
	s_wait_loadcnt 0x1
	v_and_b32_e32 v12, s2, v13
	s_wait_loadcnt 0x0
	v_and_b32_e32 v11, s2, v11
	v_add_nc_u32_e32 v13, 1, v4
	s_delay_alu instid0(VALU_DEP_2) | instskip(SKIP_1) | instid1(VALU_DEP_2)
	v_cmp_gt_u32_e32 vcc_lo, v12, v11
	s_wait_alu 0xfffd
	v_dual_cndmask_b32 v7, v7, v4 :: v_dual_cndmask_b32 v6, v13, v6
	s_delay_alu instid0(VALU_DEP_1) | instskip(SKIP_1) | instid1(SALU_CYCLE_1)
	v_cmp_ge_u32_e32 vcc_lo, v6, v7
	s_or_b32 s6, vcc_lo, s6
	s_and_not1_b32 exec_lo, exec_lo, s6
	s_cbranch_execnz .LBB92_3
; %bb.4:
	s_or_b32 exec_lo, exec_lo, s6
.LBB92_5:
	s_wait_alu 0xfffe
	s_or_b32 exec_lo, exec_lo, s3
	v_dual_mov_b32 v1, 0 :: v_dual_add_nc_u32 v2, v6, v2
	s_delay_alu instid0(VALU_DEP_1) | instskip(SKIP_1) | instid1(VALU_DEP_1)
	v_lshlrev_b64_e32 v[0:1], 2, v[0:1]
	s_wait_kmcnt 0x0
	v_add_co_u32 v0, vcc_lo, s4, v0
	s_wait_alu 0xfffd
	s_delay_alu instid0(VALU_DEP_2)
	v_add_co_ci_u32_e64 v1, null, s5, v1, vcc_lo
	global_store_b32 v[0:1], v2, off
.LBB92_6:
	s_endpgm
	.section	.rodata,"a",@progbits
	.p2align	6, 0x0
	.amdhsa_kernel _ZN7rocprim17ROCPRIM_400000_NS6detail17trampoline_kernelINS0_14default_configENS1_38merge_sort_block_merge_config_selectorIjN6thrust23THRUST_200600_302600_NS5tupleIffNS6_9null_typeES8_S8_S8_S8_S8_S8_S8_EEEEZZNS1_27merge_sort_block_merge_implIS3_NS6_6detail15normal_iteratorINS6_10device_ptrIjEEEENSD_INSE_IS9_EEEEjNS1_19radix_merge_compareILb0ELb1EjNS0_19identity_decomposerEEEEE10hipError_tT0_T1_T2_jT3_P12ihipStream_tbPNSt15iterator_traitsISN_E10value_typeEPNST_ISO_E10value_typeEPSP_NS1_7vsmem_tEENKUlT_SN_SO_SP_E_clIPjSG_PS9_SI_EESM_S12_SN_SO_SP_EUlS12_E_NS1_11comp_targetILNS1_3genE10ELNS1_11target_archE1201ELNS1_3gpuE5ELNS1_3repE0EEENS1_48merge_mergepath_partition_config_static_selectorELNS0_4arch9wavefront6targetE0EEEvSO_
		.amdhsa_group_segment_fixed_size 0
		.amdhsa_private_segment_fixed_size 0
		.amdhsa_kernarg_size 40
		.amdhsa_user_sgpr_count 2
		.amdhsa_user_sgpr_dispatch_ptr 0
		.amdhsa_user_sgpr_queue_ptr 0
		.amdhsa_user_sgpr_kernarg_segment_ptr 1
		.amdhsa_user_sgpr_dispatch_id 0
		.amdhsa_user_sgpr_private_segment_size 0
		.amdhsa_wavefront_size32 1
		.amdhsa_uses_dynamic_stack 0
		.amdhsa_enable_private_segment 0
		.amdhsa_system_sgpr_workgroup_id_x 1
		.amdhsa_system_sgpr_workgroup_id_y 0
		.amdhsa_system_sgpr_workgroup_id_z 0
		.amdhsa_system_sgpr_workgroup_info 0
		.amdhsa_system_vgpr_workitem_id 0
		.amdhsa_next_free_vgpr 15
		.amdhsa_next_free_sgpr 7
		.amdhsa_reserve_vcc 1
		.amdhsa_float_round_mode_32 0
		.amdhsa_float_round_mode_16_64 0
		.amdhsa_float_denorm_mode_32 3
		.amdhsa_float_denorm_mode_16_64 3
		.amdhsa_fp16_overflow 0
		.amdhsa_workgroup_processor_mode 1
		.amdhsa_memory_ordered 1
		.amdhsa_forward_progress 1
		.amdhsa_inst_pref_size 4
		.amdhsa_round_robin_scheduling 0
		.amdhsa_exception_fp_ieee_invalid_op 0
		.amdhsa_exception_fp_denorm_src 0
		.amdhsa_exception_fp_ieee_div_zero 0
		.amdhsa_exception_fp_ieee_overflow 0
		.amdhsa_exception_fp_ieee_underflow 0
		.amdhsa_exception_fp_ieee_inexact 0
		.amdhsa_exception_int_div_zero 0
	.end_amdhsa_kernel
	.section	.text._ZN7rocprim17ROCPRIM_400000_NS6detail17trampoline_kernelINS0_14default_configENS1_38merge_sort_block_merge_config_selectorIjN6thrust23THRUST_200600_302600_NS5tupleIffNS6_9null_typeES8_S8_S8_S8_S8_S8_S8_EEEEZZNS1_27merge_sort_block_merge_implIS3_NS6_6detail15normal_iteratorINS6_10device_ptrIjEEEENSD_INSE_IS9_EEEEjNS1_19radix_merge_compareILb0ELb1EjNS0_19identity_decomposerEEEEE10hipError_tT0_T1_T2_jT3_P12ihipStream_tbPNSt15iterator_traitsISN_E10value_typeEPNST_ISO_E10value_typeEPSP_NS1_7vsmem_tEENKUlT_SN_SO_SP_E_clIPjSG_PS9_SI_EESM_S12_SN_SO_SP_EUlS12_E_NS1_11comp_targetILNS1_3genE10ELNS1_11target_archE1201ELNS1_3gpuE5ELNS1_3repE0EEENS1_48merge_mergepath_partition_config_static_selectorELNS0_4arch9wavefront6targetE0EEEvSO_,"axG",@progbits,_ZN7rocprim17ROCPRIM_400000_NS6detail17trampoline_kernelINS0_14default_configENS1_38merge_sort_block_merge_config_selectorIjN6thrust23THRUST_200600_302600_NS5tupleIffNS6_9null_typeES8_S8_S8_S8_S8_S8_S8_EEEEZZNS1_27merge_sort_block_merge_implIS3_NS6_6detail15normal_iteratorINS6_10device_ptrIjEEEENSD_INSE_IS9_EEEEjNS1_19radix_merge_compareILb0ELb1EjNS0_19identity_decomposerEEEEE10hipError_tT0_T1_T2_jT3_P12ihipStream_tbPNSt15iterator_traitsISN_E10value_typeEPNST_ISO_E10value_typeEPSP_NS1_7vsmem_tEENKUlT_SN_SO_SP_E_clIPjSG_PS9_SI_EESM_S12_SN_SO_SP_EUlS12_E_NS1_11comp_targetILNS1_3genE10ELNS1_11target_archE1201ELNS1_3gpuE5ELNS1_3repE0EEENS1_48merge_mergepath_partition_config_static_selectorELNS0_4arch9wavefront6targetE0EEEvSO_,comdat
.Lfunc_end92:
	.size	_ZN7rocprim17ROCPRIM_400000_NS6detail17trampoline_kernelINS0_14default_configENS1_38merge_sort_block_merge_config_selectorIjN6thrust23THRUST_200600_302600_NS5tupleIffNS6_9null_typeES8_S8_S8_S8_S8_S8_S8_EEEEZZNS1_27merge_sort_block_merge_implIS3_NS6_6detail15normal_iteratorINS6_10device_ptrIjEEEENSD_INSE_IS9_EEEEjNS1_19radix_merge_compareILb0ELb1EjNS0_19identity_decomposerEEEEE10hipError_tT0_T1_T2_jT3_P12ihipStream_tbPNSt15iterator_traitsISN_E10value_typeEPNST_ISO_E10value_typeEPSP_NS1_7vsmem_tEENKUlT_SN_SO_SP_E_clIPjSG_PS9_SI_EESM_S12_SN_SO_SP_EUlS12_E_NS1_11comp_targetILNS1_3genE10ELNS1_11target_archE1201ELNS1_3gpuE5ELNS1_3repE0EEENS1_48merge_mergepath_partition_config_static_selectorELNS0_4arch9wavefront6targetE0EEEvSO_, .Lfunc_end92-_ZN7rocprim17ROCPRIM_400000_NS6detail17trampoline_kernelINS0_14default_configENS1_38merge_sort_block_merge_config_selectorIjN6thrust23THRUST_200600_302600_NS5tupleIffNS6_9null_typeES8_S8_S8_S8_S8_S8_S8_EEEEZZNS1_27merge_sort_block_merge_implIS3_NS6_6detail15normal_iteratorINS6_10device_ptrIjEEEENSD_INSE_IS9_EEEEjNS1_19radix_merge_compareILb0ELb1EjNS0_19identity_decomposerEEEEE10hipError_tT0_T1_T2_jT3_P12ihipStream_tbPNSt15iterator_traitsISN_E10value_typeEPNST_ISO_E10value_typeEPSP_NS1_7vsmem_tEENKUlT_SN_SO_SP_E_clIPjSG_PS9_SI_EESM_S12_SN_SO_SP_EUlS12_E_NS1_11comp_targetILNS1_3genE10ELNS1_11target_archE1201ELNS1_3gpuE5ELNS1_3repE0EEENS1_48merge_mergepath_partition_config_static_selectorELNS0_4arch9wavefront6targetE0EEEvSO_
                                        ; -- End function
	.set _ZN7rocprim17ROCPRIM_400000_NS6detail17trampoline_kernelINS0_14default_configENS1_38merge_sort_block_merge_config_selectorIjN6thrust23THRUST_200600_302600_NS5tupleIffNS6_9null_typeES8_S8_S8_S8_S8_S8_S8_EEEEZZNS1_27merge_sort_block_merge_implIS3_NS6_6detail15normal_iteratorINS6_10device_ptrIjEEEENSD_INSE_IS9_EEEEjNS1_19radix_merge_compareILb0ELb1EjNS0_19identity_decomposerEEEEE10hipError_tT0_T1_T2_jT3_P12ihipStream_tbPNSt15iterator_traitsISN_E10value_typeEPNST_ISO_E10value_typeEPSP_NS1_7vsmem_tEENKUlT_SN_SO_SP_E_clIPjSG_PS9_SI_EESM_S12_SN_SO_SP_EUlS12_E_NS1_11comp_targetILNS1_3genE10ELNS1_11target_archE1201ELNS1_3gpuE5ELNS1_3repE0EEENS1_48merge_mergepath_partition_config_static_selectorELNS0_4arch9wavefront6targetE0EEEvSO_.num_vgpr, 15
	.set _ZN7rocprim17ROCPRIM_400000_NS6detail17trampoline_kernelINS0_14default_configENS1_38merge_sort_block_merge_config_selectorIjN6thrust23THRUST_200600_302600_NS5tupleIffNS6_9null_typeES8_S8_S8_S8_S8_S8_S8_EEEEZZNS1_27merge_sort_block_merge_implIS3_NS6_6detail15normal_iteratorINS6_10device_ptrIjEEEENSD_INSE_IS9_EEEEjNS1_19radix_merge_compareILb0ELb1EjNS0_19identity_decomposerEEEEE10hipError_tT0_T1_T2_jT3_P12ihipStream_tbPNSt15iterator_traitsISN_E10value_typeEPNST_ISO_E10value_typeEPSP_NS1_7vsmem_tEENKUlT_SN_SO_SP_E_clIPjSG_PS9_SI_EESM_S12_SN_SO_SP_EUlS12_E_NS1_11comp_targetILNS1_3genE10ELNS1_11target_archE1201ELNS1_3gpuE5ELNS1_3repE0EEENS1_48merge_mergepath_partition_config_static_selectorELNS0_4arch9wavefront6targetE0EEEvSO_.num_agpr, 0
	.set _ZN7rocprim17ROCPRIM_400000_NS6detail17trampoline_kernelINS0_14default_configENS1_38merge_sort_block_merge_config_selectorIjN6thrust23THRUST_200600_302600_NS5tupleIffNS6_9null_typeES8_S8_S8_S8_S8_S8_S8_EEEEZZNS1_27merge_sort_block_merge_implIS3_NS6_6detail15normal_iteratorINS6_10device_ptrIjEEEENSD_INSE_IS9_EEEEjNS1_19radix_merge_compareILb0ELb1EjNS0_19identity_decomposerEEEEE10hipError_tT0_T1_T2_jT3_P12ihipStream_tbPNSt15iterator_traitsISN_E10value_typeEPNST_ISO_E10value_typeEPSP_NS1_7vsmem_tEENKUlT_SN_SO_SP_E_clIPjSG_PS9_SI_EESM_S12_SN_SO_SP_EUlS12_E_NS1_11comp_targetILNS1_3genE10ELNS1_11target_archE1201ELNS1_3gpuE5ELNS1_3repE0EEENS1_48merge_mergepath_partition_config_static_selectorELNS0_4arch9wavefront6targetE0EEEvSO_.numbered_sgpr, 7
	.set _ZN7rocprim17ROCPRIM_400000_NS6detail17trampoline_kernelINS0_14default_configENS1_38merge_sort_block_merge_config_selectorIjN6thrust23THRUST_200600_302600_NS5tupleIffNS6_9null_typeES8_S8_S8_S8_S8_S8_S8_EEEEZZNS1_27merge_sort_block_merge_implIS3_NS6_6detail15normal_iteratorINS6_10device_ptrIjEEEENSD_INSE_IS9_EEEEjNS1_19radix_merge_compareILb0ELb1EjNS0_19identity_decomposerEEEEE10hipError_tT0_T1_T2_jT3_P12ihipStream_tbPNSt15iterator_traitsISN_E10value_typeEPNST_ISO_E10value_typeEPSP_NS1_7vsmem_tEENKUlT_SN_SO_SP_E_clIPjSG_PS9_SI_EESM_S12_SN_SO_SP_EUlS12_E_NS1_11comp_targetILNS1_3genE10ELNS1_11target_archE1201ELNS1_3gpuE5ELNS1_3repE0EEENS1_48merge_mergepath_partition_config_static_selectorELNS0_4arch9wavefront6targetE0EEEvSO_.num_named_barrier, 0
	.set _ZN7rocprim17ROCPRIM_400000_NS6detail17trampoline_kernelINS0_14default_configENS1_38merge_sort_block_merge_config_selectorIjN6thrust23THRUST_200600_302600_NS5tupleIffNS6_9null_typeES8_S8_S8_S8_S8_S8_S8_EEEEZZNS1_27merge_sort_block_merge_implIS3_NS6_6detail15normal_iteratorINS6_10device_ptrIjEEEENSD_INSE_IS9_EEEEjNS1_19radix_merge_compareILb0ELb1EjNS0_19identity_decomposerEEEEE10hipError_tT0_T1_T2_jT3_P12ihipStream_tbPNSt15iterator_traitsISN_E10value_typeEPNST_ISO_E10value_typeEPSP_NS1_7vsmem_tEENKUlT_SN_SO_SP_E_clIPjSG_PS9_SI_EESM_S12_SN_SO_SP_EUlS12_E_NS1_11comp_targetILNS1_3genE10ELNS1_11target_archE1201ELNS1_3gpuE5ELNS1_3repE0EEENS1_48merge_mergepath_partition_config_static_selectorELNS0_4arch9wavefront6targetE0EEEvSO_.private_seg_size, 0
	.set _ZN7rocprim17ROCPRIM_400000_NS6detail17trampoline_kernelINS0_14default_configENS1_38merge_sort_block_merge_config_selectorIjN6thrust23THRUST_200600_302600_NS5tupleIffNS6_9null_typeES8_S8_S8_S8_S8_S8_S8_EEEEZZNS1_27merge_sort_block_merge_implIS3_NS6_6detail15normal_iteratorINS6_10device_ptrIjEEEENSD_INSE_IS9_EEEEjNS1_19radix_merge_compareILb0ELb1EjNS0_19identity_decomposerEEEEE10hipError_tT0_T1_T2_jT3_P12ihipStream_tbPNSt15iterator_traitsISN_E10value_typeEPNST_ISO_E10value_typeEPSP_NS1_7vsmem_tEENKUlT_SN_SO_SP_E_clIPjSG_PS9_SI_EESM_S12_SN_SO_SP_EUlS12_E_NS1_11comp_targetILNS1_3genE10ELNS1_11target_archE1201ELNS1_3gpuE5ELNS1_3repE0EEENS1_48merge_mergepath_partition_config_static_selectorELNS0_4arch9wavefront6targetE0EEEvSO_.uses_vcc, 1
	.set _ZN7rocprim17ROCPRIM_400000_NS6detail17trampoline_kernelINS0_14default_configENS1_38merge_sort_block_merge_config_selectorIjN6thrust23THRUST_200600_302600_NS5tupleIffNS6_9null_typeES8_S8_S8_S8_S8_S8_S8_EEEEZZNS1_27merge_sort_block_merge_implIS3_NS6_6detail15normal_iteratorINS6_10device_ptrIjEEEENSD_INSE_IS9_EEEEjNS1_19radix_merge_compareILb0ELb1EjNS0_19identity_decomposerEEEEE10hipError_tT0_T1_T2_jT3_P12ihipStream_tbPNSt15iterator_traitsISN_E10value_typeEPNST_ISO_E10value_typeEPSP_NS1_7vsmem_tEENKUlT_SN_SO_SP_E_clIPjSG_PS9_SI_EESM_S12_SN_SO_SP_EUlS12_E_NS1_11comp_targetILNS1_3genE10ELNS1_11target_archE1201ELNS1_3gpuE5ELNS1_3repE0EEENS1_48merge_mergepath_partition_config_static_selectorELNS0_4arch9wavefront6targetE0EEEvSO_.uses_flat_scratch, 0
	.set _ZN7rocprim17ROCPRIM_400000_NS6detail17trampoline_kernelINS0_14default_configENS1_38merge_sort_block_merge_config_selectorIjN6thrust23THRUST_200600_302600_NS5tupleIffNS6_9null_typeES8_S8_S8_S8_S8_S8_S8_EEEEZZNS1_27merge_sort_block_merge_implIS3_NS6_6detail15normal_iteratorINS6_10device_ptrIjEEEENSD_INSE_IS9_EEEEjNS1_19radix_merge_compareILb0ELb1EjNS0_19identity_decomposerEEEEE10hipError_tT0_T1_T2_jT3_P12ihipStream_tbPNSt15iterator_traitsISN_E10value_typeEPNST_ISO_E10value_typeEPSP_NS1_7vsmem_tEENKUlT_SN_SO_SP_E_clIPjSG_PS9_SI_EESM_S12_SN_SO_SP_EUlS12_E_NS1_11comp_targetILNS1_3genE10ELNS1_11target_archE1201ELNS1_3gpuE5ELNS1_3repE0EEENS1_48merge_mergepath_partition_config_static_selectorELNS0_4arch9wavefront6targetE0EEEvSO_.has_dyn_sized_stack, 0
	.set _ZN7rocprim17ROCPRIM_400000_NS6detail17trampoline_kernelINS0_14default_configENS1_38merge_sort_block_merge_config_selectorIjN6thrust23THRUST_200600_302600_NS5tupleIffNS6_9null_typeES8_S8_S8_S8_S8_S8_S8_EEEEZZNS1_27merge_sort_block_merge_implIS3_NS6_6detail15normal_iteratorINS6_10device_ptrIjEEEENSD_INSE_IS9_EEEEjNS1_19radix_merge_compareILb0ELb1EjNS0_19identity_decomposerEEEEE10hipError_tT0_T1_T2_jT3_P12ihipStream_tbPNSt15iterator_traitsISN_E10value_typeEPNST_ISO_E10value_typeEPSP_NS1_7vsmem_tEENKUlT_SN_SO_SP_E_clIPjSG_PS9_SI_EESM_S12_SN_SO_SP_EUlS12_E_NS1_11comp_targetILNS1_3genE10ELNS1_11target_archE1201ELNS1_3gpuE5ELNS1_3repE0EEENS1_48merge_mergepath_partition_config_static_selectorELNS0_4arch9wavefront6targetE0EEEvSO_.has_recursion, 0
	.set _ZN7rocprim17ROCPRIM_400000_NS6detail17trampoline_kernelINS0_14default_configENS1_38merge_sort_block_merge_config_selectorIjN6thrust23THRUST_200600_302600_NS5tupleIffNS6_9null_typeES8_S8_S8_S8_S8_S8_S8_EEEEZZNS1_27merge_sort_block_merge_implIS3_NS6_6detail15normal_iteratorINS6_10device_ptrIjEEEENSD_INSE_IS9_EEEEjNS1_19radix_merge_compareILb0ELb1EjNS0_19identity_decomposerEEEEE10hipError_tT0_T1_T2_jT3_P12ihipStream_tbPNSt15iterator_traitsISN_E10value_typeEPNST_ISO_E10value_typeEPSP_NS1_7vsmem_tEENKUlT_SN_SO_SP_E_clIPjSG_PS9_SI_EESM_S12_SN_SO_SP_EUlS12_E_NS1_11comp_targetILNS1_3genE10ELNS1_11target_archE1201ELNS1_3gpuE5ELNS1_3repE0EEENS1_48merge_mergepath_partition_config_static_selectorELNS0_4arch9wavefront6targetE0EEEvSO_.has_indirect_call, 0
	.section	.AMDGPU.csdata,"",@progbits
; Kernel info:
; codeLenInByte = 500
; TotalNumSgprs: 9
; NumVgprs: 15
; ScratchSize: 0
; MemoryBound: 0
; FloatMode: 240
; IeeeMode: 1
; LDSByteSize: 0 bytes/workgroup (compile time only)
; SGPRBlocks: 0
; VGPRBlocks: 1
; NumSGPRsForWavesPerEU: 9
; NumVGPRsForWavesPerEU: 15
; Occupancy: 16
; WaveLimiterHint : 0
; COMPUTE_PGM_RSRC2:SCRATCH_EN: 0
; COMPUTE_PGM_RSRC2:USER_SGPR: 2
; COMPUTE_PGM_RSRC2:TRAP_HANDLER: 0
; COMPUTE_PGM_RSRC2:TGID_X_EN: 1
; COMPUTE_PGM_RSRC2:TGID_Y_EN: 0
; COMPUTE_PGM_RSRC2:TGID_Z_EN: 0
; COMPUTE_PGM_RSRC2:TIDIG_COMP_CNT: 0
	.section	.text._ZN7rocprim17ROCPRIM_400000_NS6detail17trampoline_kernelINS0_14default_configENS1_38merge_sort_block_merge_config_selectorIjN6thrust23THRUST_200600_302600_NS5tupleIffNS6_9null_typeES8_S8_S8_S8_S8_S8_S8_EEEEZZNS1_27merge_sort_block_merge_implIS3_NS6_6detail15normal_iteratorINS6_10device_ptrIjEEEENSD_INSE_IS9_EEEEjNS1_19radix_merge_compareILb0ELb1EjNS0_19identity_decomposerEEEEE10hipError_tT0_T1_T2_jT3_P12ihipStream_tbPNSt15iterator_traitsISN_E10value_typeEPNST_ISO_E10value_typeEPSP_NS1_7vsmem_tEENKUlT_SN_SO_SP_E_clIPjSG_PS9_SI_EESM_S12_SN_SO_SP_EUlS12_E_NS1_11comp_targetILNS1_3genE5ELNS1_11target_archE942ELNS1_3gpuE9ELNS1_3repE0EEENS1_48merge_mergepath_partition_config_static_selectorELNS0_4arch9wavefront6targetE0EEEvSO_,"axG",@progbits,_ZN7rocprim17ROCPRIM_400000_NS6detail17trampoline_kernelINS0_14default_configENS1_38merge_sort_block_merge_config_selectorIjN6thrust23THRUST_200600_302600_NS5tupleIffNS6_9null_typeES8_S8_S8_S8_S8_S8_S8_EEEEZZNS1_27merge_sort_block_merge_implIS3_NS6_6detail15normal_iteratorINS6_10device_ptrIjEEEENSD_INSE_IS9_EEEEjNS1_19radix_merge_compareILb0ELb1EjNS0_19identity_decomposerEEEEE10hipError_tT0_T1_T2_jT3_P12ihipStream_tbPNSt15iterator_traitsISN_E10value_typeEPNST_ISO_E10value_typeEPSP_NS1_7vsmem_tEENKUlT_SN_SO_SP_E_clIPjSG_PS9_SI_EESM_S12_SN_SO_SP_EUlS12_E_NS1_11comp_targetILNS1_3genE5ELNS1_11target_archE942ELNS1_3gpuE9ELNS1_3repE0EEENS1_48merge_mergepath_partition_config_static_selectorELNS0_4arch9wavefront6targetE0EEEvSO_,comdat
	.protected	_ZN7rocprim17ROCPRIM_400000_NS6detail17trampoline_kernelINS0_14default_configENS1_38merge_sort_block_merge_config_selectorIjN6thrust23THRUST_200600_302600_NS5tupleIffNS6_9null_typeES8_S8_S8_S8_S8_S8_S8_EEEEZZNS1_27merge_sort_block_merge_implIS3_NS6_6detail15normal_iteratorINS6_10device_ptrIjEEEENSD_INSE_IS9_EEEEjNS1_19radix_merge_compareILb0ELb1EjNS0_19identity_decomposerEEEEE10hipError_tT0_T1_T2_jT3_P12ihipStream_tbPNSt15iterator_traitsISN_E10value_typeEPNST_ISO_E10value_typeEPSP_NS1_7vsmem_tEENKUlT_SN_SO_SP_E_clIPjSG_PS9_SI_EESM_S12_SN_SO_SP_EUlS12_E_NS1_11comp_targetILNS1_3genE5ELNS1_11target_archE942ELNS1_3gpuE9ELNS1_3repE0EEENS1_48merge_mergepath_partition_config_static_selectorELNS0_4arch9wavefront6targetE0EEEvSO_ ; -- Begin function _ZN7rocprim17ROCPRIM_400000_NS6detail17trampoline_kernelINS0_14default_configENS1_38merge_sort_block_merge_config_selectorIjN6thrust23THRUST_200600_302600_NS5tupleIffNS6_9null_typeES8_S8_S8_S8_S8_S8_S8_EEEEZZNS1_27merge_sort_block_merge_implIS3_NS6_6detail15normal_iteratorINS6_10device_ptrIjEEEENSD_INSE_IS9_EEEEjNS1_19radix_merge_compareILb0ELb1EjNS0_19identity_decomposerEEEEE10hipError_tT0_T1_T2_jT3_P12ihipStream_tbPNSt15iterator_traitsISN_E10value_typeEPNST_ISO_E10value_typeEPSP_NS1_7vsmem_tEENKUlT_SN_SO_SP_E_clIPjSG_PS9_SI_EESM_S12_SN_SO_SP_EUlS12_E_NS1_11comp_targetILNS1_3genE5ELNS1_11target_archE942ELNS1_3gpuE9ELNS1_3repE0EEENS1_48merge_mergepath_partition_config_static_selectorELNS0_4arch9wavefront6targetE0EEEvSO_
	.globl	_ZN7rocprim17ROCPRIM_400000_NS6detail17trampoline_kernelINS0_14default_configENS1_38merge_sort_block_merge_config_selectorIjN6thrust23THRUST_200600_302600_NS5tupleIffNS6_9null_typeES8_S8_S8_S8_S8_S8_S8_EEEEZZNS1_27merge_sort_block_merge_implIS3_NS6_6detail15normal_iteratorINS6_10device_ptrIjEEEENSD_INSE_IS9_EEEEjNS1_19radix_merge_compareILb0ELb1EjNS0_19identity_decomposerEEEEE10hipError_tT0_T1_T2_jT3_P12ihipStream_tbPNSt15iterator_traitsISN_E10value_typeEPNST_ISO_E10value_typeEPSP_NS1_7vsmem_tEENKUlT_SN_SO_SP_E_clIPjSG_PS9_SI_EESM_S12_SN_SO_SP_EUlS12_E_NS1_11comp_targetILNS1_3genE5ELNS1_11target_archE942ELNS1_3gpuE9ELNS1_3repE0EEENS1_48merge_mergepath_partition_config_static_selectorELNS0_4arch9wavefront6targetE0EEEvSO_
	.p2align	8
	.type	_ZN7rocprim17ROCPRIM_400000_NS6detail17trampoline_kernelINS0_14default_configENS1_38merge_sort_block_merge_config_selectorIjN6thrust23THRUST_200600_302600_NS5tupleIffNS6_9null_typeES8_S8_S8_S8_S8_S8_S8_EEEEZZNS1_27merge_sort_block_merge_implIS3_NS6_6detail15normal_iteratorINS6_10device_ptrIjEEEENSD_INSE_IS9_EEEEjNS1_19radix_merge_compareILb0ELb1EjNS0_19identity_decomposerEEEEE10hipError_tT0_T1_T2_jT3_P12ihipStream_tbPNSt15iterator_traitsISN_E10value_typeEPNST_ISO_E10value_typeEPSP_NS1_7vsmem_tEENKUlT_SN_SO_SP_E_clIPjSG_PS9_SI_EESM_S12_SN_SO_SP_EUlS12_E_NS1_11comp_targetILNS1_3genE5ELNS1_11target_archE942ELNS1_3gpuE9ELNS1_3repE0EEENS1_48merge_mergepath_partition_config_static_selectorELNS0_4arch9wavefront6targetE0EEEvSO_,@function
_ZN7rocprim17ROCPRIM_400000_NS6detail17trampoline_kernelINS0_14default_configENS1_38merge_sort_block_merge_config_selectorIjN6thrust23THRUST_200600_302600_NS5tupleIffNS6_9null_typeES8_S8_S8_S8_S8_S8_S8_EEEEZZNS1_27merge_sort_block_merge_implIS3_NS6_6detail15normal_iteratorINS6_10device_ptrIjEEEENSD_INSE_IS9_EEEEjNS1_19radix_merge_compareILb0ELb1EjNS0_19identity_decomposerEEEEE10hipError_tT0_T1_T2_jT3_P12ihipStream_tbPNSt15iterator_traitsISN_E10value_typeEPNST_ISO_E10value_typeEPSP_NS1_7vsmem_tEENKUlT_SN_SO_SP_E_clIPjSG_PS9_SI_EESM_S12_SN_SO_SP_EUlS12_E_NS1_11comp_targetILNS1_3genE5ELNS1_11target_archE942ELNS1_3gpuE9ELNS1_3repE0EEENS1_48merge_mergepath_partition_config_static_selectorELNS0_4arch9wavefront6targetE0EEEvSO_: ; @_ZN7rocprim17ROCPRIM_400000_NS6detail17trampoline_kernelINS0_14default_configENS1_38merge_sort_block_merge_config_selectorIjN6thrust23THRUST_200600_302600_NS5tupleIffNS6_9null_typeES8_S8_S8_S8_S8_S8_S8_EEEEZZNS1_27merge_sort_block_merge_implIS3_NS6_6detail15normal_iteratorINS6_10device_ptrIjEEEENSD_INSE_IS9_EEEEjNS1_19radix_merge_compareILb0ELb1EjNS0_19identity_decomposerEEEEE10hipError_tT0_T1_T2_jT3_P12ihipStream_tbPNSt15iterator_traitsISN_E10value_typeEPNST_ISO_E10value_typeEPSP_NS1_7vsmem_tEENKUlT_SN_SO_SP_E_clIPjSG_PS9_SI_EESM_S12_SN_SO_SP_EUlS12_E_NS1_11comp_targetILNS1_3genE5ELNS1_11target_archE942ELNS1_3gpuE9ELNS1_3repE0EEENS1_48merge_mergepath_partition_config_static_selectorELNS0_4arch9wavefront6targetE0EEEvSO_
; %bb.0:
	.section	.rodata,"a",@progbits
	.p2align	6, 0x0
	.amdhsa_kernel _ZN7rocprim17ROCPRIM_400000_NS6detail17trampoline_kernelINS0_14default_configENS1_38merge_sort_block_merge_config_selectorIjN6thrust23THRUST_200600_302600_NS5tupleIffNS6_9null_typeES8_S8_S8_S8_S8_S8_S8_EEEEZZNS1_27merge_sort_block_merge_implIS3_NS6_6detail15normal_iteratorINS6_10device_ptrIjEEEENSD_INSE_IS9_EEEEjNS1_19radix_merge_compareILb0ELb1EjNS0_19identity_decomposerEEEEE10hipError_tT0_T1_T2_jT3_P12ihipStream_tbPNSt15iterator_traitsISN_E10value_typeEPNST_ISO_E10value_typeEPSP_NS1_7vsmem_tEENKUlT_SN_SO_SP_E_clIPjSG_PS9_SI_EESM_S12_SN_SO_SP_EUlS12_E_NS1_11comp_targetILNS1_3genE5ELNS1_11target_archE942ELNS1_3gpuE9ELNS1_3repE0EEENS1_48merge_mergepath_partition_config_static_selectorELNS0_4arch9wavefront6targetE0EEEvSO_
		.amdhsa_group_segment_fixed_size 0
		.amdhsa_private_segment_fixed_size 0
		.amdhsa_kernarg_size 40
		.amdhsa_user_sgpr_count 2
		.amdhsa_user_sgpr_dispatch_ptr 0
		.amdhsa_user_sgpr_queue_ptr 0
		.amdhsa_user_sgpr_kernarg_segment_ptr 1
		.amdhsa_user_sgpr_dispatch_id 0
		.amdhsa_user_sgpr_private_segment_size 0
		.amdhsa_wavefront_size32 1
		.amdhsa_uses_dynamic_stack 0
		.amdhsa_enable_private_segment 0
		.amdhsa_system_sgpr_workgroup_id_x 1
		.amdhsa_system_sgpr_workgroup_id_y 0
		.amdhsa_system_sgpr_workgroup_id_z 0
		.amdhsa_system_sgpr_workgroup_info 0
		.amdhsa_system_vgpr_workitem_id 0
		.amdhsa_next_free_vgpr 1
		.amdhsa_next_free_sgpr 1
		.amdhsa_reserve_vcc 0
		.amdhsa_float_round_mode_32 0
		.amdhsa_float_round_mode_16_64 0
		.amdhsa_float_denorm_mode_32 3
		.amdhsa_float_denorm_mode_16_64 3
		.amdhsa_fp16_overflow 0
		.amdhsa_workgroup_processor_mode 1
		.amdhsa_memory_ordered 1
		.amdhsa_forward_progress 1
		.amdhsa_inst_pref_size 0
		.amdhsa_round_robin_scheduling 0
		.amdhsa_exception_fp_ieee_invalid_op 0
		.amdhsa_exception_fp_denorm_src 0
		.amdhsa_exception_fp_ieee_div_zero 0
		.amdhsa_exception_fp_ieee_overflow 0
		.amdhsa_exception_fp_ieee_underflow 0
		.amdhsa_exception_fp_ieee_inexact 0
		.amdhsa_exception_int_div_zero 0
	.end_amdhsa_kernel
	.section	.text._ZN7rocprim17ROCPRIM_400000_NS6detail17trampoline_kernelINS0_14default_configENS1_38merge_sort_block_merge_config_selectorIjN6thrust23THRUST_200600_302600_NS5tupleIffNS6_9null_typeES8_S8_S8_S8_S8_S8_S8_EEEEZZNS1_27merge_sort_block_merge_implIS3_NS6_6detail15normal_iteratorINS6_10device_ptrIjEEEENSD_INSE_IS9_EEEEjNS1_19radix_merge_compareILb0ELb1EjNS0_19identity_decomposerEEEEE10hipError_tT0_T1_T2_jT3_P12ihipStream_tbPNSt15iterator_traitsISN_E10value_typeEPNST_ISO_E10value_typeEPSP_NS1_7vsmem_tEENKUlT_SN_SO_SP_E_clIPjSG_PS9_SI_EESM_S12_SN_SO_SP_EUlS12_E_NS1_11comp_targetILNS1_3genE5ELNS1_11target_archE942ELNS1_3gpuE9ELNS1_3repE0EEENS1_48merge_mergepath_partition_config_static_selectorELNS0_4arch9wavefront6targetE0EEEvSO_,"axG",@progbits,_ZN7rocprim17ROCPRIM_400000_NS6detail17trampoline_kernelINS0_14default_configENS1_38merge_sort_block_merge_config_selectorIjN6thrust23THRUST_200600_302600_NS5tupleIffNS6_9null_typeES8_S8_S8_S8_S8_S8_S8_EEEEZZNS1_27merge_sort_block_merge_implIS3_NS6_6detail15normal_iteratorINS6_10device_ptrIjEEEENSD_INSE_IS9_EEEEjNS1_19radix_merge_compareILb0ELb1EjNS0_19identity_decomposerEEEEE10hipError_tT0_T1_T2_jT3_P12ihipStream_tbPNSt15iterator_traitsISN_E10value_typeEPNST_ISO_E10value_typeEPSP_NS1_7vsmem_tEENKUlT_SN_SO_SP_E_clIPjSG_PS9_SI_EESM_S12_SN_SO_SP_EUlS12_E_NS1_11comp_targetILNS1_3genE5ELNS1_11target_archE942ELNS1_3gpuE9ELNS1_3repE0EEENS1_48merge_mergepath_partition_config_static_selectorELNS0_4arch9wavefront6targetE0EEEvSO_,comdat
.Lfunc_end93:
	.size	_ZN7rocprim17ROCPRIM_400000_NS6detail17trampoline_kernelINS0_14default_configENS1_38merge_sort_block_merge_config_selectorIjN6thrust23THRUST_200600_302600_NS5tupleIffNS6_9null_typeES8_S8_S8_S8_S8_S8_S8_EEEEZZNS1_27merge_sort_block_merge_implIS3_NS6_6detail15normal_iteratorINS6_10device_ptrIjEEEENSD_INSE_IS9_EEEEjNS1_19radix_merge_compareILb0ELb1EjNS0_19identity_decomposerEEEEE10hipError_tT0_T1_T2_jT3_P12ihipStream_tbPNSt15iterator_traitsISN_E10value_typeEPNST_ISO_E10value_typeEPSP_NS1_7vsmem_tEENKUlT_SN_SO_SP_E_clIPjSG_PS9_SI_EESM_S12_SN_SO_SP_EUlS12_E_NS1_11comp_targetILNS1_3genE5ELNS1_11target_archE942ELNS1_3gpuE9ELNS1_3repE0EEENS1_48merge_mergepath_partition_config_static_selectorELNS0_4arch9wavefront6targetE0EEEvSO_, .Lfunc_end93-_ZN7rocprim17ROCPRIM_400000_NS6detail17trampoline_kernelINS0_14default_configENS1_38merge_sort_block_merge_config_selectorIjN6thrust23THRUST_200600_302600_NS5tupleIffNS6_9null_typeES8_S8_S8_S8_S8_S8_S8_EEEEZZNS1_27merge_sort_block_merge_implIS3_NS6_6detail15normal_iteratorINS6_10device_ptrIjEEEENSD_INSE_IS9_EEEEjNS1_19radix_merge_compareILb0ELb1EjNS0_19identity_decomposerEEEEE10hipError_tT0_T1_T2_jT3_P12ihipStream_tbPNSt15iterator_traitsISN_E10value_typeEPNST_ISO_E10value_typeEPSP_NS1_7vsmem_tEENKUlT_SN_SO_SP_E_clIPjSG_PS9_SI_EESM_S12_SN_SO_SP_EUlS12_E_NS1_11comp_targetILNS1_3genE5ELNS1_11target_archE942ELNS1_3gpuE9ELNS1_3repE0EEENS1_48merge_mergepath_partition_config_static_selectorELNS0_4arch9wavefront6targetE0EEEvSO_
                                        ; -- End function
	.set _ZN7rocprim17ROCPRIM_400000_NS6detail17trampoline_kernelINS0_14default_configENS1_38merge_sort_block_merge_config_selectorIjN6thrust23THRUST_200600_302600_NS5tupleIffNS6_9null_typeES8_S8_S8_S8_S8_S8_S8_EEEEZZNS1_27merge_sort_block_merge_implIS3_NS6_6detail15normal_iteratorINS6_10device_ptrIjEEEENSD_INSE_IS9_EEEEjNS1_19radix_merge_compareILb0ELb1EjNS0_19identity_decomposerEEEEE10hipError_tT0_T1_T2_jT3_P12ihipStream_tbPNSt15iterator_traitsISN_E10value_typeEPNST_ISO_E10value_typeEPSP_NS1_7vsmem_tEENKUlT_SN_SO_SP_E_clIPjSG_PS9_SI_EESM_S12_SN_SO_SP_EUlS12_E_NS1_11comp_targetILNS1_3genE5ELNS1_11target_archE942ELNS1_3gpuE9ELNS1_3repE0EEENS1_48merge_mergepath_partition_config_static_selectorELNS0_4arch9wavefront6targetE0EEEvSO_.num_vgpr, 0
	.set _ZN7rocprim17ROCPRIM_400000_NS6detail17trampoline_kernelINS0_14default_configENS1_38merge_sort_block_merge_config_selectorIjN6thrust23THRUST_200600_302600_NS5tupleIffNS6_9null_typeES8_S8_S8_S8_S8_S8_S8_EEEEZZNS1_27merge_sort_block_merge_implIS3_NS6_6detail15normal_iteratorINS6_10device_ptrIjEEEENSD_INSE_IS9_EEEEjNS1_19radix_merge_compareILb0ELb1EjNS0_19identity_decomposerEEEEE10hipError_tT0_T1_T2_jT3_P12ihipStream_tbPNSt15iterator_traitsISN_E10value_typeEPNST_ISO_E10value_typeEPSP_NS1_7vsmem_tEENKUlT_SN_SO_SP_E_clIPjSG_PS9_SI_EESM_S12_SN_SO_SP_EUlS12_E_NS1_11comp_targetILNS1_3genE5ELNS1_11target_archE942ELNS1_3gpuE9ELNS1_3repE0EEENS1_48merge_mergepath_partition_config_static_selectorELNS0_4arch9wavefront6targetE0EEEvSO_.num_agpr, 0
	.set _ZN7rocprim17ROCPRIM_400000_NS6detail17trampoline_kernelINS0_14default_configENS1_38merge_sort_block_merge_config_selectorIjN6thrust23THRUST_200600_302600_NS5tupleIffNS6_9null_typeES8_S8_S8_S8_S8_S8_S8_EEEEZZNS1_27merge_sort_block_merge_implIS3_NS6_6detail15normal_iteratorINS6_10device_ptrIjEEEENSD_INSE_IS9_EEEEjNS1_19radix_merge_compareILb0ELb1EjNS0_19identity_decomposerEEEEE10hipError_tT0_T1_T2_jT3_P12ihipStream_tbPNSt15iterator_traitsISN_E10value_typeEPNST_ISO_E10value_typeEPSP_NS1_7vsmem_tEENKUlT_SN_SO_SP_E_clIPjSG_PS9_SI_EESM_S12_SN_SO_SP_EUlS12_E_NS1_11comp_targetILNS1_3genE5ELNS1_11target_archE942ELNS1_3gpuE9ELNS1_3repE0EEENS1_48merge_mergepath_partition_config_static_selectorELNS0_4arch9wavefront6targetE0EEEvSO_.numbered_sgpr, 0
	.set _ZN7rocprim17ROCPRIM_400000_NS6detail17trampoline_kernelINS0_14default_configENS1_38merge_sort_block_merge_config_selectorIjN6thrust23THRUST_200600_302600_NS5tupleIffNS6_9null_typeES8_S8_S8_S8_S8_S8_S8_EEEEZZNS1_27merge_sort_block_merge_implIS3_NS6_6detail15normal_iteratorINS6_10device_ptrIjEEEENSD_INSE_IS9_EEEEjNS1_19radix_merge_compareILb0ELb1EjNS0_19identity_decomposerEEEEE10hipError_tT0_T1_T2_jT3_P12ihipStream_tbPNSt15iterator_traitsISN_E10value_typeEPNST_ISO_E10value_typeEPSP_NS1_7vsmem_tEENKUlT_SN_SO_SP_E_clIPjSG_PS9_SI_EESM_S12_SN_SO_SP_EUlS12_E_NS1_11comp_targetILNS1_3genE5ELNS1_11target_archE942ELNS1_3gpuE9ELNS1_3repE0EEENS1_48merge_mergepath_partition_config_static_selectorELNS0_4arch9wavefront6targetE0EEEvSO_.num_named_barrier, 0
	.set _ZN7rocprim17ROCPRIM_400000_NS6detail17trampoline_kernelINS0_14default_configENS1_38merge_sort_block_merge_config_selectorIjN6thrust23THRUST_200600_302600_NS5tupleIffNS6_9null_typeES8_S8_S8_S8_S8_S8_S8_EEEEZZNS1_27merge_sort_block_merge_implIS3_NS6_6detail15normal_iteratorINS6_10device_ptrIjEEEENSD_INSE_IS9_EEEEjNS1_19radix_merge_compareILb0ELb1EjNS0_19identity_decomposerEEEEE10hipError_tT0_T1_T2_jT3_P12ihipStream_tbPNSt15iterator_traitsISN_E10value_typeEPNST_ISO_E10value_typeEPSP_NS1_7vsmem_tEENKUlT_SN_SO_SP_E_clIPjSG_PS9_SI_EESM_S12_SN_SO_SP_EUlS12_E_NS1_11comp_targetILNS1_3genE5ELNS1_11target_archE942ELNS1_3gpuE9ELNS1_3repE0EEENS1_48merge_mergepath_partition_config_static_selectorELNS0_4arch9wavefront6targetE0EEEvSO_.private_seg_size, 0
	.set _ZN7rocprim17ROCPRIM_400000_NS6detail17trampoline_kernelINS0_14default_configENS1_38merge_sort_block_merge_config_selectorIjN6thrust23THRUST_200600_302600_NS5tupleIffNS6_9null_typeES8_S8_S8_S8_S8_S8_S8_EEEEZZNS1_27merge_sort_block_merge_implIS3_NS6_6detail15normal_iteratorINS6_10device_ptrIjEEEENSD_INSE_IS9_EEEEjNS1_19radix_merge_compareILb0ELb1EjNS0_19identity_decomposerEEEEE10hipError_tT0_T1_T2_jT3_P12ihipStream_tbPNSt15iterator_traitsISN_E10value_typeEPNST_ISO_E10value_typeEPSP_NS1_7vsmem_tEENKUlT_SN_SO_SP_E_clIPjSG_PS9_SI_EESM_S12_SN_SO_SP_EUlS12_E_NS1_11comp_targetILNS1_3genE5ELNS1_11target_archE942ELNS1_3gpuE9ELNS1_3repE0EEENS1_48merge_mergepath_partition_config_static_selectorELNS0_4arch9wavefront6targetE0EEEvSO_.uses_vcc, 0
	.set _ZN7rocprim17ROCPRIM_400000_NS6detail17trampoline_kernelINS0_14default_configENS1_38merge_sort_block_merge_config_selectorIjN6thrust23THRUST_200600_302600_NS5tupleIffNS6_9null_typeES8_S8_S8_S8_S8_S8_S8_EEEEZZNS1_27merge_sort_block_merge_implIS3_NS6_6detail15normal_iteratorINS6_10device_ptrIjEEEENSD_INSE_IS9_EEEEjNS1_19radix_merge_compareILb0ELb1EjNS0_19identity_decomposerEEEEE10hipError_tT0_T1_T2_jT3_P12ihipStream_tbPNSt15iterator_traitsISN_E10value_typeEPNST_ISO_E10value_typeEPSP_NS1_7vsmem_tEENKUlT_SN_SO_SP_E_clIPjSG_PS9_SI_EESM_S12_SN_SO_SP_EUlS12_E_NS1_11comp_targetILNS1_3genE5ELNS1_11target_archE942ELNS1_3gpuE9ELNS1_3repE0EEENS1_48merge_mergepath_partition_config_static_selectorELNS0_4arch9wavefront6targetE0EEEvSO_.uses_flat_scratch, 0
	.set _ZN7rocprim17ROCPRIM_400000_NS6detail17trampoline_kernelINS0_14default_configENS1_38merge_sort_block_merge_config_selectorIjN6thrust23THRUST_200600_302600_NS5tupleIffNS6_9null_typeES8_S8_S8_S8_S8_S8_S8_EEEEZZNS1_27merge_sort_block_merge_implIS3_NS6_6detail15normal_iteratorINS6_10device_ptrIjEEEENSD_INSE_IS9_EEEEjNS1_19radix_merge_compareILb0ELb1EjNS0_19identity_decomposerEEEEE10hipError_tT0_T1_T2_jT3_P12ihipStream_tbPNSt15iterator_traitsISN_E10value_typeEPNST_ISO_E10value_typeEPSP_NS1_7vsmem_tEENKUlT_SN_SO_SP_E_clIPjSG_PS9_SI_EESM_S12_SN_SO_SP_EUlS12_E_NS1_11comp_targetILNS1_3genE5ELNS1_11target_archE942ELNS1_3gpuE9ELNS1_3repE0EEENS1_48merge_mergepath_partition_config_static_selectorELNS0_4arch9wavefront6targetE0EEEvSO_.has_dyn_sized_stack, 0
	.set _ZN7rocprim17ROCPRIM_400000_NS6detail17trampoline_kernelINS0_14default_configENS1_38merge_sort_block_merge_config_selectorIjN6thrust23THRUST_200600_302600_NS5tupleIffNS6_9null_typeES8_S8_S8_S8_S8_S8_S8_EEEEZZNS1_27merge_sort_block_merge_implIS3_NS6_6detail15normal_iteratorINS6_10device_ptrIjEEEENSD_INSE_IS9_EEEEjNS1_19radix_merge_compareILb0ELb1EjNS0_19identity_decomposerEEEEE10hipError_tT0_T1_T2_jT3_P12ihipStream_tbPNSt15iterator_traitsISN_E10value_typeEPNST_ISO_E10value_typeEPSP_NS1_7vsmem_tEENKUlT_SN_SO_SP_E_clIPjSG_PS9_SI_EESM_S12_SN_SO_SP_EUlS12_E_NS1_11comp_targetILNS1_3genE5ELNS1_11target_archE942ELNS1_3gpuE9ELNS1_3repE0EEENS1_48merge_mergepath_partition_config_static_selectorELNS0_4arch9wavefront6targetE0EEEvSO_.has_recursion, 0
	.set _ZN7rocprim17ROCPRIM_400000_NS6detail17trampoline_kernelINS0_14default_configENS1_38merge_sort_block_merge_config_selectorIjN6thrust23THRUST_200600_302600_NS5tupleIffNS6_9null_typeES8_S8_S8_S8_S8_S8_S8_EEEEZZNS1_27merge_sort_block_merge_implIS3_NS6_6detail15normal_iteratorINS6_10device_ptrIjEEEENSD_INSE_IS9_EEEEjNS1_19radix_merge_compareILb0ELb1EjNS0_19identity_decomposerEEEEE10hipError_tT0_T1_T2_jT3_P12ihipStream_tbPNSt15iterator_traitsISN_E10value_typeEPNST_ISO_E10value_typeEPSP_NS1_7vsmem_tEENKUlT_SN_SO_SP_E_clIPjSG_PS9_SI_EESM_S12_SN_SO_SP_EUlS12_E_NS1_11comp_targetILNS1_3genE5ELNS1_11target_archE942ELNS1_3gpuE9ELNS1_3repE0EEENS1_48merge_mergepath_partition_config_static_selectorELNS0_4arch9wavefront6targetE0EEEvSO_.has_indirect_call, 0
	.section	.AMDGPU.csdata,"",@progbits
; Kernel info:
; codeLenInByte = 0
; TotalNumSgprs: 0
; NumVgprs: 0
; ScratchSize: 0
; MemoryBound: 0
; FloatMode: 240
; IeeeMode: 1
; LDSByteSize: 0 bytes/workgroup (compile time only)
; SGPRBlocks: 0
; VGPRBlocks: 0
; NumSGPRsForWavesPerEU: 1
; NumVGPRsForWavesPerEU: 1
; Occupancy: 16
; WaveLimiterHint : 0
; COMPUTE_PGM_RSRC2:SCRATCH_EN: 0
; COMPUTE_PGM_RSRC2:USER_SGPR: 2
; COMPUTE_PGM_RSRC2:TRAP_HANDLER: 0
; COMPUTE_PGM_RSRC2:TGID_X_EN: 1
; COMPUTE_PGM_RSRC2:TGID_Y_EN: 0
; COMPUTE_PGM_RSRC2:TGID_Z_EN: 0
; COMPUTE_PGM_RSRC2:TIDIG_COMP_CNT: 0
	.section	.text._ZN7rocprim17ROCPRIM_400000_NS6detail17trampoline_kernelINS0_14default_configENS1_38merge_sort_block_merge_config_selectorIjN6thrust23THRUST_200600_302600_NS5tupleIffNS6_9null_typeES8_S8_S8_S8_S8_S8_S8_EEEEZZNS1_27merge_sort_block_merge_implIS3_NS6_6detail15normal_iteratorINS6_10device_ptrIjEEEENSD_INSE_IS9_EEEEjNS1_19radix_merge_compareILb0ELb1EjNS0_19identity_decomposerEEEEE10hipError_tT0_T1_T2_jT3_P12ihipStream_tbPNSt15iterator_traitsISN_E10value_typeEPNST_ISO_E10value_typeEPSP_NS1_7vsmem_tEENKUlT_SN_SO_SP_E_clIPjSG_PS9_SI_EESM_S12_SN_SO_SP_EUlS12_E_NS1_11comp_targetILNS1_3genE4ELNS1_11target_archE910ELNS1_3gpuE8ELNS1_3repE0EEENS1_48merge_mergepath_partition_config_static_selectorELNS0_4arch9wavefront6targetE0EEEvSO_,"axG",@progbits,_ZN7rocprim17ROCPRIM_400000_NS6detail17trampoline_kernelINS0_14default_configENS1_38merge_sort_block_merge_config_selectorIjN6thrust23THRUST_200600_302600_NS5tupleIffNS6_9null_typeES8_S8_S8_S8_S8_S8_S8_EEEEZZNS1_27merge_sort_block_merge_implIS3_NS6_6detail15normal_iteratorINS6_10device_ptrIjEEEENSD_INSE_IS9_EEEEjNS1_19radix_merge_compareILb0ELb1EjNS0_19identity_decomposerEEEEE10hipError_tT0_T1_T2_jT3_P12ihipStream_tbPNSt15iterator_traitsISN_E10value_typeEPNST_ISO_E10value_typeEPSP_NS1_7vsmem_tEENKUlT_SN_SO_SP_E_clIPjSG_PS9_SI_EESM_S12_SN_SO_SP_EUlS12_E_NS1_11comp_targetILNS1_3genE4ELNS1_11target_archE910ELNS1_3gpuE8ELNS1_3repE0EEENS1_48merge_mergepath_partition_config_static_selectorELNS0_4arch9wavefront6targetE0EEEvSO_,comdat
	.protected	_ZN7rocprim17ROCPRIM_400000_NS6detail17trampoline_kernelINS0_14default_configENS1_38merge_sort_block_merge_config_selectorIjN6thrust23THRUST_200600_302600_NS5tupleIffNS6_9null_typeES8_S8_S8_S8_S8_S8_S8_EEEEZZNS1_27merge_sort_block_merge_implIS3_NS6_6detail15normal_iteratorINS6_10device_ptrIjEEEENSD_INSE_IS9_EEEEjNS1_19radix_merge_compareILb0ELb1EjNS0_19identity_decomposerEEEEE10hipError_tT0_T1_T2_jT3_P12ihipStream_tbPNSt15iterator_traitsISN_E10value_typeEPNST_ISO_E10value_typeEPSP_NS1_7vsmem_tEENKUlT_SN_SO_SP_E_clIPjSG_PS9_SI_EESM_S12_SN_SO_SP_EUlS12_E_NS1_11comp_targetILNS1_3genE4ELNS1_11target_archE910ELNS1_3gpuE8ELNS1_3repE0EEENS1_48merge_mergepath_partition_config_static_selectorELNS0_4arch9wavefront6targetE0EEEvSO_ ; -- Begin function _ZN7rocprim17ROCPRIM_400000_NS6detail17trampoline_kernelINS0_14default_configENS1_38merge_sort_block_merge_config_selectorIjN6thrust23THRUST_200600_302600_NS5tupleIffNS6_9null_typeES8_S8_S8_S8_S8_S8_S8_EEEEZZNS1_27merge_sort_block_merge_implIS3_NS6_6detail15normal_iteratorINS6_10device_ptrIjEEEENSD_INSE_IS9_EEEEjNS1_19radix_merge_compareILb0ELb1EjNS0_19identity_decomposerEEEEE10hipError_tT0_T1_T2_jT3_P12ihipStream_tbPNSt15iterator_traitsISN_E10value_typeEPNST_ISO_E10value_typeEPSP_NS1_7vsmem_tEENKUlT_SN_SO_SP_E_clIPjSG_PS9_SI_EESM_S12_SN_SO_SP_EUlS12_E_NS1_11comp_targetILNS1_3genE4ELNS1_11target_archE910ELNS1_3gpuE8ELNS1_3repE0EEENS1_48merge_mergepath_partition_config_static_selectorELNS0_4arch9wavefront6targetE0EEEvSO_
	.globl	_ZN7rocprim17ROCPRIM_400000_NS6detail17trampoline_kernelINS0_14default_configENS1_38merge_sort_block_merge_config_selectorIjN6thrust23THRUST_200600_302600_NS5tupleIffNS6_9null_typeES8_S8_S8_S8_S8_S8_S8_EEEEZZNS1_27merge_sort_block_merge_implIS3_NS6_6detail15normal_iteratorINS6_10device_ptrIjEEEENSD_INSE_IS9_EEEEjNS1_19radix_merge_compareILb0ELb1EjNS0_19identity_decomposerEEEEE10hipError_tT0_T1_T2_jT3_P12ihipStream_tbPNSt15iterator_traitsISN_E10value_typeEPNST_ISO_E10value_typeEPSP_NS1_7vsmem_tEENKUlT_SN_SO_SP_E_clIPjSG_PS9_SI_EESM_S12_SN_SO_SP_EUlS12_E_NS1_11comp_targetILNS1_3genE4ELNS1_11target_archE910ELNS1_3gpuE8ELNS1_3repE0EEENS1_48merge_mergepath_partition_config_static_selectorELNS0_4arch9wavefront6targetE0EEEvSO_
	.p2align	8
	.type	_ZN7rocprim17ROCPRIM_400000_NS6detail17trampoline_kernelINS0_14default_configENS1_38merge_sort_block_merge_config_selectorIjN6thrust23THRUST_200600_302600_NS5tupleIffNS6_9null_typeES8_S8_S8_S8_S8_S8_S8_EEEEZZNS1_27merge_sort_block_merge_implIS3_NS6_6detail15normal_iteratorINS6_10device_ptrIjEEEENSD_INSE_IS9_EEEEjNS1_19radix_merge_compareILb0ELb1EjNS0_19identity_decomposerEEEEE10hipError_tT0_T1_T2_jT3_P12ihipStream_tbPNSt15iterator_traitsISN_E10value_typeEPNST_ISO_E10value_typeEPSP_NS1_7vsmem_tEENKUlT_SN_SO_SP_E_clIPjSG_PS9_SI_EESM_S12_SN_SO_SP_EUlS12_E_NS1_11comp_targetILNS1_3genE4ELNS1_11target_archE910ELNS1_3gpuE8ELNS1_3repE0EEENS1_48merge_mergepath_partition_config_static_selectorELNS0_4arch9wavefront6targetE0EEEvSO_,@function
_ZN7rocprim17ROCPRIM_400000_NS6detail17trampoline_kernelINS0_14default_configENS1_38merge_sort_block_merge_config_selectorIjN6thrust23THRUST_200600_302600_NS5tupleIffNS6_9null_typeES8_S8_S8_S8_S8_S8_S8_EEEEZZNS1_27merge_sort_block_merge_implIS3_NS6_6detail15normal_iteratorINS6_10device_ptrIjEEEENSD_INSE_IS9_EEEEjNS1_19radix_merge_compareILb0ELb1EjNS0_19identity_decomposerEEEEE10hipError_tT0_T1_T2_jT3_P12ihipStream_tbPNSt15iterator_traitsISN_E10value_typeEPNST_ISO_E10value_typeEPSP_NS1_7vsmem_tEENKUlT_SN_SO_SP_E_clIPjSG_PS9_SI_EESM_S12_SN_SO_SP_EUlS12_E_NS1_11comp_targetILNS1_3genE4ELNS1_11target_archE910ELNS1_3gpuE8ELNS1_3repE0EEENS1_48merge_mergepath_partition_config_static_selectorELNS0_4arch9wavefront6targetE0EEEvSO_: ; @_ZN7rocprim17ROCPRIM_400000_NS6detail17trampoline_kernelINS0_14default_configENS1_38merge_sort_block_merge_config_selectorIjN6thrust23THRUST_200600_302600_NS5tupleIffNS6_9null_typeES8_S8_S8_S8_S8_S8_S8_EEEEZZNS1_27merge_sort_block_merge_implIS3_NS6_6detail15normal_iteratorINS6_10device_ptrIjEEEENSD_INSE_IS9_EEEEjNS1_19radix_merge_compareILb0ELb1EjNS0_19identity_decomposerEEEEE10hipError_tT0_T1_T2_jT3_P12ihipStream_tbPNSt15iterator_traitsISN_E10value_typeEPNST_ISO_E10value_typeEPSP_NS1_7vsmem_tEENKUlT_SN_SO_SP_E_clIPjSG_PS9_SI_EESM_S12_SN_SO_SP_EUlS12_E_NS1_11comp_targetILNS1_3genE4ELNS1_11target_archE910ELNS1_3gpuE8ELNS1_3repE0EEENS1_48merge_mergepath_partition_config_static_selectorELNS0_4arch9wavefront6targetE0EEEvSO_
; %bb.0:
	.section	.rodata,"a",@progbits
	.p2align	6, 0x0
	.amdhsa_kernel _ZN7rocprim17ROCPRIM_400000_NS6detail17trampoline_kernelINS0_14default_configENS1_38merge_sort_block_merge_config_selectorIjN6thrust23THRUST_200600_302600_NS5tupleIffNS6_9null_typeES8_S8_S8_S8_S8_S8_S8_EEEEZZNS1_27merge_sort_block_merge_implIS3_NS6_6detail15normal_iteratorINS6_10device_ptrIjEEEENSD_INSE_IS9_EEEEjNS1_19radix_merge_compareILb0ELb1EjNS0_19identity_decomposerEEEEE10hipError_tT0_T1_T2_jT3_P12ihipStream_tbPNSt15iterator_traitsISN_E10value_typeEPNST_ISO_E10value_typeEPSP_NS1_7vsmem_tEENKUlT_SN_SO_SP_E_clIPjSG_PS9_SI_EESM_S12_SN_SO_SP_EUlS12_E_NS1_11comp_targetILNS1_3genE4ELNS1_11target_archE910ELNS1_3gpuE8ELNS1_3repE0EEENS1_48merge_mergepath_partition_config_static_selectorELNS0_4arch9wavefront6targetE0EEEvSO_
		.amdhsa_group_segment_fixed_size 0
		.amdhsa_private_segment_fixed_size 0
		.amdhsa_kernarg_size 40
		.amdhsa_user_sgpr_count 2
		.amdhsa_user_sgpr_dispatch_ptr 0
		.amdhsa_user_sgpr_queue_ptr 0
		.amdhsa_user_sgpr_kernarg_segment_ptr 1
		.amdhsa_user_sgpr_dispatch_id 0
		.amdhsa_user_sgpr_private_segment_size 0
		.amdhsa_wavefront_size32 1
		.amdhsa_uses_dynamic_stack 0
		.amdhsa_enable_private_segment 0
		.amdhsa_system_sgpr_workgroup_id_x 1
		.amdhsa_system_sgpr_workgroup_id_y 0
		.amdhsa_system_sgpr_workgroup_id_z 0
		.amdhsa_system_sgpr_workgroup_info 0
		.amdhsa_system_vgpr_workitem_id 0
		.amdhsa_next_free_vgpr 1
		.amdhsa_next_free_sgpr 1
		.amdhsa_reserve_vcc 0
		.amdhsa_float_round_mode_32 0
		.amdhsa_float_round_mode_16_64 0
		.amdhsa_float_denorm_mode_32 3
		.amdhsa_float_denorm_mode_16_64 3
		.amdhsa_fp16_overflow 0
		.amdhsa_workgroup_processor_mode 1
		.amdhsa_memory_ordered 1
		.amdhsa_forward_progress 1
		.amdhsa_inst_pref_size 0
		.amdhsa_round_robin_scheduling 0
		.amdhsa_exception_fp_ieee_invalid_op 0
		.amdhsa_exception_fp_denorm_src 0
		.amdhsa_exception_fp_ieee_div_zero 0
		.amdhsa_exception_fp_ieee_overflow 0
		.amdhsa_exception_fp_ieee_underflow 0
		.amdhsa_exception_fp_ieee_inexact 0
		.amdhsa_exception_int_div_zero 0
	.end_amdhsa_kernel
	.section	.text._ZN7rocprim17ROCPRIM_400000_NS6detail17trampoline_kernelINS0_14default_configENS1_38merge_sort_block_merge_config_selectorIjN6thrust23THRUST_200600_302600_NS5tupleIffNS6_9null_typeES8_S8_S8_S8_S8_S8_S8_EEEEZZNS1_27merge_sort_block_merge_implIS3_NS6_6detail15normal_iteratorINS6_10device_ptrIjEEEENSD_INSE_IS9_EEEEjNS1_19radix_merge_compareILb0ELb1EjNS0_19identity_decomposerEEEEE10hipError_tT0_T1_T2_jT3_P12ihipStream_tbPNSt15iterator_traitsISN_E10value_typeEPNST_ISO_E10value_typeEPSP_NS1_7vsmem_tEENKUlT_SN_SO_SP_E_clIPjSG_PS9_SI_EESM_S12_SN_SO_SP_EUlS12_E_NS1_11comp_targetILNS1_3genE4ELNS1_11target_archE910ELNS1_3gpuE8ELNS1_3repE0EEENS1_48merge_mergepath_partition_config_static_selectorELNS0_4arch9wavefront6targetE0EEEvSO_,"axG",@progbits,_ZN7rocprim17ROCPRIM_400000_NS6detail17trampoline_kernelINS0_14default_configENS1_38merge_sort_block_merge_config_selectorIjN6thrust23THRUST_200600_302600_NS5tupleIffNS6_9null_typeES8_S8_S8_S8_S8_S8_S8_EEEEZZNS1_27merge_sort_block_merge_implIS3_NS6_6detail15normal_iteratorINS6_10device_ptrIjEEEENSD_INSE_IS9_EEEEjNS1_19radix_merge_compareILb0ELb1EjNS0_19identity_decomposerEEEEE10hipError_tT0_T1_T2_jT3_P12ihipStream_tbPNSt15iterator_traitsISN_E10value_typeEPNST_ISO_E10value_typeEPSP_NS1_7vsmem_tEENKUlT_SN_SO_SP_E_clIPjSG_PS9_SI_EESM_S12_SN_SO_SP_EUlS12_E_NS1_11comp_targetILNS1_3genE4ELNS1_11target_archE910ELNS1_3gpuE8ELNS1_3repE0EEENS1_48merge_mergepath_partition_config_static_selectorELNS0_4arch9wavefront6targetE0EEEvSO_,comdat
.Lfunc_end94:
	.size	_ZN7rocprim17ROCPRIM_400000_NS6detail17trampoline_kernelINS0_14default_configENS1_38merge_sort_block_merge_config_selectorIjN6thrust23THRUST_200600_302600_NS5tupleIffNS6_9null_typeES8_S8_S8_S8_S8_S8_S8_EEEEZZNS1_27merge_sort_block_merge_implIS3_NS6_6detail15normal_iteratorINS6_10device_ptrIjEEEENSD_INSE_IS9_EEEEjNS1_19radix_merge_compareILb0ELb1EjNS0_19identity_decomposerEEEEE10hipError_tT0_T1_T2_jT3_P12ihipStream_tbPNSt15iterator_traitsISN_E10value_typeEPNST_ISO_E10value_typeEPSP_NS1_7vsmem_tEENKUlT_SN_SO_SP_E_clIPjSG_PS9_SI_EESM_S12_SN_SO_SP_EUlS12_E_NS1_11comp_targetILNS1_3genE4ELNS1_11target_archE910ELNS1_3gpuE8ELNS1_3repE0EEENS1_48merge_mergepath_partition_config_static_selectorELNS0_4arch9wavefront6targetE0EEEvSO_, .Lfunc_end94-_ZN7rocprim17ROCPRIM_400000_NS6detail17trampoline_kernelINS0_14default_configENS1_38merge_sort_block_merge_config_selectorIjN6thrust23THRUST_200600_302600_NS5tupleIffNS6_9null_typeES8_S8_S8_S8_S8_S8_S8_EEEEZZNS1_27merge_sort_block_merge_implIS3_NS6_6detail15normal_iteratorINS6_10device_ptrIjEEEENSD_INSE_IS9_EEEEjNS1_19radix_merge_compareILb0ELb1EjNS0_19identity_decomposerEEEEE10hipError_tT0_T1_T2_jT3_P12ihipStream_tbPNSt15iterator_traitsISN_E10value_typeEPNST_ISO_E10value_typeEPSP_NS1_7vsmem_tEENKUlT_SN_SO_SP_E_clIPjSG_PS9_SI_EESM_S12_SN_SO_SP_EUlS12_E_NS1_11comp_targetILNS1_3genE4ELNS1_11target_archE910ELNS1_3gpuE8ELNS1_3repE0EEENS1_48merge_mergepath_partition_config_static_selectorELNS0_4arch9wavefront6targetE0EEEvSO_
                                        ; -- End function
	.set _ZN7rocprim17ROCPRIM_400000_NS6detail17trampoline_kernelINS0_14default_configENS1_38merge_sort_block_merge_config_selectorIjN6thrust23THRUST_200600_302600_NS5tupleIffNS6_9null_typeES8_S8_S8_S8_S8_S8_S8_EEEEZZNS1_27merge_sort_block_merge_implIS3_NS6_6detail15normal_iteratorINS6_10device_ptrIjEEEENSD_INSE_IS9_EEEEjNS1_19radix_merge_compareILb0ELb1EjNS0_19identity_decomposerEEEEE10hipError_tT0_T1_T2_jT3_P12ihipStream_tbPNSt15iterator_traitsISN_E10value_typeEPNST_ISO_E10value_typeEPSP_NS1_7vsmem_tEENKUlT_SN_SO_SP_E_clIPjSG_PS9_SI_EESM_S12_SN_SO_SP_EUlS12_E_NS1_11comp_targetILNS1_3genE4ELNS1_11target_archE910ELNS1_3gpuE8ELNS1_3repE0EEENS1_48merge_mergepath_partition_config_static_selectorELNS0_4arch9wavefront6targetE0EEEvSO_.num_vgpr, 0
	.set _ZN7rocprim17ROCPRIM_400000_NS6detail17trampoline_kernelINS0_14default_configENS1_38merge_sort_block_merge_config_selectorIjN6thrust23THRUST_200600_302600_NS5tupleIffNS6_9null_typeES8_S8_S8_S8_S8_S8_S8_EEEEZZNS1_27merge_sort_block_merge_implIS3_NS6_6detail15normal_iteratorINS6_10device_ptrIjEEEENSD_INSE_IS9_EEEEjNS1_19radix_merge_compareILb0ELb1EjNS0_19identity_decomposerEEEEE10hipError_tT0_T1_T2_jT3_P12ihipStream_tbPNSt15iterator_traitsISN_E10value_typeEPNST_ISO_E10value_typeEPSP_NS1_7vsmem_tEENKUlT_SN_SO_SP_E_clIPjSG_PS9_SI_EESM_S12_SN_SO_SP_EUlS12_E_NS1_11comp_targetILNS1_3genE4ELNS1_11target_archE910ELNS1_3gpuE8ELNS1_3repE0EEENS1_48merge_mergepath_partition_config_static_selectorELNS0_4arch9wavefront6targetE0EEEvSO_.num_agpr, 0
	.set _ZN7rocprim17ROCPRIM_400000_NS6detail17trampoline_kernelINS0_14default_configENS1_38merge_sort_block_merge_config_selectorIjN6thrust23THRUST_200600_302600_NS5tupleIffNS6_9null_typeES8_S8_S8_S8_S8_S8_S8_EEEEZZNS1_27merge_sort_block_merge_implIS3_NS6_6detail15normal_iteratorINS6_10device_ptrIjEEEENSD_INSE_IS9_EEEEjNS1_19radix_merge_compareILb0ELb1EjNS0_19identity_decomposerEEEEE10hipError_tT0_T1_T2_jT3_P12ihipStream_tbPNSt15iterator_traitsISN_E10value_typeEPNST_ISO_E10value_typeEPSP_NS1_7vsmem_tEENKUlT_SN_SO_SP_E_clIPjSG_PS9_SI_EESM_S12_SN_SO_SP_EUlS12_E_NS1_11comp_targetILNS1_3genE4ELNS1_11target_archE910ELNS1_3gpuE8ELNS1_3repE0EEENS1_48merge_mergepath_partition_config_static_selectorELNS0_4arch9wavefront6targetE0EEEvSO_.numbered_sgpr, 0
	.set _ZN7rocprim17ROCPRIM_400000_NS6detail17trampoline_kernelINS0_14default_configENS1_38merge_sort_block_merge_config_selectorIjN6thrust23THRUST_200600_302600_NS5tupleIffNS6_9null_typeES8_S8_S8_S8_S8_S8_S8_EEEEZZNS1_27merge_sort_block_merge_implIS3_NS6_6detail15normal_iteratorINS6_10device_ptrIjEEEENSD_INSE_IS9_EEEEjNS1_19radix_merge_compareILb0ELb1EjNS0_19identity_decomposerEEEEE10hipError_tT0_T1_T2_jT3_P12ihipStream_tbPNSt15iterator_traitsISN_E10value_typeEPNST_ISO_E10value_typeEPSP_NS1_7vsmem_tEENKUlT_SN_SO_SP_E_clIPjSG_PS9_SI_EESM_S12_SN_SO_SP_EUlS12_E_NS1_11comp_targetILNS1_3genE4ELNS1_11target_archE910ELNS1_3gpuE8ELNS1_3repE0EEENS1_48merge_mergepath_partition_config_static_selectorELNS0_4arch9wavefront6targetE0EEEvSO_.num_named_barrier, 0
	.set _ZN7rocprim17ROCPRIM_400000_NS6detail17trampoline_kernelINS0_14default_configENS1_38merge_sort_block_merge_config_selectorIjN6thrust23THRUST_200600_302600_NS5tupleIffNS6_9null_typeES8_S8_S8_S8_S8_S8_S8_EEEEZZNS1_27merge_sort_block_merge_implIS3_NS6_6detail15normal_iteratorINS6_10device_ptrIjEEEENSD_INSE_IS9_EEEEjNS1_19radix_merge_compareILb0ELb1EjNS0_19identity_decomposerEEEEE10hipError_tT0_T1_T2_jT3_P12ihipStream_tbPNSt15iterator_traitsISN_E10value_typeEPNST_ISO_E10value_typeEPSP_NS1_7vsmem_tEENKUlT_SN_SO_SP_E_clIPjSG_PS9_SI_EESM_S12_SN_SO_SP_EUlS12_E_NS1_11comp_targetILNS1_3genE4ELNS1_11target_archE910ELNS1_3gpuE8ELNS1_3repE0EEENS1_48merge_mergepath_partition_config_static_selectorELNS0_4arch9wavefront6targetE0EEEvSO_.private_seg_size, 0
	.set _ZN7rocprim17ROCPRIM_400000_NS6detail17trampoline_kernelINS0_14default_configENS1_38merge_sort_block_merge_config_selectorIjN6thrust23THRUST_200600_302600_NS5tupleIffNS6_9null_typeES8_S8_S8_S8_S8_S8_S8_EEEEZZNS1_27merge_sort_block_merge_implIS3_NS6_6detail15normal_iteratorINS6_10device_ptrIjEEEENSD_INSE_IS9_EEEEjNS1_19radix_merge_compareILb0ELb1EjNS0_19identity_decomposerEEEEE10hipError_tT0_T1_T2_jT3_P12ihipStream_tbPNSt15iterator_traitsISN_E10value_typeEPNST_ISO_E10value_typeEPSP_NS1_7vsmem_tEENKUlT_SN_SO_SP_E_clIPjSG_PS9_SI_EESM_S12_SN_SO_SP_EUlS12_E_NS1_11comp_targetILNS1_3genE4ELNS1_11target_archE910ELNS1_3gpuE8ELNS1_3repE0EEENS1_48merge_mergepath_partition_config_static_selectorELNS0_4arch9wavefront6targetE0EEEvSO_.uses_vcc, 0
	.set _ZN7rocprim17ROCPRIM_400000_NS6detail17trampoline_kernelINS0_14default_configENS1_38merge_sort_block_merge_config_selectorIjN6thrust23THRUST_200600_302600_NS5tupleIffNS6_9null_typeES8_S8_S8_S8_S8_S8_S8_EEEEZZNS1_27merge_sort_block_merge_implIS3_NS6_6detail15normal_iteratorINS6_10device_ptrIjEEEENSD_INSE_IS9_EEEEjNS1_19radix_merge_compareILb0ELb1EjNS0_19identity_decomposerEEEEE10hipError_tT0_T1_T2_jT3_P12ihipStream_tbPNSt15iterator_traitsISN_E10value_typeEPNST_ISO_E10value_typeEPSP_NS1_7vsmem_tEENKUlT_SN_SO_SP_E_clIPjSG_PS9_SI_EESM_S12_SN_SO_SP_EUlS12_E_NS1_11comp_targetILNS1_3genE4ELNS1_11target_archE910ELNS1_3gpuE8ELNS1_3repE0EEENS1_48merge_mergepath_partition_config_static_selectorELNS0_4arch9wavefront6targetE0EEEvSO_.uses_flat_scratch, 0
	.set _ZN7rocprim17ROCPRIM_400000_NS6detail17trampoline_kernelINS0_14default_configENS1_38merge_sort_block_merge_config_selectorIjN6thrust23THRUST_200600_302600_NS5tupleIffNS6_9null_typeES8_S8_S8_S8_S8_S8_S8_EEEEZZNS1_27merge_sort_block_merge_implIS3_NS6_6detail15normal_iteratorINS6_10device_ptrIjEEEENSD_INSE_IS9_EEEEjNS1_19radix_merge_compareILb0ELb1EjNS0_19identity_decomposerEEEEE10hipError_tT0_T1_T2_jT3_P12ihipStream_tbPNSt15iterator_traitsISN_E10value_typeEPNST_ISO_E10value_typeEPSP_NS1_7vsmem_tEENKUlT_SN_SO_SP_E_clIPjSG_PS9_SI_EESM_S12_SN_SO_SP_EUlS12_E_NS1_11comp_targetILNS1_3genE4ELNS1_11target_archE910ELNS1_3gpuE8ELNS1_3repE0EEENS1_48merge_mergepath_partition_config_static_selectorELNS0_4arch9wavefront6targetE0EEEvSO_.has_dyn_sized_stack, 0
	.set _ZN7rocprim17ROCPRIM_400000_NS6detail17trampoline_kernelINS0_14default_configENS1_38merge_sort_block_merge_config_selectorIjN6thrust23THRUST_200600_302600_NS5tupleIffNS6_9null_typeES8_S8_S8_S8_S8_S8_S8_EEEEZZNS1_27merge_sort_block_merge_implIS3_NS6_6detail15normal_iteratorINS6_10device_ptrIjEEEENSD_INSE_IS9_EEEEjNS1_19radix_merge_compareILb0ELb1EjNS0_19identity_decomposerEEEEE10hipError_tT0_T1_T2_jT3_P12ihipStream_tbPNSt15iterator_traitsISN_E10value_typeEPNST_ISO_E10value_typeEPSP_NS1_7vsmem_tEENKUlT_SN_SO_SP_E_clIPjSG_PS9_SI_EESM_S12_SN_SO_SP_EUlS12_E_NS1_11comp_targetILNS1_3genE4ELNS1_11target_archE910ELNS1_3gpuE8ELNS1_3repE0EEENS1_48merge_mergepath_partition_config_static_selectorELNS0_4arch9wavefront6targetE0EEEvSO_.has_recursion, 0
	.set _ZN7rocprim17ROCPRIM_400000_NS6detail17trampoline_kernelINS0_14default_configENS1_38merge_sort_block_merge_config_selectorIjN6thrust23THRUST_200600_302600_NS5tupleIffNS6_9null_typeES8_S8_S8_S8_S8_S8_S8_EEEEZZNS1_27merge_sort_block_merge_implIS3_NS6_6detail15normal_iteratorINS6_10device_ptrIjEEEENSD_INSE_IS9_EEEEjNS1_19radix_merge_compareILb0ELb1EjNS0_19identity_decomposerEEEEE10hipError_tT0_T1_T2_jT3_P12ihipStream_tbPNSt15iterator_traitsISN_E10value_typeEPNST_ISO_E10value_typeEPSP_NS1_7vsmem_tEENKUlT_SN_SO_SP_E_clIPjSG_PS9_SI_EESM_S12_SN_SO_SP_EUlS12_E_NS1_11comp_targetILNS1_3genE4ELNS1_11target_archE910ELNS1_3gpuE8ELNS1_3repE0EEENS1_48merge_mergepath_partition_config_static_selectorELNS0_4arch9wavefront6targetE0EEEvSO_.has_indirect_call, 0
	.section	.AMDGPU.csdata,"",@progbits
; Kernel info:
; codeLenInByte = 0
; TotalNumSgprs: 0
; NumVgprs: 0
; ScratchSize: 0
; MemoryBound: 0
; FloatMode: 240
; IeeeMode: 1
; LDSByteSize: 0 bytes/workgroup (compile time only)
; SGPRBlocks: 0
; VGPRBlocks: 0
; NumSGPRsForWavesPerEU: 1
; NumVGPRsForWavesPerEU: 1
; Occupancy: 16
; WaveLimiterHint : 0
; COMPUTE_PGM_RSRC2:SCRATCH_EN: 0
; COMPUTE_PGM_RSRC2:USER_SGPR: 2
; COMPUTE_PGM_RSRC2:TRAP_HANDLER: 0
; COMPUTE_PGM_RSRC2:TGID_X_EN: 1
; COMPUTE_PGM_RSRC2:TGID_Y_EN: 0
; COMPUTE_PGM_RSRC2:TGID_Z_EN: 0
; COMPUTE_PGM_RSRC2:TIDIG_COMP_CNT: 0
	.section	.text._ZN7rocprim17ROCPRIM_400000_NS6detail17trampoline_kernelINS0_14default_configENS1_38merge_sort_block_merge_config_selectorIjN6thrust23THRUST_200600_302600_NS5tupleIffNS6_9null_typeES8_S8_S8_S8_S8_S8_S8_EEEEZZNS1_27merge_sort_block_merge_implIS3_NS6_6detail15normal_iteratorINS6_10device_ptrIjEEEENSD_INSE_IS9_EEEEjNS1_19radix_merge_compareILb0ELb1EjNS0_19identity_decomposerEEEEE10hipError_tT0_T1_T2_jT3_P12ihipStream_tbPNSt15iterator_traitsISN_E10value_typeEPNST_ISO_E10value_typeEPSP_NS1_7vsmem_tEENKUlT_SN_SO_SP_E_clIPjSG_PS9_SI_EESM_S12_SN_SO_SP_EUlS12_E_NS1_11comp_targetILNS1_3genE3ELNS1_11target_archE908ELNS1_3gpuE7ELNS1_3repE0EEENS1_48merge_mergepath_partition_config_static_selectorELNS0_4arch9wavefront6targetE0EEEvSO_,"axG",@progbits,_ZN7rocprim17ROCPRIM_400000_NS6detail17trampoline_kernelINS0_14default_configENS1_38merge_sort_block_merge_config_selectorIjN6thrust23THRUST_200600_302600_NS5tupleIffNS6_9null_typeES8_S8_S8_S8_S8_S8_S8_EEEEZZNS1_27merge_sort_block_merge_implIS3_NS6_6detail15normal_iteratorINS6_10device_ptrIjEEEENSD_INSE_IS9_EEEEjNS1_19radix_merge_compareILb0ELb1EjNS0_19identity_decomposerEEEEE10hipError_tT0_T1_T2_jT3_P12ihipStream_tbPNSt15iterator_traitsISN_E10value_typeEPNST_ISO_E10value_typeEPSP_NS1_7vsmem_tEENKUlT_SN_SO_SP_E_clIPjSG_PS9_SI_EESM_S12_SN_SO_SP_EUlS12_E_NS1_11comp_targetILNS1_3genE3ELNS1_11target_archE908ELNS1_3gpuE7ELNS1_3repE0EEENS1_48merge_mergepath_partition_config_static_selectorELNS0_4arch9wavefront6targetE0EEEvSO_,comdat
	.protected	_ZN7rocprim17ROCPRIM_400000_NS6detail17trampoline_kernelINS0_14default_configENS1_38merge_sort_block_merge_config_selectorIjN6thrust23THRUST_200600_302600_NS5tupleIffNS6_9null_typeES8_S8_S8_S8_S8_S8_S8_EEEEZZNS1_27merge_sort_block_merge_implIS3_NS6_6detail15normal_iteratorINS6_10device_ptrIjEEEENSD_INSE_IS9_EEEEjNS1_19radix_merge_compareILb0ELb1EjNS0_19identity_decomposerEEEEE10hipError_tT0_T1_T2_jT3_P12ihipStream_tbPNSt15iterator_traitsISN_E10value_typeEPNST_ISO_E10value_typeEPSP_NS1_7vsmem_tEENKUlT_SN_SO_SP_E_clIPjSG_PS9_SI_EESM_S12_SN_SO_SP_EUlS12_E_NS1_11comp_targetILNS1_3genE3ELNS1_11target_archE908ELNS1_3gpuE7ELNS1_3repE0EEENS1_48merge_mergepath_partition_config_static_selectorELNS0_4arch9wavefront6targetE0EEEvSO_ ; -- Begin function _ZN7rocprim17ROCPRIM_400000_NS6detail17trampoline_kernelINS0_14default_configENS1_38merge_sort_block_merge_config_selectorIjN6thrust23THRUST_200600_302600_NS5tupleIffNS6_9null_typeES8_S8_S8_S8_S8_S8_S8_EEEEZZNS1_27merge_sort_block_merge_implIS3_NS6_6detail15normal_iteratorINS6_10device_ptrIjEEEENSD_INSE_IS9_EEEEjNS1_19radix_merge_compareILb0ELb1EjNS0_19identity_decomposerEEEEE10hipError_tT0_T1_T2_jT3_P12ihipStream_tbPNSt15iterator_traitsISN_E10value_typeEPNST_ISO_E10value_typeEPSP_NS1_7vsmem_tEENKUlT_SN_SO_SP_E_clIPjSG_PS9_SI_EESM_S12_SN_SO_SP_EUlS12_E_NS1_11comp_targetILNS1_3genE3ELNS1_11target_archE908ELNS1_3gpuE7ELNS1_3repE0EEENS1_48merge_mergepath_partition_config_static_selectorELNS0_4arch9wavefront6targetE0EEEvSO_
	.globl	_ZN7rocprim17ROCPRIM_400000_NS6detail17trampoline_kernelINS0_14default_configENS1_38merge_sort_block_merge_config_selectorIjN6thrust23THRUST_200600_302600_NS5tupleIffNS6_9null_typeES8_S8_S8_S8_S8_S8_S8_EEEEZZNS1_27merge_sort_block_merge_implIS3_NS6_6detail15normal_iteratorINS6_10device_ptrIjEEEENSD_INSE_IS9_EEEEjNS1_19radix_merge_compareILb0ELb1EjNS0_19identity_decomposerEEEEE10hipError_tT0_T1_T2_jT3_P12ihipStream_tbPNSt15iterator_traitsISN_E10value_typeEPNST_ISO_E10value_typeEPSP_NS1_7vsmem_tEENKUlT_SN_SO_SP_E_clIPjSG_PS9_SI_EESM_S12_SN_SO_SP_EUlS12_E_NS1_11comp_targetILNS1_3genE3ELNS1_11target_archE908ELNS1_3gpuE7ELNS1_3repE0EEENS1_48merge_mergepath_partition_config_static_selectorELNS0_4arch9wavefront6targetE0EEEvSO_
	.p2align	8
	.type	_ZN7rocprim17ROCPRIM_400000_NS6detail17trampoline_kernelINS0_14default_configENS1_38merge_sort_block_merge_config_selectorIjN6thrust23THRUST_200600_302600_NS5tupleIffNS6_9null_typeES8_S8_S8_S8_S8_S8_S8_EEEEZZNS1_27merge_sort_block_merge_implIS3_NS6_6detail15normal_iteratorINS6_10device_ptrIjEEEENSD_INSE_IS9_EEEEjNS1_19radix_merge_compareILb0ELb1EjNS0_19identity_decomposerEEEEE10hipError_tT0_T1_T2_jT3_P12ihipStream_tbPNSt15iterator_traitsISN_E10value_typeEPNST_ISO_E10value_typeEPSP_NS1_7vsmem_tEENKUlT_SN_SO_SP_E_clIPjSG_PS9_SI_EESM_S12_SN_SO_SP_EUlS12_E_NS1_11comp_targetILNS1_3genE3ELNS1_11target_archE908ELNS1_3gpuE7ELNS1_3repE0EEENS1_48merge_mergepath_partition_config_static_selectorELNS0_4arch9wavefront6targetE0EEEvSO_,@function
_ZN7rocprim17ROCPRIM_400000_NS6detail17trampoline_kernelINS0_14default_configENS1_38merge_sort_block_merge_config_selectorIjN6thrust23THRUST_200600_302600_NS5tupleIffNS6_9null_typeES8_S8_S8_S8_S8_S8_S8_EEEEZZNS1_27merge_sort_block_merge_implIS3_NS6_6detail15normal_iteratorINS6_10device_ptrIjEEEENSD_INSE_IS9_EEEEjNS1_19radix_merge_compareILb0ELb1EjNS0_19identity_decomposerEEEEE10hipError_tT0_T1_T2_jT3_P12ihipStream_tbPNSt15iterator_traitsISN_E10value_typeEPNST_ISO_E10value_typeEPSP_NS1_7vsmem_tEENKUlT_SN_SO_SP_E_clIPjSG_PS9_SI_EESM_S12_SN_SO_SP_EUlS12_E_NS1_11comp_targetILNS1_3genE3ELNS1_11target_archE908ELNS1_3gpuE7ELNS1_3repE0EEENS1_48merge_mergepath_partition_config_static_selectorELNS0_4arch9wavefront6targetE0EEEvSO_: ; @_ZN7rocprim17ROCPRIM_400000_NS6detail17trampoline_kernelINS0_14default_configENS1_38merge_sort_block_merge_config_selectorIjN6thrust23THRUST_200600_302600_NS5tupleIffNS6_9null_typeES8_S8_S8_S8_S8_S8_S8_EEEEZZNS1_27merge_sort_block_merge_implIS3_NS6_6detail15normal_iteratorINS6_10device_ptrIjEEEENSD_INSE_IS9_EEEEjNS1_19radix_merge_compareILb0ELb1EjNS0_19identity_decomposerEEEEE10hipError_tT0_T1_T2_jT3_P12ihipStream_tbPNSt15iterator_traitsISN_E10value_typeEPNST_ISO_E10value_typeEPSP_NS1_7vsmem_tEENKUlT_SN_SO_SP_E_clIPjSG_PS9_SI_EESM_S12_SN_SO_SP_EUlS12_E_NS1_11comp_targetILNS1_3genE3ELNS1_11target_archE908ELNS1_3gpuE7ELNS1_3repE0EEENS1_48merge_mergepath_partition_config_static_selectorELNS0_4arch9wavefront6targetE0EEEvSO_
; %bb.0:
	.section	.rodata,"a",@progbits
	.p2align	6, 0x0
	.amdhsa_kernel _ZN7rocprim17ROCPRIM_400000_NS6detail17trampoline_kernelINS0_14default_configENS1_38merge_sort_block_merge_config_selectorIjN6thrust23THRUST_200600_302600_NS5tupleIffNS6_9null_typeES8_S8_S8_S8_S8_S8_S8_EEEEZZNS1_27merge_sort_block_merge_implIS3_NS6_6detail15normal_iteratorINS6_10device_ptrIjEEEENSD_INSE_IS9_EEEEjNS1_19radix_merge_compareILb0ELb1EjNS0_19identity_decomposerEEEEE10hipError_tT0_T1_T2_jT3_P12ihipStream_tbPNSt15iterator_traitsISN_E10value_typeEPNST_ISO_E10value_typeEPSP_NS1_7vsmem_tEENKUlT_SN_SO_SP_E_clIPjSG_PS9_SI_EESM_S12_SN_SO_SP_EUlS12_E_NS1_11comp_targetILNS1_3genE3ELNS1_11target_archE908ELNS1_3gpuE7ELNS1_3repE0EEENS1_48merge_mergepath_partition_config_static_selectorELNS0_4arch9wavefront6targetE0EEEvSO_
		.amdhsa_group_segment_fixed_size 0
		.amdhsa_private_segment_fixed_size 0
		.amdhsa_kernarg_size 40
		.amdhsa_user_sgpr_count 2
		.amdhsa_user_sgpr_dispatch_ptr 0
		.amdhsa_user_sgpr_queue_ptr 0
		.amdhsa_user_sgpr_kernarg_segment_ptr 1
		.amdhsa_user_sgpr_dispatch_id 0
		.amdhsa_user_sgpr_private_segment_size 0
		.amdhsa_wavefront_size32 1
		.amdhsa_uses_dynamic_stack 0
		.amdhsa_enable_private_segment 0
		.amdhsa_system_sgpr_workgroup_id_x 1
		.amdhsa_system_sgpr_workgroup_id_y 0
		.amdhsa_system_sgpr_workgroup_id_z 0
		.amdhsa_system_sgpr_workgroup_info 0
		.amdhsa_system_vgpr_workitem_id 0
		.amdhsa_next_free_vgpr 1
		.amdhsa_next_free_sgpr 1
		.amdhsa_reserve_vcc 0
		.amdhsa_float_round_mode_32 0
		.amdhsa_float_round_mode_16_64 0
		.amdhsa_float_denorm_mode_32 3
		.amdhsa_float_denorm_mode_16_64 3
		.amdhsa_fp16_overflow 0
		.amdhsa_workgroup_processor_mode 1
		.amdhsa_memory_ordered 1
		.amdhsa_forward_progress 1
		.amdhsa_inst_pref_size 0
		.amdhsa_round_robin_scheduling 0
		.amdhsa_exception_fp_ieee_invalid_op 0
		.amdhsa_exception_fp_denorm_src 0
		.amdhsa_exception_fp_ieee_div_zero 0
		.amdhsa_exception_fp_ieee_overflow 0
		.amdhsa_exception_fp_ieee_underflow 0
		.amdhsa_exception_fp_ieee_inexact 0
		.amdhsa_exception_int_div_zero 0
	.end_amdhsa_kernel
	.section	.text._ZN7rocprim17ROCPRIM_400000_NS6detail17trampoline_kernelINS0_14default_configENS1_38merge_sort_block_merge_config_selectorIjN6thrust23THRUST_200600_302600_NS5tupleIffNS6_9null_typeES8_S8_S8_S8_S8_S8_S8_EEEEZZNS1_27merge_sort_block_merge_implIS3_NS6_6detail15normal_iteratorINS6_10device_ptrIjEEEENSD_INSE_IS9_EEEEjNS1_19radix_merge_compareILb0ELb1EjNS0_19identity_decomposerEEEEE10hipError_tT0_T1_T2_jT3_P12ihipStream_tbPNSt15iterator_traitsISN_E10value_typeEPNST_ISO_E10value_typeEPSP_NS1_7vsmem_tEENKUlT_SN_SO_SP_E_clIPjSG_PS9_SI_EESM_S12_SN_SO_SP_EUlS12_E_NS1_11comp_targetILNS1_3genE3ELNS1_11target_archE908ELNS1_3gpuE7ELNS1_3repE0EEENS1_48merge_mergepath_partition_config_static_selectorELNS0_4arch9wavefront6targetE0EEEvSO_,"axG",@progbits,_ZN7rocprim17ROCPRIM_400000_NS6detail17trampoline_kernelINS0_14default_configENS1_38merge_sort_block_merge_config_selectorIjN6thrust23THRUST_200600_302600_NS5tupleIffNS6_9null_typeES8_S8_S8_S8_S8_S8_S8_EEEEZZNS1_27merge_sort_block_merge_implIS3_NS6_6detail15normal_iteratorINS6_10device_ptrIjEEEENSD_INSE_IS9_EEEEjNS1_19radix_merge_compareILb0ELb1EjNS0_19identity_decomposerEEEEE10hipError_tT0_T1_T2_jT3_P12ihipStream_tbPNSt15iterator_traitsISN_E10value_typeEPNST_ISO_E10value_typeEPSP_NS1_7vsmem_tEENKUlT_SN_SO_SP_E_clIPjSG_PS9_SI_EESM_S12_SN_SO_SP_EUlS12_E_NS1_11comp_targetILNS1_3genE3ELNS1_11target_archE908ELNS1_3gpuE7ELNS1_3repE0EEENS1_48merge_mergepath_partition_config_static_selectorELNS0_4arch9wavefront6targetE0EEEvSO_,comdat
.Lfunc_end95:
	.size	_ZN7rocprim17ROCPRIM_400000_NS6detail17trampoline_kernelINS0_14default_configENS1_38merge_sort_block_merge_config_selectorIjN6thrust23THRUST_200600_302600_NS5tupleIffNS6_9null_typeES8_S8_S8_S8_S8_S8_S8_EEEEZZNS1_27merge_sort_block_merge_implIS3_NS6_6detail15normal_iteratorINS6_10device_ptrIjEEEENSD_INSE_IS9_EEEEjNS1_19radix_merge_compareILb0ELb1EjNS0_19identity_decomposerEEEEE10hipError_tT0_T1_T2_jT3_P12ihipStream_tbPNSt15iterator_traitsISN_E10value_typeEPNST_ISO_E10value_typeEPSP_NS1_7vsmem_tEENKUlT_SN_SO_SP_E_clIPjSG_PS9_SI_EESM_S12_SN_SO_SP_EUlS12_E_NS1_11comp_targetILNS1_3genE3ELNS1_11target_archE908ELNS1_3gpuE7ELNS1_3repE0EEENS1_48merge_mergepath_partition_config_static_selectorELNS0_4arch9wavefront6targetE0EEEvSO_, .Lfunc_end95-_ZN7rocprim17ROCPRIM_400000_NS6detail17trampoline_kernelINS0_14default_configENS1_38merge_sort_block_merge_config_selectorIjN6thrust23THRUST_200600_302600_NS5tupleIffNS6_9null_typeES8_S8_S8_S8_S8_S8_S8_EEEEZZNS1_27merge_sort_block_merge_implIS3_NS6_6detail15normal_iteratorINS6_10device_ptrIjEEEENSD_INSE_IS9_EEEEjNS1_19radix_merge_compareILb0ELb1EjNS0_19identity_decomposerEEEEE10hipError_tT0_T1_T2_jT3_P12ihipStream_tbPNSt15iterator_traitsISN_E10value_typeEPNST_ISO_E10value_typeEPSP_NS1_7vsmem_tEENKUlT_SN_SO_SP_E_clIPjSG_PS9_SI_EESM_S12_SN_SO_SP_EUlS12_E_NS1_11comp_targetILNS1_3genE3ELNS1_11target_archE908ELNS1_3gpuE7ELNS1_3repE0EEENS1_48merge_mergepath_partition_config_static_selectorELNS0_4arch9wavefront6targetE0EEEvSO_
                                        ; -- End function
	.set _ZN7rocprim17ROCPRIM_400000_NS6detail17trampoline_kernelINS0_14default_configENS1_38merge_sort_block_merge_config_selectorIjN6thrust23THRUST_200600_302600_NS5tupleIffNS6_9null_typeES8_S8_S8_S8_S8_S8_S8_EEEEZZNS1_27merge_sort_block_merge_implIS3_NS6_6detail15normal_iteratorINS6_10device_ptrIjEEEENSD_INSE_IS9_EEEEjNS1_19radix_merge_compareILb0ELb1EjNS0_19identity_decomposerEEEEE10hipError_tT0_T1_T2_jT3_P12ihipStream_tbPNSt15iterator_traitsISN_E10value_typeEPNST_ISO_E10value_typeEPSP_NS1_7vsmem_tEENKUlT_SN_SO_SP_E_clIPjSG_PS9_SI_EESM_S12_SN_SO_SP_EUlS12_E_NS1_11comp_targetILNS1_3genE3ELNS1_11target_archE908ELNS1_3gpuE7ELNS1_3repE0EEENS1_48merge_mergepath_partition_config_static_selectorELNS0_4arch9wavefront6targetE0EEEvSO_.num_vgpr, 0
	.set _ZN7rocprim17ROCPRIM_400000_NS6detail17trampoline_kernelINS0_14default_configENS1_38merge_sort_block_merge_config_selectorIjN6thrust23THRUST_200600_302600_NS5tupleIffNS6_9null_typeES8_S8_S8_S8_S8_S8_S8_EEEEZZNS1_27merge_sort_block_merge_implIS3_NS6_6detail15normal_iteratorINS6_10device_ptrIjEEEENSD_INSE_IS9_EEEEjNS1_19radix_merge_compareILb0ELb1EjNS0_19identity_decomposerEEEEE10hipError_tT0_T1_T2_jT3_P12ihipStream_tbPNSt15iterator_traitsISN_E10value_typeEPNST_ISO_E10value_typeEPSP_NS1_7vsmem_tEENKUlT_SN_SO_SP_E_clIPjSG_PS9_SI_EESM_S12_SN_SO_SP_EUlS12_E_NS1_11comp_targetILNS1_3genE3ELNS1_11target_archE908ELNS1_3gpuE7ELNS1_3repE0EEENS1_48merge_mergepath_partition_config_static_selectorELNS0_4arch9wavefront6targetE0EEEvSO_.num_agpr, 0
	.set _ZN7rocprim17ROCPRIM_400000_NS6detail17trampoline_kernelINS0_14default_configENS1_38merge_sort_block_merge_config_selectorIjN6thrust23THRUST_200600_302600_NS5tupleIffNS6_9null_typeES8_S8_S8_S8_S8_S8_S8_EEEEZZNS1_27merge_sort_block_merge_implIS3_NS6_6detail15normal_iteratorINS6_10device_ptrIjEEEENSD_INSE_IS9_EEEEjNS1_19radix_merge_compareILb0ELb1EjNS0_19identity_decomposerEEEEE10hipError_tT0_T1_T2_jT3_P12ihipStream_tbPNSt15iterator_traitsISN_E10value_typeEPNST_ISO_E10value_typeEPSP_NS1_7vsmem_tEENKUlT_SN_SO_SP_E_clIPjSG_PS9_SI_EESM_S12_SN_SO_SP_EUlS12_E_NS1_11comp_targetILNS1_3genE3ELNS1_11target_archE908ELNS1_3gpuE7ELNS1_3repE0EEENS1_48merge_mergepath_partition_config_static_selectorELNS0_4arch9wavefront6targetE0EEEvSO_.numbered_sgpr, 0
	.set _ZN7rocprim17ROCPRIM_400000_NS6detail17trampoline_kernelINS0_14default_configENS1_38merge_sort_block_merge_config_selectorIjN6thrust23THRUST_200600_302600_NS5tupleIffNS6_9null_typeES8_S8_S8_S8_S8_S8_S8_EEEEZZNS1_27merge_sort_block_merge_implIS3_NS6_6detail15normal_iteratorINS6_10device_ptrIjEEEENSD_INSE_IS9_EEEEjNS1_19radix_merge_compareILb0ELb1EjNS0_19identity_decomposerEEEEE10hipError_tT0_T1_T2_jT3_P12ihipStream_tbPNSt15iterator_traitsISN_E10value_typeEPNST_ISO_E10value_typeEPSP_NS1_7vsmem_tEENKUlT_SN_SO_SP_E_clIPjSG_PS9_SI_EESM_S12_SN_SO_SP_EUlS12_E_NS1_11comp_targetILNS1_3genE3ELNS1_11target_archE908ELNS1_3gpuE7ELNS1_3repE0EEENS1_48merge_mergepath_partition_config_static_selectorELNS0_4arch9wavefront6targetE0EEEvSO_.num_named_barrier, 0
	.set _ZN7rocprim17ROCPRIM_400000_NS6detail17trampoline_kernelINS0_14default_configENS1_38merge_sort_block_merge_config_selectorIjN6thrust23THRUST_200600_302600_NS5tupleIffNS6_9null_typeES8_S8_S8_S8_S8_S8_S8_EEEEZZNS1_27merge_sort_block_merge_implIS3_NS6_6detail15normal_iteratorINS6_10device_ptrIjEEEENSD_INSE_IS9_EEEEjNS1_19radix_merge_compareILb0ELb1EjNS0_19identity_decomposerEEEEE10hipError_tT0_T1_T2_jT3_P12ihipStream_tbPNSt15iterator_traitsISN_E10value_typeEPNST_ISO_E10value_typeEPSP_NS1_7vsmem_tEENKUlT_SN_SO_SP_E_clIPjSG_PS9_SI_EESM_S12_SN_SO_SP_EUlS12_E_NS1_11comp_targetILNS1_3genE3ELNS1_11target_archE908ELNS1_3gpuE7ELNS1_3repE0EEENS1_48merge_mergepath_partition_config_static_selectorELNS0_4arch9wavefront6targetE0EEEvSO_.private_seg_size, 0
	.set _ZN7rocprim17ROCPRIM_400000_NS6detail17trampoline_kernelINS0_14default_configENS1_38merge_sort_block_merge_config_selectorIjN6thrust23THRUST_200600_302600_NS5tupleIffNS6_9null_typeES8_S8_S8_S8_S8_S8_S8_EEEEZZNS1_27merge_sort_block_merge_implIS3_NS6_6detail15normal_iteratorINS6_10device_ptrIjEEEENSD_INSE_IS9_EEEEjNS1_19radix_merge_compareILb0ELb1EjNS0_19identity_decomposerEEEEE10hipError_tT0_T1_T2_jT3_P12ihipStream_tbPNSt15iterator_traitsISN_E10value_typeEPNST_ISO_E10value_typeEPSP_NS1_7vsmem_tEENKUlT_SN_SO_SP_E_clIPjSG_PS9_SI_EESM_S12_SN_SO_SP_EUlS12_E_NS1_11comp_targetILNS1_3genE3ELNS1_11target_archE908ELNS1_3gpuE7ELNS1_3repE0EEENS1_48merge_mergepath_partition_config_static_selectorELNS0_4arch9wavefront6targetE0EEEvSO_.uses_vcc, 0
	.set _ZN7rocprim17ROCPRIM_400000_NS6detail17trampoline_kernelINS0_14default_configENS1_38merge_sort_block_merge_config_selectorIjN6thrust23THRUST_200600_302600_NS5tupleIffNS6_9null_typeES8_S8_S8_S8_S8_S8_S8_EEEEZZNS1_27merge_sort_block_merge_implIS3_NS6_6detail15normal_iteratorINS6_10device_ptrIjEEEENSD_INSE_IS9_EEEEjNS1_19radix_merge_compareILb0ELb1EjNS0_19identity_decomposerEEEEE10hipError_tT0_T1_T2_jT3_P12ihipStream_tbPNSt15iterator_traitsISN_E10value_typeEPNST_ISO_E10value_typeEPSP_NS1_7vsmem_tEENKUlT_SN_SO_SP_E_clIPjSG_PS9_SI_EESM_S12_SN_SO_SP_EUlS12_E_NS1_11comp_targetILNS1_3genE3ELNS1_11target_archE908ELNS1_3gpuE7ELNS1_3repE0EEENS1_48merge_mergepath_partition_config_static_selectorELNS0_4arch9wavefront6targetE0EEEvSO_.uses_flat_scratch, 0
	.set _ZN7rocprim17ROCPRIM_400000_NS6detail17trampoline_kernelINS0_14default_configENS1_38merge_sort_block_merge_config_selectorIjN6thrust23THRUST_200600_302600_NS5tupleIffNS6_9null_typeES8_S8_S8_S8_S8_S8_S8_EEEEZZNS1_27merge_sort_block_merge_implIS3_NS6_6detail15normal_iteratorINS6_10device_ptrIjEEEENSD_INSE_IS9_EEEEjNS1_19radix_merge_compareILb0ELb1EjNS0_19identity_decomposerEEEEE10hipError_tT0_T1_T2_jT3_P12ihipStream_tbPNSt15iterator_traitsISN_E10value_typeEPNST_ISO_E10value_typeEPSP_NS1_7vsmem_tEENKUlT_SN_SO_SP_E_clIPjSG_PS9_SI_EESM_S12_SN_SO_SP_EUlS12_E_NS1_11comp_targetILNS1_3genE3ELNS1_11target_archE908ELNS1_3gpuE7ELNS1_3repE0EEENS1_48merge_mergepath_partition_config_static_selectorELNS0_4arch9wavefront6targetE0EEEvSO_.has_dyn_sized_stack, 0
	.set _ZN7rocprim17ROCPRIM_400000_NS6detail17trampoline_kernelINS0_14default_configENS1_38merge_sort_block_merge_config_selectorIjN6thrust23THRUST_200600_302600_NS5tupleIffNS6_9null_typeES8_S8_S8_S8_S8_S8_S8_EEEEZZNS1_27merge_sort_block_merge_implIS3_NS6_6detail15normal_iteratorINS6_10device_ptrIjEEEENSD_INSE_IS9_EEEEjNS1_19radix_merge_compareILb0ELb1EjNS0_19identity_decomposerEEEEE10hipError_tT0_T1_T2_jT3_P12ihipStream_tbPNSt15iterator_traitsISN_E10value_typeEPNST_ISO_E10value_typeEPSP_NS1_7vsmem_tEENKUlT_SN_SO_SP_E_clIPjSG_PS9_SI_EESM_S12_SN_SO_SP_EUlS12_E_NS1_11comp_targetILNS1_3genE3ELNS1_11target_archE908ELNS1_3gpuE7ELNS1_3repE0EEENS1_48merge_mergepath_partition_config_static_selectorELNS0_4arch9wavefront6targetE0EEEvSO_.has_recursion, 0
	.set _ZN7rocprim17ROCPRIM_400000_NS6detail17trampoline_kernelINS0_14default_configENS1_38merge_sort_block_merge_config_selectorIjN6thrust23THRUST_200600_302600_NS5tupleIffNS6_9null_typeES8_S8_S8_S8_S8_S8_S8_EEEEZZNS1_27merge_sort_block_merge_implIS3_NS6_6detail15normal_iteratorINS6_10device_ptrIjEEEENSD_INSE_IS9_EEEEjNS1_19radix_merge_compareILb0ELb1EjNS0_19identity_decomposerEEEEE10hipError_tT0_T1_T2_jT3_P12ihipStream_tbPNSt15iterator_traitsISN_E10value_typeEPNST_ISO_E10value_typeEPSP_NS1_7vsmem_tEENKUlT_SN_SO_SP_E_clIPjSG_PS9_SI_EESM_S12_SN_SO_SP_EUlS12_E_NS1_11comp_targetILNS1_3genE3ELNS1_11target_archE908ELNS1_3gpuE7ELNS1_3repE0EEENS1_48merge_mergepath_partition_config_static_selectorELNS0_4arch9wavefront6targetE0EEEvSO_.has_indirect_call, 0
	.section	.AMDGPU.csdata,"",@progbits
; Kernel info:
; codeLenInByte = 0
; TotalNumSgprs: 0
; NumVgprs: 0
; ScratchSize: 0
; MemoryBound: 0
; FloatMode: 240
; IeeeMode: 1
; LDSByteSize: 0 bytes/workgroup (compile time only)
; SGPRBlocks: 0
; VGPRBlocks: 0
; NumSGPRsForWavesPerEU: 1
; NumVGPRsForWavesPerEU: 1
; Occupancy: 16
; WaveLimiterHint : 0
; COMPUTE_PGM_RSRC2:SCRATCH_EN: 0
; COMPUTE_PGM_RSRC2:USER_SGPR: 2
; COMPUTE_PGM_RSRC2:TRAP_HANDLER: 0
; COMPUTE_PGM_RSRC2:TGID_X_EN: 1
; COMPUTE_PGM_RSRC2:TGID_Y_EN: 0
; COMPUTE_PGM_RSRC2:TGID_Z_EN: 0
; COMPUTE_PGM_RSRC2:TIDIG_COMP_CNT: 0
	.section	.text._ZN7rocprim17ROCPRIM_400000_NS6detail17trampoline_kernelINS0_14default_configENS1_38merge_sort_block_merge_config_selectorIjN6thrust23THRUST_200600_302600_NS5tupleIffNS6_9null_typeES8_S8_S8_S8_S8_S8_S8_EEEEZZNS1_27merge_sort_block_merge_implIS3_NS6_6detail15normal_iteratorINS6_10device_ptrIjEEEENSD_INSE_IS9_EEEEjNS1_19radix_merge_compareILb0ELb1EjNS0_19identity_decomposerEEEEE10hipError_tT0_T1_T2_jT3_P12ihipStream_tbPNSt15iterator_traitsISN_E10value_typeEPNST_ISO_E10value_typeEPSP_NS1_7vsmem_tEENKUlT_SN_SO_SP_E_clIPjSG_PS9_SI_EESM_S12_SN_SO_SP_EUlS12_E_NS1_11comp_targetILNS1_3genE2ELNS1_11target_archE906ELNS1_3gpuE6ELNS1_3repE0EEENS1_48merge_mergepath_partition_config_static_selectorELNS0_4arch9wavefront6targetE0EEEvSO_,"axG",@progbits,_ZN7rocprim17ROCPRIM_400000_NS6detail17trampoline_kernelINS0_14default_configENS1_38merge_sort_block_merge_config_selectorIjN6thrust23THRUST_200600_302600_NS5tupleIffNS6_9null_typeES8_S8_S8_S8_S8_S8_S8_EEEEZZNS1_27merge_sort_block_merge_implIS3_NS6_6detail15normal_iteratorINS6_10device_ptrIjEEEENSD_INSE_IS9_EEEEjNS1_19radix_merge_compareILb0ELb1EjNS0_19identity_decomposerEEEEE10hipError_tT0_T1_T2_jT3_P12ihipStream_tbPNSt15iterator_traitsISN_E10value_typeEPNST_ISO_E10value_typeEPSP_NS1_7vsmem_tEENKUlT_SN_SO_SP_E_clIPjSG_PS9_SI_EESM_S12_SN_SO_SP_EUlS12_E_NS1_11comp_targetILNS1_3genE2ELNS1_11target_archE906ELNS1_3gpuE6ELNS1_3repE0EEENS1_48merge_mergepath_partition_config_static_selectorELNS0_4arch9wavefront6targetE0EEEvSO_,comdat
	.protected	_ZN7rocprim17ROCPRIM_400000_NS6detail17trampoline_kernelINS0_14default_configENS1_38merge_sort_block_merge_config_selectorIjN6thrust23THRUST_200600_302600_NS5tupleIffNS6_9null_typeES8_S8_S8_S8_S8_S8_S8_EEEEZZNS1_27merge_sort_block_merge_implIS3_NS6_6detail15normal_iteratorINS6_10device_ptrIjEEEENSD_INSE_IS9_EEEEjNS1_19radix_merge_compareILb0ELb1EjNS0_19identity_decomposerEEEEE10hipError_tT0_T1_T2_jT3_P12ihipStream_tbPNSt15iterator_traitsISN_E10value_typeEPNST_ISO_E10value_typeEPSP_NS1_7vsmem_tEENKUlT_SN_SO_SP_E_clIPjSG_PS9_SI_EESM_S12_SN_SO_SP_EUlS12_E_NS1_11comp_targetILNS1_3genE2ELNS1_11target_archE906ELNS1_3gpuE6ELNS1_3repE0EEENS1_48merge_mergepath_partition_config_static_selectorELNS0_4arch9wavefront6targetE0EEEvSO_ ; -- Begin function _ZN7rocprim17ROCPRIM_400000_NS6detail17trampoline_kernelINS0_14default_configENS1_38merge_sort_block_merge_config_selectorIjN6thrust23THRUST_200600_302600_NS5tupleIffNS6_9null_typeES8_S8_S8_S8_S8_S8_S8_EEEEZZNS1_27merge_sort_block_merge_implIS3_NS6_6detail15normal_iteratorINS6_10device_ptrIjEEEENSD_INSE_IS9_EEEEjNS1_19radix_merge_compareILb0ELb1EjNS0_19identity_decomposerEEEEE10hipError_tT0_T1_T2_jT3_P12ihipStream_tbPNSt15iterator_traitsISN_E10value_typeEPNST_ISO_E10value_typeEPSP_NS1_7vsmem_tEENKUlT_SN_SO_SP_E_clIPjSG_PS9_SI_EESM_S12_SN_SO_SP_EUlS12_E_NS1_11comp_targetILNS1_3genE2ELNS1_11target_archE906ELNS1_3gpuE6ELNS1_3repE0EEENS1_48merge_mergepath_partition_config_static_selectorELNS0_4arch9wavefront6targetE0EEEvSO_
	.globl	_ZN7rocprim17ROCPRIM_400000_NS6detail17trampoline_kernelINS0_14default_configENS1_38merge_sort_block_merge_config_selectorIjN6thrust23THRUST_200600_302600_NS5tupleIffNS6_9null_typeES8_S8_S8_S8_S8_S8_S8_EEEEZZNS1_27merge_sort_block_merge_implIS3_NS6_6detail15normal_iteratorINS6_10device_ptrIjEEEENSD_INSE_IS9_EEEEjNS1_19radix_merge_compareILb0ELb1EjNS0_19identity_decomposerEEEEE10hipError_tT0_T1_T2_jT3_P12ihipStream_tbPNSt15iterator_traitsISN_E10value_typeEPNST_ISO_E10value_typeEPSP_NS1_7vsmem_tEENKUlT_SN_SO_SP_E_clIPjSG_PS9_SI_EESM_S12_SN_SO_SP_EUlS12_E_NS1_11comp_targetILNS1_3genE2ELNS1_11target_archE906ELNS1_3gpuE6ELNS1_3repE0EEENS1_48merge_mergepath_partition_config_static_selectorELNS0_4arch9wavefront6targetE0EEEvSO_
	.p2align	8
	.type	_ZN7rocprim17ROCPRIM_400000_NS6detail17trampoline_kernelINS0_14default_configENS1_38merge_sort_block_merge_config_selectorIjN6thrust23THRUST_200600_302600_NS5tupleIffNS6_9null_typeES8_S8_S8_S8_S8_S8_S8_EEEEZZNS1_27merge_sort_block_merge_implIS3_NS6_6detail15normal_iteratorINS6_10device_ptrIjEEEENSD_INSE_IS9_EEEEjNS1_19radix_merge_compareILb0ELb1EjNS0_19identity_decomposerEEEEE10hipError_tT0_T1_T2_jT3_P12ihipStream_tbPNSt15iterator_traitsISN_E10value_typeEPNST_ISO_E10value_typeEPSP_NS1_7vsmem_tEENKUlT_SN_SO_SP_E_clIPjSG_PS9_SI_EESM_S12_SN_SO_SP_EUlS12_E_NS1_11comp_targetILNS1_3genE2ELNS1_11target_archE906ELNS1_3gpuE6ELNS1_3repE0EEENS1_48merge_mergepath_partition_config_static_selectorELNS0_4arch9wavefront6targetE0EEEvSO_,@function
_ZN7rocprim17ROCPRIM_400000_NS6detail17trampoline_kernelINS0_14default_configENS1_38merge_sort_block_merge_config_selectorIjN6thrust23THRUST_200600_302600_NS5tupleIffNS6_9null_typeES8_S8_S8_S8_S8_S8_S8_EEEEZZNS1_27merge_sort_block_merge_implIS3_NS6_6detail15normal_iteratorINS6_10device_ptrIjEEEENSD_INSE_IS9_EEEEjNS1_19radix_merge_compareILb0ELb1EjNS0_19identity_decomposerEEEEE10hipError_tT0_T1_T2_jT3_P12ihipStream_tbPNSt15iterator_traitsISN_E10value_typeEPNST_ISO_E10value_typeEPSP_NS1_7vsmem_tEENKUlT_SN_SO_SP_E_clIPjSG_PS9_SI_EESM_S12_SN_SO_SP_EUlS12_E_NS1_11comp_targetILNS1_3genE2ELNS1_11target_archE906ELNS1_3gpuE6ELNS1_3repE0EEENS1_48merge_mergepath_partition_config_static_selectorELNS0_4arch9wavefront6targetE0EEEvSO_: ; @_ZN7rocprim17ROCPRIM_400000_NS6detail17trampoline_kernelINS0_14default_configENS1_38merge_sort_block_merge_config_selectorIjN6thrust23THRUST_200600_302600_NS5tupleIffNS6_9null_typeES8_S8_S8_S8_S8_S8_S8_EEEEZZNS1_27merge_sort_block_merge_implIS3_NS6_6detail15normal_iteratorINS6_10device_ptrIjEEEENSD_INSE_IS9_EEEEjNS1_19radix_merge_compareILb0ELb1EjNS0_19identity_decomposerEEEEE10hipError_tT0_T1_T2_jT3_P12ihipStream_tbPNSt15iterator_traitsISN_E10value_typeEPNST_ISO_E10value_typeEPSP_NS1_7vsmem_tEENKUlT_SN_SO_SP_E_clIPjSG_PS9_SI_EESM_S12_SN_SO_SP_EUlS12_E_NS1_11comp_targetILNS1_3genE2ELNS1_11target_archE906ELNS1_3gpuE6ELNS1_3repE0EEENS1_48merge_mergepath_partition_config_static_selectorELNS0_4arch9wavefront6targetE0EEEvSO_
; %bb.0:
	.section	.rodata,"a",@progbits
	.p2align	6, 0x0
	.amdhsa_kernel _ZN7rocprim17ROCPRIM_400000_NS6detail17trampoline_kernelINS0_14default_configENS1_38merge_sort_block_merge_config_selectorIjN6thrust23THRUST_200600_302600_NS5tupleIffNS6_9null_typeES8_S8_S8_S8_S8_S8_S8_EEEEZZNS1_27merge_sort_block_merge_implIS3_NS6_6detail15normal_iteratorINS6_10device_ptrIjEEEENSD_INSE_IS9_EEEEjNS1_19radix_merge_compareILb0ELb1EjNS0_19identity_decomposerEEEEE10hipError_tT0_T1_T2_jT3_P12ihipStream_tbPNSt15iterator_traitsISN_E10value_typeEPNST_ISO_E10value_typeEPSP_NS1_7vsmem_tEENKUlT_SN_SO_SP_E_clIPjSG_PS9_SI_EESM_S12_SN_SO_SP_EUlS12_E_NS1_11comp_targetILNS1_3genE2ELNS1_11target_archE906ELNS1_3gpuE6ELNS1_3repE0EEENS1_48merge_mergepath_partition_config_static_selectorELNS0_4arch9wavefront6targetE0EEEvSO_
		.amdhsa_group_segment_fixed_size 0
		.amdhsa_private_segment_fixed_size 0
		.amdhsa_kernarg_size 40
		.amdhsa_user_sgpr_count 2
		.amdhsa_user_sgpr_dispatch_ptr 0
		.amdhsa_user_sgpr_queue_ptr 0
		.amdhsa_user_sgpr_kernarg_segment_ptr 1
		.amdhsa_user_sgpr_dispatch_id 0
		.amdhsa_user_sgpr_private_segment_size 0
		.amdhsa_wavefront_size32 1
		.amdhsa_uses_dynamic_stack 0
		.amdhsa_enable_private_segment 0
		.amdhsa_system_sgpr_workgroup_id_x 1
		.amdhsa_system_sgpr_workgroup_id_y 0
		.amdhsa_system_sgpr_workgroup_id_z 0
		.amdhsa_system_sgpr_workgroup_info 0
		.amdhsa_system_vgpr_workitem_id 0
		.amdhsa_next_free_vgpr 1
		.amdhsa_next_free_sgpr 1
		.amdhsa_reserve_vcc 0
		.amdhsa_float_round_mode_32 0
		.amdhsa_float_round_mode_16_64 0
		.amdhsa_float_denorm_mode_32 3
		.amdhsa_float_denorm_mode_16_64 3
		.amdhsa_fp16_overflow 0
		.amdhsa_workgroup_processor_mode 1
		.amdhsa_memory_ordered 1
		.amdhsa_forward_progress 1
		.amdhsa_inst_pref_size 0
		.amdhsa_round_robin_scheduling 0
		.amdhsa_exception_fp_ieee_invalid_op 0
		.amdhsa_exception_fp_denorm_src 0
		.amdhsa_exception_fp_ieee_div_zero 0
		.amdhsa_exception_fp_ieee_overflow 0
		.amdhsa_exception_fp_ieee_underflow 0
		.amdhsa_exception_fp_ieee_inexact 0
		.amdhsa_exception_int_div_zero 0
	.end_amdhsa_kernel
	.section	.text._ZN7rocprim17ROCPRIM_400000_NS6detail17trampoline_kernelINS0_14default_configENS1_38merge_sort_block_merge_config_selectorIjN6thrust23THRUST_200600_302600_NS5tupleIffNS6_9null_typeES8_S8_S8_S8_S8_S8_S8_EEEEZZNS1_27merge_sort_block_merge_implIS3_NS6_6detail15normal_iteratorINS6_10device_ptrIjEEEENSD_INSE_IS9_EEEEjNS1_19radix_merge_compareILb0ELb1EjNS0_19identity_decomposerEEEEE10hipError_tT0_T1_T2_jT3_P12ihipStream_tbPNSt15iterator_traitsISN_E10value_typeEPNST_ISO_E10value_typeEPSP_NS1_7vsmem_tEENKUlT_SN_SO_SP_E_clIPjSG_PS9_SI_EESM_S12_SN_SO_SP_EUlS12_E_NS1_11comp_targetILNS1_3genE2ELNS1_11target_archE906ELNS1_3gpuE6ELNS1_3repE0EEENS1_48merge_mergepath_partition_config_static_selectorELNS0_4arch9wavefront6targetE0EEEvSO_,"axG",@progbits,_ZN7rocprim17ROCPRIM_400000_NS6detail17trampoline_kernelINS0_14default_configENS1_38merge_sort_block_merge_config_selectorIjN6thrust23THRUST_200600_302600_NS5tupleIffNS6_9null_typeES8_S8_S8_S8_S8_S8_S8_EEEEZZNS1_27merge_sort_block_merge_implIS3_NS6_6detail15normal_iteratorINS6_10device_ptrIjEEEENSD_INSE_IS9_EEEEjNS1_19radix_merge_compareILb0ELb1EjNS0_19identity_decomposerEEEEE10hipError_tT0_T1_T2_jT3_P12ihipStream_tbPNSt15iterator_traitsISN_E10value_typeEPNST_ISO_E10value_typeEPSP_NS1_7vsmem_tEENKUlT_SN_SO_SP_E_clIPjSG_PS9_SI_EESM_S12_SN_SO_SP_EUlS12_E_NS1_11comp_targetILNS1_3genE2ELNS1_11target_archE906ELNS1_3gpuE6ELNS1_3repE0EEENS1_48merge_mergepath_partition_config_static_selectorELNS0_4arch9wavefront6targetE0EEEvSO_,comdat
.Lfunc_end96:
	.size	_ZN7rocprim17ROCPRIM_400000_NS6detail17trampoline_kernelINS0_14default_configENS1_38merge_sort_block_merge_config_selectorIjN6thrust23THRUST_200600_302600_NS5tupleIffNS6_9null_typeES8_S8_S8_S8_S8_S8_S8_EEEEZZNS1_27merge_sort_block_merge_implIS3_NS6_6detail15normal_iteratorINS6_10device_ptrIjEEEENSD_INSE_IS9_EEEEjNS1_19radix_merge_compareILb0ELb1EjNS0_19identity_decomposerEEEEE10hipError_tT0_T1_T2_jT3_P12ihipStream_tbPNSt15iterator_traitsISN_E10value_typeEPNST_ISO_E10value_typeEPSP_NS1_7vsmem_tEENKUlT_SN_SO_SP_E_clIPjSG_PS9_SI_EESM_S12_SN_SO_SP_EUlS12_E_NS1_11comp_targetILNS1_3genE2ELNS1_11target_archE906ELNS1_3gpuE6ELNS1_3repE0EEENS1_48merge_mergepath_partition_config_static_selectorELNS0_4arch9wavefront6targetE0EEEvSO_, .Lfunc_end96-_ZN7rocprim17ROCPRIM_400000_NS6detail17trampoline_kernelINS0_14default_configENS1_38merge_sort_block_merge_config_selectorIjN6thrust23THRUST_200600_302600_NS5tupleIffNS6_9null_typeES8_S8_S8_S8_S8_S8_S8_EEEEZZNS1_27merge_sort_block_merge_implIS3_NS6_6detail15normal_iteratorINS6_10device_ptrIjEEEENSD_INSE_IS9_EEEEjNS1_19radix_merge_compareILb0ELb1EjNS0_19identity_decomposerEEEEE10hipError_tT0_T1_T2_jT3_P12ihipStream_tbPNSt15iterator_traitsISN_E10value_typeEPNST_ISO_E10value_typeEPSP_NS1_7vsmem_tEENKUlT_SN_SO_SP_E_clIPjSG_PS9_SI_EESM_S12_SN_SO_SP_EUlS12_E_NS1_11comp_targetILNS1_3genE2ELNS1_11target_archE906ELNS1_3gpuE6ELNS1_3repE0EEENS1_48merge_mergepath_partition_config_static_selectorELNS0_4arch9wavefront6targetE0EEEvSO_
                                        ; -- End function
	.set _ZN7rocprim17ROCPRIM_400000_NS6detail17trampoline_kernelINS0_14default_configENS1_38merge_sort_block_merge_config_selectorIjN6thrust23THRUST_200600_302600_NS5tupleIffNS6_9null_typeES8_S8_S8_S8_S8_S8_S8_EEEEZZNS1_27merge_sort_block_merge_implIS3_NS6_6detail15normal_iteratorINS6_10device_ptrIjEEEENSD_INSE_IS9_EEEEjNS1_19radix_merge_compareILb0ELb1EjNS0_19identity_decomposerEEEEE10hipError_tT0_T1_T2_jT3_P12ihipStream_tbPNSt15iterator_traitsISN_E10value_typeEPNST_ISO_E10value_typeEPSP_NS1_7vsmem_tEENKUlT_SN_SO_SP_E_clIPjSG_PS9_SI_EESM_S12_SN_SO_SP_EUlS12_E_NS1_11comp_targetILNS1_3genE2ELNS1_11target_archE906ELNS1_3gpuE6ELNS1_3repE0EEENS1_48merge_mergepath_partition_config_static_selectorELNS0_4arch9wavefront6targetE0EEEvSO_.num_vgpr, 0
	.set _ZN7rocprim17ROCPRIM_400000_NS6detail17trampoline_kernelINS0_14default_configENS1_38merge_sort_block_merge_config_selectorIjN6thrust23THRUST_200600_302600_NS5tupleIffNS6_9null_typeES8_S8_S8_S8_S8_S8_S8_EEEEZZNS1_27merge_sort_block_merge_implIS3_NS6_6detail15normal_iteratorINS6_10device_ptrIjEEEENSD_INSE_IS9_EEEEjNS1_19radix_merge_compareILb0ELb1EjNS0_19identity_decomposerEEEEE10hipError_tT0_T1_T2_jT3_P12ihipStream_tbPNSt15iterator_traitsISN_E10value_typeEPNST_ISO_E10value_typeEPSP_NS1_7vsmem_tEENKUlT_SN_SO_SP_E_clIPjSG_PS9_SI_EESM_S12_SN_SO_SP_EUlS12_E_NS1_11comp_targetILNS1_3genE2ELNS1_11target_archE906ELNS1_3gpuE6ELNS1_3repE0EEENS1_48merge_mergepath_partition_config_static_selectorELNS0_4arch9wavefront6targetE0EEEvSO_.num_agpr, 0
	.set _ZN7rocprim17ROCPRIM_400000_NS6detail17trampoline_kernelINS0_14default_configENS1_38merge_sort_block_merge_config_selectorIjN6thrust23THRUST_200600_302600_NS5tupleIffNS6_9null_typeES8_S8_S8_S8_S8_S8_S8_EEEEZZNS1_27merge_sort_block_merge_implIS3_NS6_6detail15normal_iteratorINS6_10device_ptrIjEEEENSD_INSE_IS9_EEEEjNS1_19radix_merge_compareILb0ELb1EjNS0_19identity_decomposerEEEEE10hipError_tT0_T1_T2_jT3_P12ihipStream_tbPNSt15iterator_traitsISN_E10value_typeEPNST_ISO_E10value_typeEPSP_NS1_7vsmem_tEENKUlT_SN_SO_SP_E_clIPjSG_PS9_SI_EESM_S12_SN_SO_SP_EUlS12_E_NS1_11comp_targetILNS1_3genE2ELNS1_11target_archE906ELNS1_3gpuE6ELNS1_3repE0EEENS1_48merge_mergepath_partition_config_static_selectorELNS0_4arch9wavefront6targetE0EEEvSO_.numbered_sgpr, 0
	.set _ZN7rocprim17ROCPRIM_400000_NS6detail17trampoline_kernelINS0_14default_configENS1_38merge_sort_block_merge_config_selectorIjN6thrust23THRUST_200600_302600_NS5tupleIffNS6_9null_typeES8_S8_S8_S8_S8_S8_S8_EEEEZZNS1_27merge_sort_block_merge_implIS3_NS6_6detail15normal_iteratorINS6_10device_ptrIjEEEENSD_INSE_IS9_EEEEjNS1_19radix_merge_compareILb0ELb1EjNS0_19identity_decomposerEEEEE10hipError_tT0_T1_T2_jT3_P12ihipStream_tbPNSt15iterator_traitsISN_E10value_typeEPNST_ISO_E10value_typeEPSP_NS1_7vsmem_tEENKUlT_SN_SO_SP_E_clIPjSG_PS9_SI_EESM_S12_SN_SO_SP_EUlS12_E_NS1_11comp_targetILNS1_3genE2ELNS1_11target_archE906ELNS1_3gpuE6ELNS1_3repE0EEENS1_48merge_mergepath_partition_config_static_selectorELNS0_4arch9wavefront6targetE0EEEvSO_.num_named_barrier, 0
	.set _ZN7rocprim17ROCPRIM_400000_NS6detail17trampoline_kernelINS0_14default_configENS1_38merge_sort_block_merge_config_selectorIjN6thrust23THRUST_200600_302600_NS5tupleIffNS6_9null_typeES8_S8_S8_S8_S8_S8_S8_EEEEZZNS1_27merge_sort_block_merge_implIS3_NS6_6detail15normal_iteratorINS6_10device_ptrIjEEEENSD_INSE_IS9_EEEEjNS1_19radix_merge_compareILb0ELb1EjNS0_19identity_decomposerEEEEE10hipError_tT0_T1_T2_jT3_P12ihipStream_tbPNSt15iterator_traitsISN_E10value_typeEPNST_ISO_E10value_typeEPSP_NS1_7vsmem_tEENKUlT_SN_SO_SP_E_clIPjSG_PS9_SI_EESM_S12_SN_SO_SP_EUlS12_E_NS1_11comp_targetILNS1_3genE2ELNS1_11target_archE906ELNS1_3gpuE6ELNS1_3repE0EEENS1_48merge_mergepath_partition_config_static_selectorELNS0_4arch9wavefront6targetE0EEEvSO_.private_seg_size, 0
	.set _ZN7rocprim17ROCPRIM_400000_NS6detail17trampoline_kernelINS0_14default_configENS1_38merge_sort_block_merge_config_selectorIjN6thrust23THRUST_200600_302600_NS5tupleIffNS6_9null_typeES8_S8_S8_S8_S8_S8_S8_EEEEZZNS1_27merge_sort_block_merge_implIS3_NS6_6detail15normal_iteratorINS6_10device_ptrIjEEEENSD_INSE_IS9_EEEEjNS1_19radix_merge_compareILb0ELb1EjNS0_19identity_decomposerEEEEE10hipError_tT0_T1_T2_jT3_P12ihipStream_tbPNSt15iterator_traitsISN_E10value_typeEPNST_ISO_E10value_typeEPSP_NS1_7vsmem_tEENKUlT_SN_SO_SP_E_clIPjSG_PS9_SI_EESM_S12_SN_SO_SP_EUlS12_E_NS1_11comp_targetILNS1_3genE2ELNS1_11target_archE906ELNS1_3gpuE6ELNS1_3repE0EEENS1_48merge_mergepath_partition_config_static_selectorELNS0_4arch9wavefront6targetE0EEEvSO_.uses_vcc, 0
	.set _ZN7rocprim17ROCPRIM_400000_NS6detail17trampoline_kernelINS0_14default_configENS1_38merge_sort_block_merge_config_selectorIjN6thrust23THRUST_200600_302600_NS5tupleIffNS6_9null_typeES8_S8_S8_S8_S8_S8_S8_EEEEZZNS1_27merge_sort_block_merge_implIS3_NS6_6detail15normal_iteratorINS6_10device_ptrIjEEEENSD_INSE_IS9_EEEEjNS1_19radix_merge_compareILb0ELb1EjNS0_19identity_decomposerEEEEE10hipError_tT0_T1_T2_jT3_P12ihipStream_tbPNSt15iterator_traitsISN_E10value_typeEPNST_ISO_E10value_typeEPSP_NS1_7vsmem_tEENKUlT_SN_SO_SP_E_clIPjSG_PS9_SI_EESM_S12_SN_SO_SP_EUlS12_E_NS1_11comp_targetILNS1_3genE2ELNS1_11target_archE906ELNS1_3gpuE6ELNS1_3repE0EEENS1_48merge_mergepath_partition_config_static_selectorELNS0_4arch9wavefront6targetE0EEEvSO_.uses_flat_scratch, 0
	.set _ZN7rocprim17ROCPRIM_400000_NS6detail17trampoline_kernelINS0_14default_configENS1_38merge_sort_block_merge_config_selectorIjN6thrust23THRUST_200600_302600_NS5tupleIffNS6_9null_typeES8_S8_S8_S8_S8_S8_S8_EEEEZZNS1_27merge_sort_block_merge_implIS3_NS6_6detail15normal_iteratorINS6_10device_ptrIjEEEENSD_INSE_IS9_EEEEjNS1_19radix_merge_compareILb0ELb1EjNS0_19identity_decomposerEEEEE10hipError_tT0_T1_T2_jT3_P12ihipStream_tbPNSt15iterator_traitsISN_E10value_typeEPNST_ISO_E10value_typeEPSP_NS1_7vsmem_tEENKUlT_SN_SO_SP_E_clIPjSG_PS9_SI_EESM_S12_SN_SO_SP_EUlS12_E_NS1_11comp_targetILNS1_3genE2ELNS1_11target_archE906ELNS1_3gpuE6ELNS1_3repE0EEENS1_48merge_mergepath_partition_config_static_selectorELNS0_4arch9wavefront6targetE0EEEvSO_.has_dyn_sized_stack, 0
	.set _ZN7rocprim17ROCPRIM_400000_NS6detail17trampoline_kernelINS0_14default_configENS1_38merge_sort_block_merge_config_selectorIjN6thrust23THRUST_200600_302600_NS5tupleIffNS6_9null_typeES8_S8_S8_S8_S8_S8_S8_EEEEZZNS1_27merge_sort_block_merge_implIS3_NS6_6detail15normal_iteratorINS6_10device_ptrIjEEEENSD_INSE_IS9_EEEEjNS1_19radix_merge_compareILb0ELb1EjNS0_19identity_decomposerEEEEE10hipError_tT0_T1_T2_jT3_P12ihipStream_tbPNSt15iterator_traitsISN_E10value_typeEPNST_ISO_E10value_typeEPSP_NS1_7vsmem_tEENKUlT_SN_SO_SP_E_clIPjSG_PS9_SI_EESM_S12_SN_SO_SP_EUlS12_E_NS1_11comp_targetILNS1_3genE2ELNS1_11target_archE906ELNS1_3gpuE6ELNS1_3repE0EEENS1_48merge_mergepath_partition_config_static_selectorELNS0_4arch9wavefront6targetE0EEEvSO_.has_recursion, 0
	.set _ZN7rocprim17ROCPRIM_400000_NS6detail17trampoline_kernelINS0_14default_configENS1_38merge_sort_block_merge_config_selectorIjN6thrust23THRUST_200600_302600_NS5tupleIffNS6_9null_typeES8_S8_S8_S8_S8_S8_S8_EEEEZZNS1_27merge_sort_block_merge_implIS3_NS6_6detail15normal_iteratorINS6_10device_ptrIjEEEENSD_INSE_IS9_EEEEjNS1_19radix_merge_compareILb0ELb1EjNS0_19identity_decomposerEEEEE10hipError_tT0_T1_T2_jT3_P12ihipStream_tbPNSt15iterator_traitsISN_E10value_typeEPNST_ISO_E10value_typeEPSP_NS1_7vsmem_tEENKUlT_SN_SO_SP_E_clIPjSG_PS9_SI_EESM_S12_SN_SO_SP_EUlS12_E_NS1_11comp_targetILNS1_3genE2ELNS1_11target_archE906ELNS1_3gpuE6ELNS1_3repE0EEENS1_48merge_mergepath_partition_config_static_selectorELNS0_4arch9wavefront6targetE0EEEvSO_.has_indirect_call, 0
	.section	.AMDGPU.csdata,"",@progbits
; Kernel info:
; codeLenInByte = 0
; TotalNumSgprs: 0
; NumVgprs: 0
; ScratchSize: 0
; MemoryBound: 0
; FloatMode: 240
; IeeeMode: 1
; LDSByteSize: 0 bytes/workgroup (compile time only)
; SGPRBlocks: 0
; VGPRBlocks: 0
; NumSGPRsForWavesPerEU: 1
; NumVGPRsForWavesPerEU: 1
; Occupancy: 16
; WaveLimiterHint : 0
; COMPUTE_PGM_RSRC2:SCRATCH_EN: 0
; COMPUTE_PGM_RSRC2:USER_SGPR: 2
; COMPUTE_PGM_RSRC2:TRAP_HANDLER: 0
; COMPUTE_PGM_RSRC2:TGID_X_EN: 1
; COMPUTE_PGM_RSRC2:TGID_Y_EN: 0
; COMPUTE_PGM_RSRC2:TGID_Z_EN: 0
; COMPUTE_PGM_RSRC2:TIDIG_COMP_CNT: 0
	.section	.text._ZN7rocprim17ROCPRIM_400000_NS6detail17trampoline_kernelINS0_14default_configENS1_38merge_sort_block_merge_config_selectorIjN6thrust23THRUST_200600_302600_NS5tupleIffNS6_9null_typeES8_S8_S8_S8_S8_S8_S8_EEEEZZNS1_27merge_sort_block_merge_implIS3_NS6_6detail15normal_iteratorINS6_10device_ptrIjEEEENSD_INSE_IS9_EEEEjNS1_19radix_merge_compareILb0ELb1EjNS0_19identity_decomposerEEEEE10hipError_tT0_T1_T2_jT3_P12ihipStream_tbPNSt15iterator_traitsISN_E10value_typeEPNST_ISO_E10value_typeEPSP_NS1_7vsmem_tEENKUlT_SN_SO_SP_E_clIPjSG_PS9_SI_EESM_S12_SN_SO_SP_EUlS12_E_NS1_11comp_targetILNS1_3genE9ELNS1_11target_archE1100ELNS1_3gpuE3ELNS1_3repE0EEENS1_48merge_mergepath_partition_config_static_selectorELNS0_4arch9wavefront6targetE0EEEvSO_,"axG",@progbits,_ZN7rocprim17ROCPRIM_400000_NS6detail17trampoline_kernelINS0_14default_configENS1_38merge_sort_block_merge_config_selectorIjN6thrust23THRUST_200600_302600_NS5tupleIffNS6_9null_typeES8_S8_S8_S8_S8_S8_S8_EEEEZZNS1_27merge_sort_block_merge_implIS3_NS6_6detail15normal_iteratorINS6_10device_ptrIjEEEENSD_INSE_IS9_EEEEjNS1_19radix_merge_compareILb0ELb1EjNS0_19identity_decomposerEEEEE10hipError_tT0_T1_T2_jT3_P12ihipStream_tbPNSt15iterator_traitsISN_E10value_typeEPNST_ISO_E10value_typeEPSP_NS1_7vsmem_tEENKUlT_SN_SO_SP_E_clIPjSG_PS9_SI_EESM_S12_SN_SO_SP_EUlS12_E_NS1_11comp_targetILNS1_3genE9ELNS1_11target_archE1100ELNS1_3gpuE3ELNS1_3repE0EEENS1_48merge_mergepath_partition_config_static_selectorELNS0_4arch9wavefront6targetE0EEEvSO_,comdat
	.protected	_ZN7rocprim17ROCPRIM_400000_NS6detail17trampoline_kernelINS0_14default_configENS1_38merge_sort_block_merge_config_selectorIjN6thrust23THRUST_200600_302600_NS5tupleIffNS6_9null_typeES8_S8_S8_S8_S8_S8_S8_EEEEZZNS1_27merge_sort_block_merge_implIS3_NS6_6detail15normal_iteratorINS6_10device_ptrIjEEEENSD_INSE_IS9_EEEEjNS1_19radix_merge_compareILb0ELb1EjNS0_19identity_decomposerEEEEE10hipError_tT0_T1_T2_jT3_P12ihipStream_tbPNSt15iterator_traitsISN_E10value_typeEPNST_ISO_E10value_typeEPSP_NS1_7vsmem_tEENKUlT_SN_SO_SP_E_clIPjSG_PS9_SI_EESM_S12_SN_SO_SP_EUlS12_E_NS1_11comp_targetILNS1_3genE9ELNS1_11target_archE1100ELNS1_3gpuE3ELNS1_3repE0EEENS1_48merge_mergepath_partition_config_static_selectorELNS0_4arch9wavefront6targetE0EEEvSO_ ; -- Begin function _ZN7rocprim17ROCPRIM_400000_NS6detail17trampoline_kernelINS0_14default_configENS1_38merge_sort_block_merge_config_selectorIjN6thrust23THRUST_200600_302600_NS5tupleIffNS6_9null_typeES8_S8_S8_S8_S8_S8_S8_EEEEZZNS1_27merge_sort_block_merge_implIS3_NS6_6detail15normal_iteratorINS6_10device_ptrIjEEEENSD_INSE_IS9_EEEEjNS1_19radix_merge_compareILb0ELb1EjNS0_19identity_decomposerEEEEE10hipError_tT0_T1_T2_jT3_P12ihipStream_tbPNSt15iterator_traitsISN_E10value_typeEPNST_ISO_E10value_typeEPSP_NS1_7vsmem_tEENKUlT_SN_SO_SP_E_clIPjSG_PS9_SI_EESM_S12_SN_SO_SP_EUlS12_E_NS1_11comp_targetILNS1_3genE9ELNS1_11target_archE1100ELNS1_3gpuE3ELNS1_3repE0EEENS1_48merge_mergepath_partition_config_static_selectorELNS0_4arch9wavefront6targetE0EEEvSO_
	.globl	_ZN7rocprim17ROCPRIM_400000_NS6detail17trampoline_kernelINS0_14default_configENS1_38merge_sort_block_merge_config_selectorIjN6thrust23THRUST_200600_302600_NS5tupleIffNS6_9null_typeES8_S8_S8_S8_S8_S8_S8_EEEEZZNS1_27merge_sort_block_merge_implIS3_NS6_6detail15normal_iteratorINS6_10device_ptrIjEEEENSD_INSE_IS9_EEEEjNS1_19radix_merge_compareILb0ELb1EjNS0_19identity_decomposerEEEEE10hipError_tT0_T1_T2_jT3_P12ihipStream_tbPNSt15iterator_traitsISN_E10value_typeEPNST_ISO_E10value_typeEPSP_NS1_7vsmem_tEENKUlT_SN_SO_SP_E_clIPjSG_PS9_SI_EESM_S12_SN_SO_SP_EUlS12_E_NS1_11comp_targetILNS1_3genE9ELNS1_11target_archE1100ELNS1_3gpuE3ELNS1_3repE0EEENS1_48merge_mergepath_partition_config_static_selectorELNS0_4arch9wavefront6targetE0EEEvSO_
	.p2align	8
	.type	_ZN7rocprim17ROCPRIM_400000_NS6detail17trampoline_kernelINS0_14default_configENS1_38merge_sort_block_merge_config_selectorIjN6thrust23THRUST_200600_302600_NS5tupleIffNS6_9null_typeES8_S8_S8_S8_S8_S8_S8_EEEEZZNS1_27merge_sort_block_merge_implIS3_NS6_6detail15normal_iteratorINS6_10device_ptrIjEEEENSD_INSE_IS9_EEEEjNS1_19radix_merge_compareILb0ELb1EjNS0_19identity_decomposerEEEEE10hipError_tT0_T1_T2_jT3_P12ihipStream_tbPNSt15iterator_traitsISN_E10value_typeEPNST_ISO_E10value_typeEPSP_NS1_7vsmem_tEENKUlT_SN_SO_SP_E_clIPjSG_PS9_SI_EESM_S12_SN_SO_SP_EUlS12_E_NS1_11comp_targetILNS1_3genE9ELNS1_11target_archE1100ELNS1_3gpuE3ELNS1_3repE0EEENS1_48merge_mergepath_partition_config_static_selectorELNS0_4arch9wavefront6targetE0EEEvSO_,@function
_ZN7rocprim17ROCPRIM_400000_NS6detail17trampoline_kernelINS0_14default_configENS1_38merge_sort_block_merge_config_selectorIjN6thrust23THRUST_200600_302600_NS5tupleIffNS6_9null_typeES8_S8_S8_S8_S8_S8_S8_EEEEZZNS1_27merge_sort_block_merge_implIS3_NS6_6detail15normal_iteratorINS6_10device_ptrIjEEEENSD_INSE_IS9_EEEEjNS1_19radix_merge_compareILb0ELb1EjNS0_19identity_decomposerEEEEE10hipError_tT0_T1_T2_jT3_P12ihipStream_tbPNSt15iterator_traitsISN_E10value_typeEPNST_ISO_E10value_typeEPSP_NS1_7vsmem_tEENKUlT_SN_SO_SP_E_clIPjSG_PS9_SI_EESM_S12_SN_SO_SP_EUlS12_E_NS1_11comp_targetILNS1_3genE9ELNS1_11target_archE1100ELNS1_3gpuE3ELNS1_3repE0EEENS1_48merge_mergepath_partition_config_static_selectorELNS0_4arch9wavefront6targetE0EEEvSO_: ; @_ZN7rocprim17ROCPRIM_400000_NS6detail17trampoline_kernelINS0_14default_configENS1_38merge_sort_block_merge_config_selectorIjN6thrust23THRUST_200600_302600_NS5tupleIffNS6_9null_typeES8_S8_S8_S8_S8_S8_S8_EEEEZZNS1_27merge_sort_block_merge_implIS3_NS6_6detail15normal_iteratorINS6_10device_ptrIjEEEENSD_INSE_IS9_EEEEjNS1_19radix_merge_compareILb0ELb1EjNS0_19identity_decomposerEEEEE10hipError_tT0_T1_T2_jT3_P12ihipStream_tbPNSt15iterator_traitsISN_E10value_typeEPNST_ISO_E10value_typeEPSP_NS1_7vsmem_tEENKUlT_SN_SO_SP_E_clIPjSG_PS9_SI_EESM_S12_SN_SO_SP_EUlS12_E_NS1_11comp_targetILNS1_3genE9ELNS1_11target_archE1100ELNS1_3gpuE3ELNS1_3repE0EEENS1_48merge_mergepath_partition_config_static_selectorELNS0_4arch9wavefront6targetE0EEEvSO_
; %bb.0:
	.section	.rodata,"a",@progbits
	.p2align	6, 0x0
	.amdhsa_kernel _ZN7rocprim17ROCPRIM_400000_NS6detail17trampoline_kernelINS0_14default_configENS1_38merge_sort_block_merge_config_selectorIjN6thrust23THRUST_200600_302600_NS5tupleIffNS6_9null_typeES8_S8_S8_S8_S8_S8_S8_EEEEZZNS1_27merge_sort_block_merge_implIS3_NS6_6detail15normal_iteratorINS6_10device_ptrIjEEEENSD_INSE_IS9_EEEEjNS1_19radix_merge_compareILb0ELb1EjNS0_19identity_decomposerEEEEE10hipError_tT0_T1_T2_jT3_P12ihipStream_tbPNSt15iterator_traitsISN_E10value_typeEPNST_ISO_E10value_typeEPSP_NS1_7vsmem_tEENKUlT_SN_SO_SP_E_clIPjSG_PS9_SI_EESM_S12_SN_SO_SP_EUlS12_E_NS1_11comp_targetILNS1_3genE9ELNS1_11target_archE1100ELNS1_3gpuE3ELNS1_3repE0EEENS1_48merge_mergepath_partition_config_static_selectorELNS0_4arch9wavefront6targetE0EEEvSO_
		.amdhsa_group_segment_fixed_size 0
		.amdhsa_private_segment_fixed_size 0
		.amdhsa_kernarg_size 40
		.amdhsa_user_sgpr_count 2
		.amdhsa_user_sgpr_dispatch_ptr 0
		.amdhsa_user_sgpr_queue_ptr 0
		.amdhsa_user_sgpr_kernarg_segment_ptr 1
		.amdhsa_user_sgpr_dispatch_id 0
		.amdhsa_user_sgpr_private_segment_size 0
		.amdhsa_wavefront_size32 1
		.amdhsa_uses_dynamic_stack 0
		.amdhsa_enable_private_segment 0
		.amdhsa_system_sgpr_workgroup_id_x 1
		.amdhsa_system_sgpr_workgroup_id_y 0
		.amdhsa_system_sgpr_workgroup_id_z 0
		.amdhsa_system_sgpr_workgroup_info 0
		.amdhsa_system_vgpr_workitem_id 0
		.amdhsa_next_free_vgpr 1
		.amdhsa_next_free_sgpr 1
		.amdhsa_reserve_vcc 0
		.amdhsa_float_round_mode_32 0
		.amdhsa_float_round_mode_16_64 0
		.amdhsa_float_denorm_mode_32 3
		.amdhsa_float_denorm_mode_16_64 3
		.amdhsa_fp16_overflow 0
		.amdhsa_workgroup_processor_mode 1
		.amdhsa_memory_ordered 1
		.amdhsa_forward_progress 1
		.amdhsa_inst_pref_size 0
		.amdhsa_round_robin_scheduling 0
		.amdhsa_exception_fp_ieee_invalid_op 0
		.amdhsa_exception_fp_denorm_src 0
		.amdhsa_exception_fp_ieee_div_zero 0
		.amdhsa_exception_fp_ieee_overflow 0
		.amdhsa_exception_fp_ieee_underflow 0
		.amdhsa_exception_fp_ieee_inexact 0
		.amdhsa_exception_int_div_zero 0
	.end_amdhsa_kernel
	.section	.text._ZN7rocprim17ROCPRIM_400000_NS6detail17trampoline_kernelINS0_14default_configENS1_38merge_sort_block_merge_config_selectorIjN6thrust23THRUST_200600_302600_NS5tupleIffNS6_9null_typeES8_S8_S8_S8_S8_S8_S8_EEEEZZNS1_27merge_sort_block_merge_implIS3_NS6_6detail15normal_iteratorINS6_10device_ptrIjEEEENSD_INSE_IS9_EEEEjNS1_19radix_merge_compareILb0ELb1EjNS0_19identity_decomposerEEEEE10hipError_tT0_T1_T2_jT3_P12ihipStream_tbPNSt15iterator_traitsISN_E10value_typeEPNST_ISO_E10value_typeEPSP_NS1_7vsmem_tEENKUlT_SN_SO_SP_E_clIPjSG_PS9_SI_EESM_S12_SN_SO_SP_EUlS12_E_NS1_11comp_targetILNS1_3genE9ELNS1_11target_archE1100ELNS1_3gpuE3ELNS1_3repE0EEENS1_48merge_mergepath_partition_config_static_selectorELNS0_4arch9wavefront6targetE0EEEvSO_,"axG",@progbits,_ZN7rocprim17ROCPRIM_400000_NS6detail17trampoline_kernelINS0_14default_configENS1_38merge_sort_block_merge_config_selectorIjN6thrust23THRUST_200600_302600_NS5tupleIffNS6_9null_typeES8_S8_S8_S8_S8_S8_S8_EEEEZZNS1_27merge_sort_block_merge_implIS3_NS6_6detail15normal_iteratorINS6_10device_ptrIjEEEENSD_INSE_IS9_EEEEjNS1_19radix_merge_compareILb0ELb1EjNS0_19identity_decomposerEEEEE10hipError_tT0_T1_T2_jT3_P12ihipStream_tbPNSt15iterator_traitsISN_E10value_typeEPNST_ISO_E10value_typeEPSP_NS1_7vsmem_tEENKUlT_SN_SO_SP_E_clIPjSG_PS9_SI_EESM_S12_SN_SO_SP_EUlS12_E_NS1_11comp_targetILNS1_3genE9ELNS1_11target_archE1100ELNS1_3gpuE3ELNS1_3repE0EEENS1_48merge_mergepath_partition_config_static_selectorELNS0_4arch9wavefront6targetE0EEEvSO_,comdat
.Lfunc_end97:
	.size	_ZN7rocprim17ROCPRIM_400000_NS6detail17trampoline_kernelINS0_14default_configENS1_38merge_sort_block_merge_config_selectorIjN6thrust23THRUST_200600_302600_NS5tupleIffNS6_9null_typeES8_S8_S8_S8_S8_S8_S8_EEEEZZNS1_27merge_sort_block_merge_implIS3_NS6_6detail15normal_iteratorINS6_10device_ptrIjEEEENSD_INSE_IS9_EEEEjNS1_19radix_merge_compareILb0ELb1EjNS0_19identity_decomposerEEEEE10hipError_tT0_T1_T2_jT3_P12ihipStream_tbPNSt15iterator_traitsISN_E10value_typeEPNST_ISO_E10value_typeEPSP_NS1_7vsmem_tEENKUlT_SN_SO_SP_E_clIPjSG_PS9_SI_EESM_S12_SN_SO_SP_EUlS12_E_NS1_11comp_targetILNS1_3genE9ELNS1_11target_archE1100ELNS1_3gpuE3ELNS1_3repE0EEENS1_48merge_mergepath_partition_config_static_selectorELNS0_4arch9wavefront6targetE0EEEvSO_, .Lfunc_end97-_ZN7rocprim17ROCPRIM_400000_NS6detail17trampoline_kernelINS0_14default_configENS1_38merge_sort_block_merge_config_selectorIjN6thrust23THRUST_200600_302600_NS5tupleIffNS6_9null_typeES8_S8_S8_S8_S8_S8_S8_EEEEZZNS1_27merge_sort_block_merge_implIS3_NS6_6detail15normal_iteratorINS6_10device_ptrIjEEEENSD_INSE_IS9_EEEEjNS1_19radix_merge_compareILb0ELb1EjNS0_19identity_decomposerEEEEE10hipError_tT0_T1_T2_jT3_P12ihipStream_tbPNSt15iterator_traitsISN_E10value_typeEPNST_ISO_E10value_typeEPSP_NS1_7vsmem_tEENKUlT_SN_SO_SP_E_clIPjSG_PS9_SI_EESM_S12_SN_SO_SP_EUlS12_E_NS1_11comp_targetILNS1_3genE9ELNS1_11target_archE1100ELNS1_3gpuE3ELNS1_3repE0EEENS1_48merge_mergepath_partition_config_static_selectorELNS0_4arch9wavefront6targetE0EEEvSO_
                                        ; -- End function
	.set _ZN7rocprim17ROCPRIM_400000_NS6detail17trampoline_kernelINS0_14default_configENS1_38merge_sort_block_merge_config_selectorIjN6thrust23THRUST_200600_302600_NS5tupleIffNS6_9null_typeES8_S8_S8_S8_S8_S8_S8_EEEEZZNS1_27merge_sort_block_merge_implIS3_NS6_6detail15normal_iteratorINS6_10device_ptrIjEEEENSD_INSE_IS9_EEEEjNS1_19radix_merge_compareILb0ELb1EjNS0_19identity_decomposerEEEEE10hipError_tT0_T1_T2_jT3_P12ihipStream_tbPNSt15iterator_traitsISN_E10value_typeEPNST_ISO_E10value_typeEPSP_NS1_7vsmem_tEENKUlT_SN_SO_SP_E_clIPjSG_PS9_SI_EESM_S12_SN_SO_SP_EUlS12_E_NS1_11comp_targetILNS1_3genE9ELNS1_11target_archE1100ELNS1_3gpuE3ELNS1_3repE0EEENS1_48merge_mergepath_partition_config_static_selectorELNS0_4arch9wavefront6targetE0EEEvSO_.num_vgpr, 0
	.set _ZN7rocprim17ROCPRIM_400000_NS6detail17trampoline_kernelINS0_14default_configENS1_38merge_sort_block_merge_config_selectorIjN6thrust23THRUST_200600_302600_NS5tupleIffNS6_9null_typeES8_S8_S8_S8_S8_S8_S8_EEEEZZNS1_27merge_sort_block_merge_implIS3_NS6_6detail15normal_iteratorINS6_10device_ptrIjEEEENSD_INSE_IS9_EEEEjNS1_19radix_merge_compareILb0ELb1EjNS0_19identity_decomposerEEEEE10hipError_tT0_T1_T2_jT3_P12ihipStream_tbPNSt15iterator_traitsISN_E10value_typeEPNST_ISO_E10value_typeEPSP_NS1_7vsmem_tEENKUlT_SN_SO_SP_E_clIPjSG_PS9_SI_EESM_S12_SN_SO_SP_EUlS12_E_NS1_11comp_targetILNS1_3genE9ELNS1_11target_archE1100ELNS1_3gpuE3ELNS1_3repE0EEENS1_48merge_mergepath_partition_config_static_selectorELNS0_4arch9wavefront6targetE0EEEvSO_.num_agpr, 0
	.set _ZN7rocprim17ROCPRIM_400000_NS6detail17trampoline_kernelINS0_14default_configENS1_38merge_sort_block_merge_config_selectorIjN6thrust23THRUST_200600_302600_NS5tupleIffNS6_9null_typeES8_S8_S8_S8_S8_S8_S8_EEEEZZNS1_27merge_sort_block_merge_implIS3_NS6_6detail15normal_iteratorINS6_10device_ptrIjEEEENSD_INSE_IS9_EEEEjNS1_19radix_merge_compareILb0ELb1EjNS0_19identity_decomposerEEEEE10hipError_tT0_T1_T2_jT3_P12ihipStream_tbPNSt15iterator_traitsISN_E10value_typeEPNST_ISO_E10value_typeEPSP_NS1_7vsmem_tEENKUlT_SN_SO_SP_E_clIPjSG_PS9_SI_EESM_S12_SN_SO_SP_EUlS12_E_NS1_11comp_targetILNS1_3genE9ELNS1_11target_archE1100ELNS1_3gpuE3ELNS1_3repE0EEENS1_48merge_mergepath_partition_config_static_selectorELNS0_4arch9wavefront6targetE0EEEvSO_.numbered_sgpr, 0
	.set _ZN7rocprim17ROCPRIM_400000_NS6detail17trampoline_kernelINS0_14default_configENS1_38merge_sort_block_merge_config_selectorIjN6thrust23THRUST_200600_302600_NS5tupleIffNS6_9null_typeES8_S8_S8_S8_S8_S8_S8_EEEEZZNS1_27merge_sort_block_merge_implIS3_NS6_6detail15normal_iteratorINS6_10device_ptrIjEEEENSD_INSE_IS9_EEEEjNS1_19radix_merge_compareILb0ELb1EjNS0_19identity_decomposerEEEEE10hipError_tT0_T1_T2_jT3_P12ihipStream_tbPNSt15iterator_traitsISN_E10value_typeEPNST_ISO_E10value_typeEPSP_NS1_7vsmem_tEENKUlT_SN_SO_SP_E_clIPjSG_PS9_SI_EESM_S12_SN_SO_SP_EUlS12_E_NS1_11comp_targetILNS1_3genE9ELNS1_11target_archE1100ELNS1_3gpuE3ELNS1_3repE0EEENS1_48merge_mergepath_partition_config_static_selectorELNS0_4arch9wavefront6targetE0EEEvSO_.num_named_barrier, 0
	.set _ZN7rocprim17ROCPRIM_400000_NS6detail17trampoline_kernelINS0_14default_configENS1_38merge_sort_block_merge_config_selectorIjN6thrust23THRUST_200600_302600_NS5tupleIffNS6_9null_typeES8_S8_S8_S8_S8_S8_S8_EEEEZZNS1_27merge_sort_block_merge_implIS3_NS6_6detail15normal_iteratorINS6_10device_ptrIjEEEENSD_INSE_IS9_EEEEjNS1_19radix_merge_compareILb0ELb1EjNS0_19identity_decomposerEEEEE10hipError_tT0_T1_T2_jT3_P12ihipStream_tbPNSt15iterator_traitsISN_E10value_typeEPNST_ISO_E10value_typeEPSP_NS1_7vsmem_tEENKUlT_SN_SO_SP_E_clIPjSG_PS9_SI_EESM_S12_SN_SO_SP_EUlS12_E_NS1_11comp_targetILNS1_3genE9ELNS1_11target_archE1100ELNS1_3gpuE3ELNS1_3repE0EEENS1_48merge_mergepath_partition_config_static_selectorELNS0_4arch9wavefront6targetE0EEEvSO_.private_seg_size, 0
	.set _ZN7rocprim17ROCPRIM_400000_NS6detail17trampoline_kernelINS0_14default_configENS1_38merge_sort_block_merge_config_selectorIjN6thrust23THRUST_200600_302600_NS5tupleIffNS6_9null_typeES8_S8_S8_S8_S8_S8_S8_EEEEZZNS1_27merge_sort_block_merge_implIS3_NS6_6detail15normal_iteratorINS6_10device_ptrIjEEEENSD_INSE_IS9_EEEEjNS1_19radix_merge_compareILb0ELb1EjNS0_19identity_decomposerEEEEE10hipError_tT0_T1_T2_jT3_P12ihipStream_tbPNSt15iterator_traitsISN_E10value_typeEPNST_ISO_E10value_typeEPSP_NS1_7vsmem_tEENKUlT_SN_SO_SP_E_clIPjSG_PS9_SI_EESM_S12_SN_SO_SP_EUlS12_E_NS1_11comp_targetILNS1_3genE9ELNS1_11target_archE1100ELNS1_3gpuE3ELNS1_3repE0EEENS1_48merge_mergepath_partition_config_static_selectorELNS0_4arch9wavefront6targetE0EEEvSO_.uses_vcc, 0
	.set _ZN7rocprim17ROCPRIM_400000_NS6detail17trampoline_kernelINS0_14default_configENS1_38merge_sort_block_merge_config_selectorIjN6thrust23THRUST_200600_302600_NS5tupleIffNS6_9null_typeES8_S8_S8_S8_S8_S8_S8_EEEEZZNS1_27merge_sort_block_merge_implIS3_NS6_6detail15normal_iteratorINS6_10device_ptrIjEEEENSD_INSE_IS9_EEEEjNS1_19radix_merge_compareILb0ELb1EjNS0_19identity_decomposerEEEEE10hipError_tT0_T1_T2_jT3_P12ihipStream_tbPNSt15iterator_traitsISN_E10value_typeEPNST_ISO_E10value_typeEPSP_NS1_7vsmem_tEENKUlT_SN_SO_SP_E_clIPjSG_PS9_SI_EESM_S12_SN_SO_SP_EUlS12_E_NS1_11comp_targetILNS1_3genE9ELNS1_11target_archE1100ELNS1_3gpuE3ELNS1_3repE0EEENS1_48merge_mergepath_partition_config_static_selectorELNS0_4arch9wavefront6targetE0EEEvSO_.uses_flat_scratch, 0
	.set _ZN7rocprim17ROCPRIM_400000_NS6detail17trampoline_kernelINS0_14default_configENS1_38merge_sort_block_merge_config_selectorIjN6thrust23THRUST_200600_302600_NS5tupleIffNS6_9null_typeES8_S8_S8_S8_S8_S8_S8_EEEEZZNS1_27merge_sort_block_merge_implIS3_NS6_6detail15normal_iteratorINS6_10device_ptrIjEEEENSD_INSE_IS9_EEEEjNS1_19radix_merge_compareILb0ELb1EjNS0_19identity_decomposerEEEEE10hipError_tT0_T1_T2_jT3_P12ihipStream_tbPNSt15iterator_traitsISN_E10value_typeEPNST_ISO_E10value_typeEPSP_NS1_7vsmem_tEENKUlT_SN_SO_SP_E_clIPjSG_PS9_SI_EESM_S12_SN_SO_SP_EUlS12_E_NS1_11comp_targetILNS1_3genE9ELNS1_11target_archE1100ELNS1_3gpuE3ELNS1_3repE0EEENS1_48merge_mergepath_partition_config_static_selectorELNS0_4arch9wavefront6targetE0EEEvSO_.has_dyn_sized_stack, 0
	.set _ZN7rocprim17ROCPRIM_400000_NS6detail17trampoline_kernelINS0_14default_configENS1_38merge_sort_block_merge_config_selectorIjN6thrust23THRUST_200600_302600_NS5tupleIffNS6_9null_typeES8_S8_S8_S8_S8_S8_S8_EEEEZZNS1_27merge_sort_block_merge_implIS3_NS6_6detail15normal_iteratorINS6_10device_ptrIjEEEENSD_INSE_IS9_EEEEjNS1_19radix_merge_compareILb0ELb1EjNS0_19identity_decomposerEEEEE10hipError_tT0_T1_T2_jT3_P12ihipStream_tbPNSt15iterator_traitsISN_E10value_typeEPNST_ISO_E10value_typeEPSP_NS1_7vsmem_tEENKUlT_SN_SO_SP_E_clIPjSG_PS9_SI_EESM_S12_SN_SO_SP_EUlS12_E_NS1_11comp_targetILNS1_3genE9ELNS1_11target_archE1100ELNS1_3gpuE3ELNS1_3repE0EEENS1_48merge_mergepath_partition_config_static_selectorELNS0_4arch9wavefront6targetE0EEEvSO_.has_recursion, 0
	.set _ZN7rocprim17ROCPRIM_400000_NS6detail17trampoline_kernelINS0_14default_configENS1_38merge_sort_block_merge_config_selectorIjN6thrust23THRUST_200600_302600_NS5tupleIffNS6_9null_typeES8_S8_S8_S8_S8_S8_S8_EEEEZZNS1_27merge_sort_block_merge_implIS3_NS6_6detail15normal_iteratorINS6_10device_ptrIjEEEENSD_INSE_IS9_EEEEjNS1_19radix_merge_compareILb0ELb1EjNS0_19identity_decomposerEEEEE10hipError_tT0_T1_T2_jT3_P12ihipStream_tbPNSt15iterator_traitsISN_E10value_typeEPNST_ISO_E10value_typeEPSP_NS1_7vsmem_tEENKUlT_SN_SO_SP_E_clIPjSG_PS9_SI_EESM_S12_SN_SO_SP_EUlS12_E_NS1_11comp_targetILNS1_3genE9ELNS1_11target_archE1100ELNS1_3gpuE3ELNS1_3repE0EEENS1_48merge_mergepath_partition_config_static_selectorELNS0_4arch9wavefront6targetE0EEEvSO_.has_indirect_call, 0
	.section	.AMDGPU.csdata,"",@progbits
; Kernel info:
; codeLenInByte = 0
; TotalNumSgprs: 0
; NumVgprs: 0
; ScratchSize: 0
; MemoryBound: 0
; FloatMode: 240
; IeeeMode: 1
; LDSByteSize: 0 bytes/workgroup (compile time only)
; SGPRBlocks: 0
; VGPRBlocks: 0
; NumSGPRsForWavesPerEU: 1
; NumVGPRsForWavesPerEU: 1
; Occupancy: 16
; WaveLimiterHint : 0
; COMPUTE_PGM_RSRC2:SCRATCH_EN: 0
; COMPUTE_PGM_RSRC2:USER_SGPR: 2
; COMPUTE_PGM_RSRC2:TRAP_HANDLER: 0
; COMPUTE_PGM_RSRC2:TGID_X_EN: 1
; COMPUTE_PGM_RSRC2:TGID_Y_EN: 0
; COMPUTE_PGM_RSRC2:TGID_Z_EN: 0
; COMPUTE_PGM_RSRC2:TIDIG_COMP_CNT: 0
	.section	.text._ZN7rocprim17ROCPRIM_400000_NS6detail17trampoline_kernelINS0_14default_configENS1_38merge_sort_block_merge_config_selectorIjN6thrust23THRUST_200600_302600_NS5tupleIffNS6_9null_typeES8_S8_S8_S8_S8_S8_S8_EEEEZZNS1_27merge_sort_block_merge_implIS3_NS6_6detail15normal_iteratorINS6_10device_ptrIjEEEENSD_INSE_IS9_EEEEjNS1_19radix_merge_compareILb0ELb1EjNS0_19identity_decomposerEEEEE10hipError_tT0_T1_T2_jT3_P12ihipStream_tbPNSt15iterator_traitsISN_E10value_typeEPNST_ISO_E10value_typeEPSP_NS1_7vsmem_tEENKUlT_SN_SO_SP_E_clIPjSG_PS9_SI_EESM_S12_SN_SO_SP_EUlS12_E_NS1_11comp_targetILNS1_3genE8ELNS1_11target_archE1030ELNS1_3gpuE2ELNS1_3repE0EEENS1_48merge_mergepath_partition_config_static_selectorELNS0_4arch9wavefront6targetE0EEEvSO_,"axG",@progbits,_ZN7rocprim17ROCPRIM_400000_NS6detail17trampoline_kernelINS0_14default_configENS1_38merge_sort_block_merge_config_selectorIjN6thrust23THRUST_200600_302600_NS5tupleIffNS6_9null_typeES8_S8_S8_S8_S8_S8_S8_EEEEZZNS1_27merge_sort_block_merge_implIS3_NS6_6detail15normal_iteratorINS6_10device_ptrIjEEEENSD_INSE_IS9_EEEEjNS1_19radix_merge_compareILb0ELb1EjNS0_19identity_decomposerEEEEE10hipError_tT0_T1_T2_jT3_P12ihipStream_tbPNSt15iterator_traitsISN_E10value_typeEPNST_ISO_E10value_typeEPSP_NS1_7vsmem_tEENKUlT_SN_SO_SP_E_clIPjSG_PS9_SI_EESM_S12_SN_SO_SP_EUlS12_E_NS1_11comp_targetILNS1_3genE8ELNS1_11target_archE1030ELNS1_3gpuE2ELNS1_3repE0EEENS1_48merge_mergepath_partition_config_static_selectorELNS0_4arch9wavefront6targetE0EEEvSO_,comdat
	.protected	_ZN7rocprim17ROCPRIM_400000_NS6detail17trampoline_kernelINS0_14default_configENS1_38merge_sort_block_merge_config_selectorIjN6thrust23THRUST_200600_302600_NS5tupleIffNS6_9null_typeES8_S8_S8_S8_S8_S8_S8_EEEEZZNS1_27merge_sort_block_merge_implIS3_NS6_6detail15normal_iteratorINS6_10device_ptrIjEEEENSD_INSE_IS9_EEEEjNS1_19radix_merge_compareILb0ELb1EjNS0_19identity_decomposerEEEEE10hipError_tT0_T1_T2_jT3_P12ihipStream_tbPNSt15iterator_traitsISN_E10value_typeEPNST_ISO_E10value_typeEPSP_NS1_7vsmem_tEENKUlT_SN_SO_SP_E_clIPjSG_PS9_SI_EESM_S12_SN_SO_SP_EUlS12_E_NS1_11comp_targetILNS1_3genE8ELNS1_11target_archE1030ELNS1_3gpuE2ELNS1_3repE0EEENS1_48merge_mergepath_partition_config_static_selectorELNS0_4arch9wavefront6targetE0EEEvSO_ ; -- Begin function _ZN7rocprim17ROCPRIM_400000_NS6detail17trampoline_kernelINS0_14default_configENS1_38merge_sort_block_merge_config_selectorIjN6thrust23THRUST_200600_302600_NS5tupleIffNS6_9null_typeES8_S8_S8_S8_S8_S8_S8_EEEEZZNS1_27merge_sort_block_merge_implIS3_NS6_6detail15normal_iteratorINS6_10device_ptrIjEEEENSD_INSE_IS9_EEEEjNS1_19radix_merge_compareILb0ELb1EjNS0_19identity_decomposerEEEEE10hipError_tT0_T1_T2_jT3_P12ihipStream_tbPNSt15iterator_traitsISN_E10value_typeEPNST_ISO_E10value_typeEPSP_NS1_7vsmem_tEENKUlT_SN_SO_SP_E_clIPjSG_PS9_SI_EESM_S12_SN_SO_SP_EUlS12_E_NS1_11comp_targetILNS1_3genE8ELNS1_11target_archE1030ELNS1_3gpuE2ELNS1_3repE0EEENS1_48merge_mergepath_partition_config_static_selectorELNS0_4arch9wavefront6targetE0EEEvSO_
	.globl	_ZN7rocprim17ROCPRIM_400000_NS6detail17trampoline_kernelINS0_14default_configENS1_38merge_sort_block_merge_config_selectorIjN6thrust23THRUST_200600_302600_NS5tupleIffNS6_9null_typeES8_S8_S8_S8_S8_S8_S8_EEEEZZNS1_27merge_sort_block_merge_implIS3_NS6_6detail15normal_iteratorINS6_10device_ptrIjEEEENSD_INSE_IS9_EEEEjNS1_19radix_merge_compareILb0ELb1EjNS0_19identity_decomposerEEEEE10hipError_tT0_T1_T2_jT3_P12ihipStream_tbPNSt15iterator_traitsISN_E10value_typeEPNST_ISO_E10value_typeEPSP_NS1_7vsmem_tEENKUlT_SN_SO_SP_E_clIPjSG_PS9_SI_EESM_S12_SN_SO_SP_EUlS12_E_NS1_11comp_targetILNS1_3genE8ELNS1_11target_archE1030ELNS1_3gpuE2ELNS1_3repE0EEENS1_48merge_mergepath_partition_config_static_selectorELNS0_4arch9wavefront6targetE0EEEvSO_
	.p2align	8
	.type	_ZN7rocprim17ROCPRIM_400000_NS6detail17trampoline_kernelINS0_14default_configENS1_38merge_sort_block_merge_config_selectorIjN6thrust23THRUST_200600_302600_NS5tupleIffNS6_9null_typeES8_S8_S8_S8_S8_S8_S8_EEEEZZNS1_27merge_sort_block_merge_implIS3_NS6_6detail15normal_iteratorINS6_10device_ptrIjEEEENSD_INSE_IS9_EEEEjNS1_19radix_merge_compareILb0ELb1EjNS0_19identity_decomposerEEEEE10hipError_tT0_T1_T2_jT3_P12ihipStream_tbPNSt15iterator_traitsISN_E10value_typeEPNST_ISO_E10value_typeEPSP_NS1_7vsmem_tEENKUlT_SN_SO_SP_E_clIPjSG_PS9_SI_EESM_S12_SN_SO_SP_EUlS12_E_NS1_11comp_targetILNS1_3genE8ELNS1_11target_archE1030ELNS1_3gpuE2ELNS1_3repE0EEENS1_48merge_mergepath_partition_config_static_selectorELNS0_4arch9wavefront6targetE0EEEvSO_,@function
_ZN7rocprim17ROCPRIM_400000_NS6detail17trampoline_kernelINS0_14default_configENS1_38merge_sort_block_merge_config_selectorIjN6thrust23THRUST_200600_302600_NS5tupleIffNS6_9null_typeES8_S8_S8_S8_S8_S8_S8_EEEEZZNS1_27merge_sort_block_merge_implIS3_NS6_6detail15normal_iteratorINS6_10device_ptrIjEEEENSD_INSE_IS9_EEEEjNS1_19radix_merge_compareILb0ELb1EjNS0_19identity_decomposerEEEEE10hipError_tT0_T1_T2_jT3_P12ihipStream_tbPNSt15iterator_traitsISN_E10value_typeEPNST_ISO_E10value_typeEPSP_NS1_7vsmem_tEENKUlT_SN_SO_SP_E_clIPjSG_PS9_SI_EESM_S12_SN_SO_SP_EUlS12_E_NS1_11comp_targetILNS1_3genE8ELNS1_11target_archE1030ELNS1_3gpuE2ELNS1_3repE0EEENS1_48merge_mergepath_partition_config_static_selectorELNS0_4arch9wavefront6targetE0EEEvSO_: ; @_ZN7rocprim17ROCPRIM_400000_NS6detail17trampoline_kernelINS0_14default_configENS1_38merge_sort_block_merge_config_selectorIjN6thrust23THRUST_200600_302600_NS5tupleIffNS6_9null_typeES8_S8_S8_S8_S8_S8_S8_EEEEZZNS1_27merge_sort_block_merge_implIS3_NS6_6detail15normal_iteratorINS6_10device_ptrIjEEEENSD_INSE_IS9_EEEEjNS1_19radix_merge_compareILb0ELb1EjNS0_19identity_decomposerEEEEE10hipError_tT0_T1_T2_jT3_P12ihipStream_tbPNSt15iterator_traitsISN_E10value_typeEPNST_ISO_E10value_typeEPSP_NS1_7vsmem_tEENKUlT_SN_SO_SP_E_clIPjSG_PS9_SI_EESM_S12_SN_SO_SP_EUlS12_E_NS1_11comp_targetILNS1_3genE8ELNS1_11target_archE1030ELNS1_3gpuE2ELNS1_3repE0EEENS1_48merge_mergepath_partition_config_static_selectorELNS0_4arch9wavefront6targetE0EEEvSO_
; %bb.0:
	.section	.rodata,"a",@progbits
	.p2align	6, 0x0
	.amdhsa_kernel _ZN7rocprim17ROCPRIM_400000_NS6detail17trampoline_kernelINS0_14default_configENS1_38merge_sort_block_merge_config_selectorIjN6thrust23THRUST_200600_302600_NS5tupleIffNS6_9null_typeES8_S8_S8_S8_S8_S8_S8_EEEEZZNS1_27merge_sort_block_merge_implIS3_NS6_6detail15normal_iteratorINS6_10device_ptrIjEEEENSD_INSE_IS9_EEEEjNS1_19radix_merge_compareILb0ELb1EjNS0_19identity_decomposerEEEEE10hipError_tT0_T1_T2_jT3_P12ihipStream_tbPNSt15iterator_traitsISN_E10value_typeEPNST_ISO_E10value_typeEPSP_NS1_7vsmem_tEENKUlT_SN_SO_SP_E_clIPjSG_PS9_SI_EESM_S12_SN_SO_SP_EUlS12_E_NS1_11comp_targetILNS1_3genE8ELNS1_11target_archE1030ELNS1_3gpuE2ELNS1_3repE0EEENS1_48merge_mergepath_partition_config_static_selectorELNS0_4arch9wavefront6targetE0EEEvSO_
		.amdhsa_group_segment_fixed_size 0
		.amdhsa_private_segment_fixed_size 0
		.amdhsa_kernarg_size 40
		.amdhsa_user_sgpr_count 2
		.amdhsa_user_sgpr_dispatch_ptr 0
		.amdhsa_user_sgpr_queue_ptr 0
		.amdhsa_user_sgpr_kernarg_segment_ptr 1
		.amdhsa_user_sgpr_dispatch_id 0
		.amdhsa_user_sgpr_private_segment_size 0
		.amdhsa_wavefront_size32 1
		.amdhsa_uses_dynamic_stack 0
		.amdhsa_enable_private_segment 0
		.amdhsa_system_sgpr_workgroup_id_x 1
		.amdhsa_system_sgpr_workgroup_id_y 0
		.amdhsa_system_sgpr_workgroup_id_z 0
		.amdhsa_system_sgpr_workgroup_info 0
		.amdhsa_system_vgpr_workitem_id 0
		.amdhsa_next_free_vgpr 1
		.amdhsa_next_free_sgpr 1
		.amdhsa_reserve_vcc 0
		.amdhsa_float_round_mode_32 0
		.amdhsa_float_round_mode_16_64 0
		.amdhsa_float_denorm_mode_32 3
		.amdhsa_float_denorm_mode_16_64 3
		.amdhsa_fp16_overflow 0
		.amdhsa_workgroup_processor_mode 1
		.amdhsa_memory_ordered 1
		.amdhsa_forward_progress 1
		.amdhsa_inst_pref_size 0
		.amdhsa_round_robin_scheduling 0
		.amdhsa_exception_fp_ieee_invalid_op 0
		.amdhsa_exception_fp_denorm_src 0
		.amdhsa_exception_fp_ieee_div_zero 0
		.amdhsa_exception_fp_ieee_overflow 0
		.amdhsa_exception_fp_ieee_underflow 0
		.amdhsa_exception_fp_ieee_inexact 0
		.amdhsa_exception_int_div_zero 0
	.end_amdhsa_kernel
	.section	.text._ZN7rocprim17ROCPRIM_400000_NS6detail17trampoline_kernelINS0_14default_configENS1_38merge_sort_block_merge_config_selectorIjN6thrust23THRUST_200600_302600_NS5tupleIffNS6_9null_typeES8_S8_S8_S8_S8_S8_S8_EEEEZZNS1_27merge_sort_block_merge_implIS3_NS6_6detail15normal_iteratorINS6_10device_ptrIjEEEENSD_INSE_IS9_EEEEjNS1_19radix_merge_compareILb0ELb1EjNS0_19identity_decomposerEEEEE10hipError_tT0_T1_T2_jT3_P12ihipStream_tbPNSt15iterator_traitsISN_E10value_typeEPNST_ISO_E10value_typeEPSP_NS1_7vsmem_tEENKUlT_SN_SO_SP_E_clIPjSG_PS9_SI_EESM_S12_SN_SO_SP_EUlS12_E_NS1_11comp_targetILNS1_3genE8ELNS1_11target_archE1030ELNS1_3gpuE2ELNS1_3repE0EEENS1_48merge_mergepath_partition_config_static_selectorELNS0_4arch9wavefront6targetE0EEEvSO_,"axG",@progbits,_ZN7rocprim17ROCPRIM_400000_NS6detail17trampoline_kernelINS0_14default_configENS1_38merge_sort_block_merge_config_selectorIjN6thrust23THRUST_200600_302600_NS5tupleIffNS6_9null_typeES8_S8_S8_S8_S8_S8_S8_EEEEZZNS1_27merge_sort_block_merge_implIS3_NS6_6detail15normal_iteratorINS6_10device_ptrIjEEEENSD_INSE_IS9_EEEEjNS1_19radix_merge_compareILb0ELb1EjNS0_19identity_decomposerEEEEE10hipError_tT0_T1_T2_jT3_P12ihipStream_tbPNSt15iterator_traitsISN_E10value_typeEPNST_ISO_E10value_typeEPSP_NS1_7vsmem_tEENKUlT_SN_SO_SP_E_clIPjSG_PS9_SI_EESM_S12_SN_SO_SP_EUlS12_E_NS1_11comp_targetILNS1_3genE8ELNS1_11target_archE1030ELNS1_3gpuE2ELNS1_3repE0EEENS1_48merge_mergepath_partition_config_static_selectorELNS0_4arch9wavefront6targetE0EEEvSO_,comdat
.Lfunc_end98:
	.size	_ZN7rocprim17ROCPRIM_400000_NS6detail17trampoline_kernelINS0_14default_configENS1_38merge_sort_block_merge_config_selectorIjN6thrust23THRUST_200600_302600_NS5tupleIffNS6_9null_typeES8_S8_S8_S8_S8_S8_S8_EEEEZZNS1_27merge_sort_block_merge_implIS3_NS6_6detail15normal_iteratorINS6_10device_ptrIjEEEENSD_INSE_IS9_EEEEjNS1_19radix_merge_compareILb0ELb1EjNS0_19identity_decomposerEEEEE10hipError_tT0_T1_T2_jT3_P12ihipStream_tbPNSt15iterator_traitsISN_E10value_typeEPNST_ISO_E10value_typeEPSP_NS1_7vsmem_tEENKUlT_SN_SO_SP_E_clIPjSG_PS9_SI_EESM_S12_SN_SO_SP_EUlS12_E_NS1_11comp_targetILNS1_3genE8ELNS1_11target_archE1030ELNS1_3gpuE2ELNS1_3repE0EEENS1_48merge_mergepath_partition_config_static_selectorELNS0_4arch9wavefront6targetE0EEEvSO_, .Lfunc_end98-_ZN7rocprim17ROCPRIM_400000_NS6detail17trampoline_kernelINS0_14default_configENS1_38merge_sort_block_merge_config_selectorIjN6thrust23THRUST_200600_302600_NS5tupleIffNS6_9null_typeES8_S8_S8_S8_S8_S8_S8_EEEEZZNS1_27merge_sort_block_merge_implIS3_NS6_6detail15normal_iteratorINS6_10device_ptrIjEEEENSD_INSE_IS9_EEEEjNS1_19radix_merge_compareILb0ELb1EjNS0_19identity_decomposerEEEEE10hipError_tT0_T1_T2_jT3_P12ihipStream_tbPNSt15iterator_traitsISN_E10value_typeEPNST_ISO_E10value_typeEPSP_NS1_7vsmem_tEENKUlT_SN_SO_SP_E_clIPjSG_PS9_SI_EESM_S12_SN_SO_SP_EUlS12_E_NS1_11comp_targetILNS1_3genE8ELNS1_11target_archE1030ELNS1_3gpuE2ELNS1_3repE0EEENS1_48merge_mergepath_partition_config_static_selectorELNS0_4arch9wavefront6targetE0EEEvSO_
                                        ; -- End function
	.set _ZN7rocprim17ROCPRIM_400000_NS6detail17trampoline_kernelINS0_14default_configENS1_38merge_sort_block_merge_config_selectorIjN6thrust23THRUST_200600_302600_NS5tupleIffNS6_9null_typeES8_S8_S8_S8_S8_S8_S8_EEEEZZNS1_27merge_sort_block_merge_implIS3_NS6_6detail15normal_iteratorINS6_10device_ptrIjEEEENSD_INSE_IS9_EEEEjNS1_19radix_merge_compareILb0ELb1EjNS0_19identity_decomposerEEEEE10hipError_tT0_T1_T2_jT3_P12ihipStream_tbPNSt15iterator_traitsISN_E10value_typeEPNST_ISO_E10value_typeEPSP_NS1_7vsmem_tEENKUlT_SN_SO_SP_E_clIPjSG_PS9_SI_EESM_S12_SN_SO_SP_EUlS12_E_NS1_11comp_targetILNS1_3genE8ELNS1_11target_archE1030ELNS1_3gpuE2ELNS1_3repE0EEENS1_48merge_mergepath_partition_config_static_selectorELNS0_4arch9wavefront6targetE0EEEvSO_.num_vgpr, 0
	.set _ZN7rocprim17ROCPRIM_400000_NS6detail17trampoline_kernelINS0_14default_configENS1_38merge_sort_block_merge_config_selectorIjN6thrust23THRUST_200600_302600_NS5tupleIffNS6_9null_typeES8_S8_S8_S8_S8_S8_S8_EEEEZZNS1_27merge_sort_block_merge_implIS3_NS6_6detail15normal_iteratorINS6_10device_ptrIjEEEENSD_INSE_IS9_EEEEjNS1_19radix_merge_compareILb0ELb1EjNS0_19identity_decomposerEEEEE10hipError_tT0_T1_T2_jT3_P12ihipStream_tbPNSt15iterator_traitsISN_E10value_typeEPNST_ISO_E10value_typeEPSP_NS1_7vsmem_tEENKUlT_SN_SO_SP_E_clIPjSG_PS9_SI_EESM_S12_SN_SO_SP_EUlS12_E_NS1_11comp_targetILNS1_3genE8ELNS1_11target_archE1030ELNS1_3gpuE2ELNS1_3repE0EEENS1_48merge_mergepath_partition_config_static_selectorELNS0_4arch9wavefront6targetE0EEEvSO_.num_agpr, 0
	.set _ZN7rocprim17ROCPRIM_400000_NS6detail17trampoline_kernelINS0_14default_configENS1_38merge_sort_block_merge_config_selectorIjN6thrust23THRUST_200600_302600_NS5tupleIffNS6_9null_typeES8_S8_S8_S8_S8_S8_S8_EEEEZZNS1_27merge_sort_block_merge_implIS3_NS6_6detail15normal_iteratorINS6_10device_ptrIjEEEENSD_INSE_IS9_EEEEjNS1_19radix_merge_compareILb0ELb1EjNS0_19identity_decomposerEEEEE10hipError_tT0_T1_T2_jT3_P12ihipStream_tbPNSt15iterator_traitsISN_E10value_typeEPNST_ISO_E10value_typeEPSP_NS1_7vsmem_tEENKUlT_SN_SO_SP_E_clIPjSG_PS9_SI_EESM_S12_SN_SO_SP_EUlS12_E_NS1_11comp_targetILNS1_3genE8ELNS1_11target_archE1030ELNS1_3gpuE2ELNS1_3repE0EEENS1_48merge_mergepath_partition_config_static_selectorELNS0_4arch9wavefront6targetE0EEEvSO_.numbered_sgpr, 0
	.set _ZN7rocprim17ROCPRIM_400000_NS6detail17trampoline_kernelINS0_14default_configENS1_38merge_sort_block_merge_config_selectorIjN6thrust23THRUST_200600_302600_NS5tupleIffNS6_9null_typeES8_S8_S8_S8_S8_S8_S8_EEEEZZNS1_27merge_sort_block_merge_implIS3_NS6_6detail15normal_iteratorINS6_10device_ptrIjEEEENSD_INSE_IS9_EEEEjNS1_19radix_merge_compareILb0ELb1EjNS0_19identity_decomposerEEEEE10hipError_tT0_T1_T2_jT3_P12ihipStream_tbPNSt15iterator_traitsISN_E10value_typeEPNST_ISO_E10value_typeEPSP_NS1_7vsmem_tEENKUlT_SN_SO_SP_E_clIPjSG_PS9_SI_EESM_S12_SN_SO_SP_EUlS12_E_NS1_11comp_targetILNS1_3genE8ELNS1_11target_archE1030ELNS1_3gpuE2ELNS1_3repE0EEENS1_48merge_mergepath_partition_config_static_selectorELNS0_4arch9wavefront6targetE0EEEvSO_.num_named_barrier, 0
	.set _ZN7rocprim17ROCPRIM_400000_NS6detail17trampoline_kernelINS0_14default_configENS1_38merge_sort_block_merge_config_selectorIjN6thrust23THRUST_200600_302600_NS5tupleIffNS6_9null_typeES8_S8_S8_S8_S8_S8_S8_EEEEZZNS1_27merge_sort_block_merge_implIS3_NS6_6detail15normal_iteratorINS6_10device_ptrIjEEEENSD_INSE_IS9_EEEEjNS1_19radix_merge_compareILb0ELb1EjNS0_19identity_decomposerEEEEE10hipError_tT0_T1_T2_jT3_P12ihipStream_tbPNSt15iterator_traitsISN_E10value_typeEPNST_ISO_E10value_typeEPSP_NS1_7vsmem_tEENKUlT_SN_SO_SP_E_clIPjSG_PS9_SI_EESM_S12_SN_SO_SP_EUlS12_E_NS1_11comp_targetILNS1_3genE8ELNS1_11target_archE1030ELNS1_3gpuE2ELNS1_3repE0EEENS1_48merge_mergepath_partition_config_static_selectorELNS0_4arch9wavefront6targetE0EEEvSO_.private_seg_size, 0
	.set _ZN7rocprim17ROCPRIM_400000_NS6detail17trampoline_kernelINS0_14default_configENS1_38merge_sort_block_merge_config_selectorIjN6thrust23THRUST_200600_302600_NS5tupleIffNS6_9null_typeES8_S8_S8_S8_S8_S8_S8_EEEEZZNS1_27merge_sort_block_merge_implIS3_NS6_6detail15normal_iteratorINS6_10device_ptrIjEEEENSD_INSE_IS9_EEEEjNS1_19radix_merge_compareILb0ELb1EjNS0_19identity_decomposerEEEEE10hipError_tT0_T1_T2_jT3_P12ihipStream_tbPNSt15iterator_traitsISN_E10value_typeEPNST_ISO_E10value_typeEPSP_NS1_7vsmem_tEENKUlT_SN_SO_SP_E_clIPjSG_PS9_SI_EESM_S12_SN_SO_SP_EUlS12_E_NS1_11comp_targetILNS1_3genE8ELNS1_11target_archE1030ELNS1_3gpuE2ELNS1_3repE0EEENS1_48merge_mergepath_partition_config_static_selectorELNS0_4arch9wavefront6targetE0EEEvSO_.uses_vcc, 0
	.set _ZN7rocprim17ROCPRIM_400000_NS6detail17trampoline_kernelINS0_14default_configENS1_38merge_sort_block_merge_config_selectorIjN6thrust23THRUST_200600_302600_NS5tupleIffNS6_9null_typeES8_S8_S8_S8_S8_S8_S8_EEEEZZNS1_27merge_sort_block_merge_implIS3_NS6_6detail15normal_iteratorINS6_10device_ptrIjEEEENSD_INSE_IS9_EEEEjNS1_19radix_merge_compareILb0ELb1EjNS0_19identity_decomposerEEEEE10hipError_tT0_T1_T2_jT3_P12ihipStream_tbPNSt15iterator_traitsISN_E10value_typeEPNST_ISO_E10value_typeEPSP_NS1_7vsmem_tEENKUlT_SN_SO_SP_E_clIPjSG_PS9_SI_EESM_S12_SN_SO_SP_EUlS12_E_NS1_11comp_targetILNS1_3genE8ELNS1_11target_archE1030ELNS1_3gpuE2ELNS1_3repE0EEENS1_48merge_mergepath_partition_config_static_selectorELNS0_4arch9wavefront6targetE0EEEvSO_.uses_flat_scratch, 0
	.set _ZN7rocprim17ROCPRIM_400000_NS6detail17trampoline_kernelINS0_14default_configENS1_38merge_sort_block_merge_config_selectorIjN6thrust23THRUST_200600_302600_NS5tupleIffNS6_9null_typeES8_S8_S8_S8_S8_S8_S8_EEEEZZNS1_27merge_sort_block_merge_implIS3_NS6_6detail15normal_iteratorINS6_10device_ptrIjEEEENSD_INSE_IS9_EEEEjNS1_19radix_merge_compareILb0ELb1EjNS0_19identity_decomposerEEEEE10hipError_tT0_T1_T2_jT3_P12ihipStream_tbPNSt15iterator_traitsISN_E10value_typeEPNST_ISO_E10value_typeEPSP_NS1_7vsmem_tEENKUlT_SN_SO_SP_E_clIPjSG_PS9_SI_EESM_S12_SN_SO_SP_EUlS12_E_NS1_11comp_targetILNS1_3genE8ELNS1_11target_archE1030ELNS1_3gpuE2ELNS1_3repE0EEENS1_48merge_mergepath_partition_config_static_selectorELNS0_4arch9wavefront6targetE0EEEvSO_.has_dyn_sized_stack, 0
	.set _ZN7rocprim17ROCPRIM_400000_NS6detail17trampoline_kernelINS0_14default_configENS1_38merge_sort_block_merge_config_selectorIjN6thrust23THRUST_200600_302600_NS5tupleIffNS6_9null_typeES8_S8_S8_S8_S8_S8_S8_EEEEZZNS1_27merge_sort_block_merge_implIS3_NS6_6detail15normal_iteratorINS6_10device_ptrIjEEEENSD_INSE_IS9_EEEEjNS1_19radix_merge_compareILb0ELb1EjNS0_19identity_decomposerEEEEE10hipError_tT0_T1_T2_jT3_P12ihipStream_tbPNSt15iterator_traitsISN_E10value_typeEPNST_ISO_E10value_typeEPSP_NS1_7vsmem_tEENKUlT_SN_SO_SP_E_clIPjSG_PS9_SI_EESM_S12_SN_SO_SP_EUlS12_E_NS1_11comp_targetILNS1_3genE8ELNS1_11target_archE1030ELNS1_3gpuE2ELNS1_3repE0EEENS1_48merge_mergepath_partition_config_static_selectorELNS0_4arch9wavefront6targetE0EEEvSO_.has_recursion, 0
	.set _ZN7rocprim17ROCPRIM_400000_NS6detail17trampoline_kernelINS0_14default_configENS1_38merge_sort_block_merge_config_selectorIjN6thrust23THRUST_200600_302600_NS5tupleIffNS6_9null_typeES8_S8_S8_S8_S8_S8_S8_EEEEZZNS1_27merge_sort_block_merge_implIS3_NS6_6detail15normal_iteratorINS6_10device_ptrIjEEEENSD_INSE_IS9_EEEEjNS1_19radix_merge_compareILb0ELb1EjNS0_19identity_decomposerEEEEE10hipError_tT0_T1_T2_jT3_P12ihipStream_tbPNSt15iterator_traitsISN_E10value_typeEPNST_ISO_E10value_typeEPSP_NS1_7vsmem_tEENKUlT_SN_SO_SP_E_clIPjSG_PS9_SI_EESM_S12_SN_SO_SP_EUlS12_E_NS1_11comp_targetILNS1_3genE8ELNS1_11target_archE1030ELNS1_3gpuE2ELNS1_3repE0EEENS1_48merge_mergepath_partition_config_static_selectorELNS0_4arch9wavefront6targetE0EEEvSO_.has_indirect_call, 0
	.section	.AMDGPU.csdata,"",@progbits
; Kernel info:
; codeLenInByte = 0
; TotalNumSgprs: 0
; NumVgprs: 0
; ScratchSize: 0
; MemoryBound: 0
; FloatMode: 240
; IeeeMode: 1
; LDSByteSize: 0 bytes/workgroup (compile time only)
; SGPRBlocks: 0
; VGPRBlocks: 0
; NumSGPRsForWavesPerEU: 1
; NumVGPRsForWavesPerEU: 1
; Occupancy: 16
; WaveLimiterHint : 0
; COMPUTE_PGM_RSRC2:SCRATCH_EN: 0
; COMPUTE_PGM_RSRC2:USER_SGPR: 2
; COMPUTE_PGM_RSRC2:TRAP_HANDLER: 0
; COMPUTE_PGM_RSRC2:TGID_X_EN: 1
; COMPUTE_PGM_RSRC2:TGID_Y_EN: 0
; COMPUTE_PGM_RSRC2:TGID_Z_EN: 0
; COMPUTE_PGM_RSRC2:TIDIG_COMP_CNT: 0
	.section	.text._ZN7rocprim17ROCPRIM_400000_NS6detail17trampoline_kernelINS0_14default_configENS1_38merge_sort_block_merge_config_selectorIjN6thrust23THRUST_200600_302600_NS5tupleIffNS6_9null_typeES8_S8_S8_S8_S8_S8_S8_EEEEZZNS1_27merge_sort_block_merge_implIS3_NS6_6detail15normal_iteratorINS6_10device_ptrIjEEEENSD_INSE_IS9_EEEEjNS1_19radix_merge_compareILb0ELb1EjNS0_19identity_decomposerEEEEE10hipError_tT0_T1_T2_jT3_P12ihipStream_tbPNSt15iterator_traitsISN_E10value_typeEPNST_ISO_E10value_typeEPSP_NS1_7vsmem_tEENKUlT_SN_SO_SP_E_clIPjSG_PS9_SI_EESM_S12_SN_SO_SP_EUlS12_E0_NS1_11comp_targetILNS1_3genE0ELNS1_11target_archE4294967295ELNS1_3gpuE0ELNS1_3repE0EEENS1_38merge_mergepath_config_static_selectorELNS0_4arch9wavefront6targetE0EEEvSO_,"axG",@progbits,_ZN7rocprim17ROCPRIM_400000_NS6detail17trampoline_kernelINS0_14default_configENS1_38merge_sort_block_merge_config_selectorIjN6thrust23THRUST_200600_302600_NS5tupleIffNS6_9null_typeES8_S8_S8_S8_S8_S8_S8_EEEEZZNS1_27merge_sort_block_merge_implIS3_NS6_6detail15normal_iteratorINS6_10device_ptrIjEEEENSD_INSE_IS9_EEEEjNS1_19radix_merge_compareILb0ELb1EjNS0_19identity_decomposerEEEEE10hipError_tT0_T1_T2_jT3_P12ihipStream_tbPNSt15iterator_traitsISN_E10value_typeEPNST_ISO_E10value_typeEPSP_NS1_7vsmem_tEENKUlT_SN_SO_SP_E_clIPjSG_PS9_SI_EESM_S12_SN_SO_SP_EUlS12_E0_NS1_11comp_targetILNS1_3genE0ELNS1_11target_archE4294967295ELNS1_3gpuE0ELNS1_3repE0EEENS1_38merge_mergepath_config_static_selectorELNS0_4arch9wavefront6targetE0EEEvSO_,comdat
	.protected	_ZN7rocprim17ROCPRIM_400000_NS6detail17trampoline_kernelINS0_14default_configENS1_38merge_sort_block_merge_config_selectorIjN6thrust23THRUST_200600_302600_NS5tupleIffNS6_9null_typeES8_S8_S8_S8_S8_S8_S8_EEEEZZNS1_27merge_sort_block_merge_implIS3_NS6_6detail15normal_iteratorINS6_10device_ptrIjEEEENSD_INSE_IS9_EEEEjNS1_19radix_merge_compareILb0ELb1EjNS0_19identity_decomposerEEEEE10hipError_tT0_T1_T2_jT3_P12ihipStream_tbPNSt15iterator_traitsISN_E10value_typeEPNST_ISO_E10value_typeEPSP_NS1_7vsmem_tEENKUlT_SN_SO_SP_E_clIPjSG_PS9_SI_EESM_S12_SN_SO_SP_EUlS12_E0_NS1_11comp_targetILNS1_3genE0ELNS1_11target_archE4294967295ELNS1_3gpuE0ELNS1_3repE0EEENS1_38merge_mergepath_config_static_selectorELNS0_4arch9wavefront6targetE0EEEvSO_ ; -- Begin function _ZN7rocprim17ROCPRIM_400000_NS6detail17trampoline_kernelINS0_14default_configENS1_38merge_sort_block_merge_config_selectorIjN6thrust23THRUST_200600_302600_NS5tupleIffNS6_9null_typeES8_S8_S8_S8_S8_S8_S8_EEEEZZNS1_27merge_sort_block_merge_implIS3_NS6_6detail15normal_iteratorINS6_10device_ptrIjEEEENSD_INSE_IS9_EEEEjNS1_19radix_merge_compareILb0ELb1EjNS0_19identity_decomposerEEEEE10hipError_tT0_T1_T2_jT3_P12ihipStream_tbPNSt15iterator_traitsISN_E10value_typeEPNST_ISO_E10value_typeEPSP_NS1_7vsmem_tEENKUlT_SN_SO_SP_E_clIPjSG_PS9_SI_EESM_S12_SN_SO_SP_EUlS12_E0_NS1_11comp_targetILNS1_3genE0ELNS1_11target_archE4294967295ELNS1_3gpuE0ELNS1_3repE0EEENS1_38merge_mergepath_config_static_selectorELNS0_4arch9wavefront6targetE0EEEvSO_
	.globl	_ZN7rocprim17ROCPRIM_400000_NS6detail17trampoline_kernelINS0_14default_configENS1_38merge_sort_block_merge_config_selectorIjN6thrust23THRUST_200600_302600_NS5tupleIffNS6_9null_typeES8_S8_S8_S8_S8_S8_S8_EEEEZZNS1_27merge_sort_block_merge_implIS3_NS6_6detail15normal_iteratorINS6_10device_ptrIjEEEENSD_INSE_IS9_EEEEjNS1_19radix_merge_compareILb0ELb1EjNS0_19identity_decomposerEEEEE10hipError_tT0_T1_T2_jT3_P12ihipStream_tbPNSt15iterator_traitsISN_E10value_typeEPNST_ISO_E10value_typeEPSP_NS1_7vsmem_tEENKUlT_SN_SO_SP_E_clIPjSG_PS9_SI_EESM_S12_SN_SO_SP_EUlS12_E0_NS1_11comp_targetILNS1_3genE0ELNS1_11target_archE4294967295ELNS1_3gpuE0ELNS1_3repE0EEENS1_38merge_mergepath_config_static_selectorELNS0_4arch9wavefront6targetE0EEEvSO_
	.p2align	8
	.type	_ZN7rocprim17ROCPRIM_400000_NS6detail17trampoline_kernelINS0_14default_configENS1_38merge_sort_block_merge_config_selectorIjN6thrust23THRUST_200600_302600_NS5tupleIffNS6_9null_typeES8_S8_S8_S8_S8_S8_S8_EEEEZZNS1_27merge_sort_block_merge_implIS3_NS6_6detail15normal_iteratorINS6_10device_ptrIjEEEENSD_INSE_IS9_EEEEjNS1_19radix_merge_compareILb0ELb1EjNS0_19identity_decomposerEEEEE10hipError_tT0_T1_T2_jT3_P12ihipStream_tbPNSt15iterator_traitsISN_E10value_typeEPNST_ISO_E10value_typeEPSP_NS1_7vsmem_tEENKUlT_SN_SO_SP_E_clIPjSG_PS9_SI_EESM_S12_SN_SO_SP_EUlS12_E0_NS1_11comp_targetILNS1_3genE0ELNS1_11target_archE4294967295ELNS1_3gpuE0ELNS1_3repE0EEENS1_38merge_mergepath_config_static_selectorELNS0_4arch9wavefront6targetE0EEEvSO_,@function
_ZN7rocprim17ROCPRIM_400000_NS6detail17trampoline_kernelINS0_14default_configENS1_38merge_sort_block_merge_config_selectorIjN6thrust23THRUST_200600_302600_NS5tupleIffNS6_9null_typeES8_S8_S8_S8_S8_S8_S8_EEEEZZNS1_27merge_sort_block_merge_implIS3_NS6_6detail15normal_iteratorINS6_10device_ptrIjEEEENSD_INSE_IS9_EEEEjNS1_19radix_merge_compareILb0ELb1EjNS0_19identity_decomposerEEEEE10hipError_tT0_T1_T2_jT3_P12ihipStream_tbPNSt15iterator_traitsISN_E10value_typeEPNST_ISO_E10value_typeEPSP_NS1_7vsmem_tEENKUlT_SN_SO_SP_E_clIPjSG_PS9_SI_EESM_S12_SN_SO_SP_EUlS12_E0_NS1_11comp_targetILNS1_3genE0ELNS1_11target_archE4294967295ELNS1_3gpuE0ELNS1_3repE0EEENS1_38merge_mergepath_config_static_selectorELNS0_4arch9wavefront6targetE0EEEvSO_: ; @_ZN7rocprim17ROCPRIM_400000_NS6detail17trampoline_kernelINS0_14default_configENS1_38merge_sort_block_merge_config_selectorIjN6thrust23THRUST_200600_302600_NS5tupleIffNS6_9null_typeES8_S8_S8_S8_S8_S8_S8_EEEEZZNS1_27merge_sort_block_merge_implIS3_NS6_6detail15normal_iteratorINS6_10device_ptrIjEEEENSD_INSE_IS9_EEEEjNS1_19radix_merge_compareILb0ELb1EjNS0_19identity_decomposerEEEEE10hipError_tT0_T1_T2_jT3_P12ihipStream_tbPNSt15iterator_traitsISN_E10value_typeEPNST_ISO_E10value_typeEPSP_NS1_7vsmem_tEENKUlT_SN_SO_SP_E_clIPjSG_PS9_SI_EESM_S12_SN_SO_SP_EUlS12_E0_NS1_11comp_targetILNS1_3genE0ELNS1_11target_archE4294967295ELNS1_3gpuE0ELNS1_3repE0EEENS1_38merge_mergepath_config_static_selectorELNS0_4arch9wavefront6targetE0EEEvSO_
; %bb.0:
	.section	.rodata,"a",@progbits
	.p2align	6, 0x0
	.amdhsa_kernel _ZN7rocprim17ROCPRIM_400000_NS6detail17trampoline_kernelINS0_14default_configENS1_38merge_sort_block_merge_config_selectorIjN6thrust23THRUST_200600_302600_NS5tupleIffNS6_9null_typeES8_S8_S8_S8_S8_S8_S8_EEEEZZNS1_27merge_sort_block_merge_implIS3_NS6_6detail15normal_iteratorINS6_10device_ptrIjEEEENSD_INSE_IS9_EEEEjNS1_19radix_merge_compareILb0ELb1EjNS0_19identity_decomposerEEEEE10hipError_tT0_T1_T2_jT3_P12ihipStream_tbPNSt15iterator_traitsISN_E10value_typeEPNST_ISO_E10value_typeEPSP_NS1_7vsmem_tEENKUlT_SN_SO_SP_E_clIPjSG_PS9_SI_EESM_S12_SN_SO_SP_EUlS12_E0_NS1_11comp_targetILNS1_3genE0ELNS1_11target_archE4294967295ELNS1_3gpuE0ELNS1_3repE0EEENS1_38merge_mergepath_config_static_selectorELNS0_4arch9wavefront6targetE0EEEvSO_
		.amdhsa_group_segment_fixed_size 0
		.amdhsa_private_segment_fixed_size 0
		.amdhsa_kernarg_size 64
		.amdhsa_user_sgpr_count 2
		.amdhsa_user_sgpr_dispatch_ptr 0
		.amdhsa_user_sgpr_queue_ptr 0
		.amdhsa_user_sgpr_kernarg_segment_ptr 1
		.amdhsa_user_sgpr_dispatch_id 0
		.amdhsa_user_sgpr_private_segment_size 0
		.amdhsa_wavefront_size32 1
		.amdhsa_uses_dynamic_stack 0
		.amdhsa_enable_private_segment 0
		.amdhsa_system_sgpr_workgroup_id_x 1
		.amdhsa_system_sgpr_workgroup_id_y 0
		.amdhsa_system_sgpr_workgroup_id_z 0
		.amdhsa_system_sgpr_workgroup_info 0
		.amdhsa_system_vgpr_workitem_id 0
		.amdhsa_next_free_vgpr 1
		.amdhsa_next_free_sgpr 1
		.amdhsa_reserve_vcc 0
		.amdhsa_float_round_mode_32 0
		.amdhsa_float_round_mode_16_64 0
		.amdhsa_float_denorm_mode_32 3
		.amdhsa_float_denorm_mode_16_64 3
		.amdhsa_fp16_overflow 0
		.amdhsa_workgroup_processor_mode 1
		.amdhsa_memory_ordered 1
		.amdhsa_forward_progress 1
		.amdhsa_inst_pref_size 0
		.amdhsa_round_robin_scheduling 0
		.amdhsa_exception_fp_ieee_invalid_op 0
		.amdhsa_exception_fp_denorm_src 0
		.amdhsa_exception_fp_ieee_div_zero 0
		.amdhsa_exception_fp_ieee_overflow 0
		.amdhsa_exception_fp_ieee_underflow 0
		.amdhsa_exception_fp_ieee_inexact 0
		.amdhsa_exception_int_div_zero 0
	.end_amdhsa_kernel
	.section	.text._ZN7rocprim17ROCPRIM_400000_NS6detail17trampoline_kernelINS0_14default_configENS1_38merge_sort_block_merge_config_selectorIjN6thrust23THRUST_200600_302600_NS5tupleIffNS6_9null_typeES8_S8_S8_S8_S8_S8_S8_EEEEZZNS1_27merge_sort_block_merge_implIS3_NS6_6detail15normal_iteratorINS6_10device_ptrIjEEEENSD_INSE_IS9_EEEEjNS1_19radix_merge_compareILb0ELb1EjNS0_19identity_decomposerEEEEE10hipError_tT0_T1_T2_jT3_P12ihipStream_tbPNSt15iterator_traitsISN_E10value_typeEPNST_ISO_E10value_typeEPSP_NS1_7vsmem_tEENKUlT_SN_SO_SP_E_clIPjSG_PS9_SI_EESM_S12_SN_SO_SP_EUlS12_E0_NS1_11comp_targetILNS1_3genE0ELNS1_11target_archE4294967295ELNS1_3gpuE0ELNS1_3repE0EEENS1_38merge_mergepath_config_static_selectorELNS0_4arch9wavefront6targetE0EEEvSO_,"axG",@progbits,_ZN7rocprim17ROCPRIM_400000_NS6detail17trampoline_kernelINS0_14default_configENS1_38merge_sort_block_merge_config_selectorIjN6thrust23THRUST_200600_302600_NS5tupleIffNS6_9null_typeES8_S8_S8_S8_S8_S8_S8_EEEEZZNS1_27merge_sort_block_merge_implIS3_NS6_6detail15normal_iteratorINS6_10device_ptrIjEEEENSD_INSE_IS9_EEEEjNS1_19radix_merge_compareILb0ELb1EjNS0_19identity_decomposerEEEEE10hipError_tT0_T1_T2_jT3_P12ihipStream_tbPNSt15iterator_traitsISN_E10value_typeEPNST_ISO_E10value_typeEPSP_NS1_7vsmem_tEENKUlT_SN_SO_SP_E_clIPjSG_PS9_SI_EESM_S12_SN_SO_SP_EUlS12_E0_NS1_11comp_targetILNS1_3genE0ELNS1_11target_archE4294967295ELNS1_3gpuE0ELNS1_3repE0EEENS1_38merge_mergepath_config_static_selectorELNS0_4arch9wavefront6targetE0EEEvSO_,comdat
.Lfunc_end99:
	.size	_ZN7rocprim17ROCPRIM_400000_NS6detail17trampoline_kernelINS0_14default_configENS1_38merge_sort_block_merge_config_selectorIjN6thrust23THRUST_200600_302600_NS5tupleIffNS6_9null_typeES8_S8_S8_S8_S8_S8_S8_EEEEZZNS1_27merge_sort_block_merge_implIS3_NS6_6detail15normal_iteratorINS6_10device_ptrIjEEEENSD_INSE_IS9_EEEEjNS1_19radix_merge_compareILb0ELb1EjNS0_19identity_decomposerEEEEE10hipError_tT0_T1_T2_jT3_P12ihipStream_tbPNSt15iterator_traitsISN_E10value_typeEPNST_ISO_E10value_typeEPSP_NS1_7vsmem_tEENKUlT_SN_SO_SP_E_clIPjSG_PS9_SI_EESM_S12_SN_SO_SP_EUlS12_E0_NS1_11comp_targetILNS1_3genE0ELNS1_11target_archE4294967295ELNS1_3gpuE0ELNS1_3repE0EEENS1_38merge_mergepath_config_static_selectorELNS0_4arch9wavefront6targetE0EEEvSO_, .Lfunc_end99-_ZN7rocprim17ROCPRIM_400000_NS6detail17trampoline_kernelINS0_14default_configENS1_38merge_sort_block_merge_config_selectorIjN6thrust23THRUST_200600_302600_NS5tupleIffNS6_9null_typeES8_S8_S8_S8_S8_S8_S8_EEEEZZNS1_27merge_sort_block_merge_implIS3_NS6_6detail15normal_iteratorINS6_10device_ptrIjEEEENSD_INSE_IS9_EEEEjNS1_19radix_merge_compareILb0ELb1EjNS0_19identity_decomposerEEEEE10hipError_tT0_T1_T2_jT3_P12ihipStream_tbPNSt15iterator_traitsISN_E10value_typeEPNST_ISO_E10value_typeEPSP_NS1_7vsmem_tEENKUlT_SN_SO_SP_E_clIPjSG_PS9_SI_EESM_S12_SN_SO_SP_EUlS12_E0_NS1_11comp_targetILNS1_3genE0ELNS1_11target_archE4294967295ELNS1_3gpuE0ELNS1_3repE0EEENS1_38merge_mergepath_config_static_selectorELNS0_4arch9wavefront6targetE0EEEvSO_
                                        ; -- End function
	.set _ZN7rocprim17ROCPRIM_400000_NS6detail17trampoline_kernelINS0_14default_configENS1_38merge_sort_block_merge_config_selectorIjN6thrust23THRUST_200600_302600_NS5tupleIffNS6_9null_typeES8_S8_S8_S8_S8_S8_S8_EEEEZZNS1_27merge_sort_block_merge_implIS3_NS6_6detail15normal_iteratorINS6_10device_ptrIjEEEENSD_INSE_IS9_EEEEjNS1_19radix_merge_compareILb0ELb1EjNS0_19identity_decomposerEEEEE10hipError_tT0_T1_T2_jT3_P12ihipStream_tbPNSt15iterator_traitsISN_E10value_typeEPNST_ISO_E10value_typeEPSP_NS1_7vsmem_tEENKUlT_SN_SO_SP_E_clIPjSG_PS9_SI_EESM_S12_SN_SO_SP_EUlS12_E0_NS1_11comp_targetILNS1_3genE0ELNS1_11target_archE4294967295ELNS1_3gpuE0ELNS1_3repE0EEENS1_38merge_mergepath_config_static_selectorELNS0_4arch9wavefront6targetE0EEEvSO_.num_vgpr, 0
	.set _ZN7rocprim17ROCPRIM_400000_NS6detail17trampoline_kernelINS0_14default_configENS1_38merge_sort_block_merge_config_selectorIjN6thrust23THRUST_200600_302600_NS5tupleIffNS6_9null_typeES8_S8_S8_S8_S8_S8_S8_EEEEZZNS1_27merge_sort_block_merge_implIS3_NS6_6detail15normal_iteratorINS6_10device_ptrIjEEEENSD_INSE_IS9_EEEEjNS1_19radix_merge_compareILb0ELb1EjNS0_19identity_decomposerEEEEE10hipError_tT0_T1_T2_jT3_P12ihipStream_tbPNSt15iterator_traitsISN_E10value_typeEPNST_ISO_E10value_typeEPSP_NS1_7vsmem_tEENKUlT_SN_SO_SP_E_clIPjSG_PS9_SI_EESM_S12_SN_SO_SP_EUlS12_E0_NS1_11comp_targetILNS1_3genE0ELNS1_11target_archE4294967295ELNS1_3gpuE0ELNS1_3repE0EEENS1_38merge_mergepath_config_static_selectorELNS0_4arch9wavefront6targetE0EEEvSO_.num_agpr, 0
	.set _ZN7rocprim17ROCPRIM_400000_NS6detail17trampoline_kernelINS0_14default_configENS1_38merge_sort_block_merge_config_selectorIjN6thrust23THRUST_200600_302600_NS5tupleIffNS6_9null_typeES8_S8_S8_S8_S8_S8_S8_EEEEZZNS1_27merge_sort_block_merge_implIS3_NS6_6detail15normal_iteratorINS6_10device_ptrIjEEEENSD_INSE_IS9_EEEEjNS1_19radix_merge_compareILb0ELb1EjNS0_19identity_decomposerEEEEE10hipError_tT0_T1_T2_jT3_P12ihipStream_tbPNSt15iterator_traitsISN_E10value_typeEPNST_ISO_E10value_typeEPSP_NS1_7vsmem_tEENKUlT_SN_SO_SP_E_clIPjSG_PS9_SI_EESM_S12_SN_SO_SP_EUlS12_E0_NS1_11comp_targetILNS1_3genE0ELNS1_11target_archE4294967295ELNS1_3gpuE0ELNS1_3repE0EEENS1_38merge_mergepath_config_static_selectorELNS0_4arch9wavefront6targetE0EEEvSO_.numbered_sgpr, 0
	.set _ZN7rocprim17ROCPRIM_400000_NS6detail17trampoline_kernelINS0_14default_configENS1_38merge_sort_block_merge_config_selectorIjN6thrust23THRUST_200600_302600_NS5tupleIffNS6_9null_typeES8_S8_S8_S8_S8_S8_S8_EEEEZZNS1_27merge_sort_block_merge_implIS3_NS6_6detail15normal_iteratorINS6_10device_ptrIjEEEENSD_INSE_IS9_EEEEjNS1_19radix_merge_compareILb0ELb1EjNS0_19identity_decomposerEEEEE10hipError_tT0_T1_T2_jT3_P12ihipStream_tbPNSt15iterator_traitsISN_E10value_typeEPNST_ISO_E10value_typeEPSP_NS1_7vsmem_tEENKUlT_SN_SO_SP_E_clIPjSG_PS9_SI_EESM_S12_SN_SO_SP_EUlS12_E0_NS1_11comp_targetILNS1_3genE0ELNS1_11target_archE4294967295ELNS1_3gpuE0ELNS1_3repE0EEENS1_38merge_mergepath_config_static_selectorELNS0_4arch9wavefront6targetE0EEEvSO_.num_named_barrier, 0
	.set _ZN7rocprim17ROCPRIM_400000_NS6detail17trampoline_kernelINS0_14default_configENS1_38merge_sort_block_merge_config_selectorIjN6thrust23THRUST_200600_302600_NS5tupleIffNS6_9null_typeES8_S8_S8_S8_S8_S8_S8_EEEEZZNS1_27merge_sort_block_merge_implIS3_NS6_6detail15normal_iteratorINS6_10device_ptrIjEEEENSD_INSE_IS9_EEEEjNS1_19radix_merge_compareILb0ELb1EjNS0_19identity_decomposerEEEEE10hipError_tT0_T1_T2_jT3_P12ihipStream_tbPNSt15iterator_traitsISN_E10value_typeEPNST_ISO_E10value_typeEPSP_NS1_7vsmem_tEENKUlT_SN_SO_SP_E_clIPjSG_PS9_SI_EESM_S12_SN_SO_SP_EUlS12_E0_NS1_11comp_targetILNS1_3genE0ELNS1_11target_archE4294967295ELNS1_3gpuE0ELNS1_3repE0EEENS1_38merge_mergepath_config_static_selectorELNS0_4arch9wavefront6targetE0EEEvSO_.private_seg_size, 0
	.set _ZN7rocprim17ROCPRIM_400000_NS6detail17trampoline_kernelINS0_14default_configENS1_38merge_sort_block_merge_config_selectorIjN6thrust23THRUST_200600_302600_NS5tupleIffNS6_9null_typeES8_S8_S8_S8_S8_S8_S8_EEEEZZNS1_27merge_sort_block_merge_implIS3_NS6_6detail15normal_iteratorINS6_10device_ptrIjEEEENSD_INSE_IS9_EEEEjNS1_19radix_merge_compareILb0ELb1EjNS0_19identity_decomposerEEEEE10hipError_tT0_T1_T2_jT3_P12ihipStream_tbPNSt15iterator_traitsISN_E10value_typeEPNST_ISO_E10value_typeEPSP_NS1_7vsmem_tEENKUlT_SN_SO_SP_E_clIPjSG_PS9_SI_EESM_S12_SN_SO_SP_EUlS12_E0_NS1_11comp_targetILNS1_3genE0ELNS1_11target_archE4294967295ELNS1_3gpuE0ELNS1_3repE0EEENS1_38merge_mergepath_config_static_selectorELNS0_4arch9wavefront6targetE0EEEvSO_.uses_vcc, 0
	.set _ZN7rocprim17ROCPRIM_400000_NS6detail17trampoline_kernelINS0_14default_configENS1_38merge_sort_block_merge_config_selectorIjN6thrust23THRUST_200600_302600_NS5tupleIffNS6_9null_typeES8_S8_S8_S8_S8_S8_S8_EEEEZZNS1_27merge_sort_block_merge_implIS3_NS6_6detail15normal_iteratorINS6_10device_ptrIjEEEENSD_INSE_IS9_EEEEjNS1_19radix_merge_compareILb0ELb1EjNS0_19identity_decomposerEEEEE10hipError_tT0_T1_T2_jT3_P12ihipStream_tbPNSt15iterator_traitsISN_E10value_typeEPNST_ISO_E10value_typeEPSP_NS1_7vsmem_tEENKUlT_SN_SO_SP_E_clIPjSG_PS9_SI_EESM_S12_SN_SO_SP_EUlS12_E0_NS1_11comp_targetILNS1_3genE0ELNS1_11target_archE4294967295ELNS1_3gpuE0ELNS1_3repE0EEENS1_38merge_mergepath_config_static_selectorELNS0_4arch9wavefront6targetE0EEEvSO_.uses_flat_scratch, 0
	.set _ZN7rocprim17ROCPRIM_400000_NS6detail17trampoline_kernelINS0_14default_configENS1_38merge_sort_block_merge_config_selectorIjN6thrust23THRUST_200600_302600_NS5tupleIffNS6_9null_typeES8_S8_S8_S8_S8_S8_S8_EEEEZZNS1_27merge_sort_block_merge_implIS3_NS6_6detail15normal_iteratorINS6_10device_ptrIjEEEENSD_INSE_IS9_EEEEjNS1_19radix_merge_compareILb0ELb1EjNS0_19identity_decomposerEEEEE10hipError_tT0_T1_T2_jT3_P12ihipStream_tbPNSt15iterator_traitsISN_E10value_typeEPNST_ISO_E10value_typeEPSP_NS1_7vsmem_tEENKUlT_SN_SO_SP_E_clIPjSG_PS9_SI_EESM_S12_SN_SO_SP_EUlS12_E0_NS1_11comp_targetILNS1_3genE0ELNS1_11target_archE4294967295ELNS1_3gpuE0ELNS1_3repE0EEENS1_38merge_mergepath_config_static_selectorELNS0_4arch9wavefront6targetE0EEEvSO_.has_dyn_sized_stack, 0
	.set _ZN7rocprim17ROCPRIM_400000_NS6detail17trampoline_kernelINS0_14default_configENS1_38merge_sort_block_merge_config_selectorIjN6thrust23THRUST_200600_302600_NS5tupleIffNS6_9null_typeES8_S8_S8_S8_S8_S8_S8_EEEEZZNS1_27merge_sort_block_merge_implIS3_NS6_6detail15normal_iteratorINS6_10device_ptrIjEEEENSD_INSE_IS9_EEEEjNS1_19radix_merge_compareILb0ELb1EjNS0_19identity_decomposerEEEEE10hipError_tT0_T1_T2_jT3_P12ihipStream_tbPNSt15iterator_traitsISN_E10value_typeEPNST_ISO_E10value_typeEPSP_NS1_7vsmem_tEENKUlT_SN_SO_SP_E_clIPjSG_PS9_SI_EESM_S12_SN_SO_SP_EUlS12_E0_NS1_11comp_targetILNS1_3genE0ELNS1_11target_archE4294967295ELNS1_3gpuE0ELNS1_3repE0EEENS1_38merge_mergepath_config_static_selectorELNS0_4arch9wavefront6targetE0EEEvSO_.has_recursion, 0
	.set _ZN7rocprim17ROCPRIM_400000_NS6detail17trampoline_kernelINS0_14default_configENS1_38merge_sort_block_merge_config_selectorIjN6thrust23THRUST_200600_302600_NS5tupleIffNS6_9null_typeES8_S8_S8_S8_S8_S8_S8_EEEEZZNS1_27merge_sort_block_merge_implIS3_NS6_6detail15normal_iteratorINS6_10device_ptrIjEEEENSD_INSE_IS9_EEEEjNS1_19radix_merge_compareILb0ELb1EjNS0_19identity_decomposerEEEEE10hipError_tT0_T1_T2_jT3_P12ihipStream_tbPNSt15iterator_traitsISN_E10value_typeEPNST_ISO_E10value_typeEPSP_NS1_7vsmem_tEENKUlT_SN_SO_SP_E_clIPjSG_PS9_SI_EESM_S12_SN_SO_SP_EUlS12_E0_NS1_11comp_targetILNS1_3genE0ELNS1_11target_archE4294967295ELNS1_3gpuE0ELNS1_3repE0EEENS1_38merge_mergepath_config_static_selectorELNS0_4arch9wavefront6targetE0EEEvSO_.has_indirect_call, 0
	.section	.AMDGPU.csdata,"",@progbits
; Kernel info:
; codeLenInByte = 0
; TotalNumSgprs: 0
; NumVgprs: 0
; ScratchSize: 0
; MemoryBound: 0
; FloatMode: 240
; IeeeMode: 1
; LDSByteSize: 0 bytes/workgroup (compile time only)
; SGPRBlocks: 0
; VGPRBlocks: 0
; NumSGPRsForWavesPerEU: 1
; NumVGPRsForWavesPerEU: 1
; Occupancy: 16
; WaveLimiterHint : 0
; COMPUTE_PGM_RSRC2:SCRATCH_EN: 0
; COMPUTE_PGM_RSRC2:USER_SGPR: 2
; COMPUTE_PGM_RSRC2:TRAP_HANDLER: 0
; COMPUTE_PGM_RSRC2:TGID_X_EN: 1
; COMPUTE_PGM_RSRC2:TGID_Y_EN: 0
; COMPUTE_PGM_RSRC2:TGID_Z_EN: 0
; COMPUTE_PGM_RSRC2:TIDIG_COMP_CNT: 0
	.section	.text._ZN7rocprim17ROCPRIM_400000_NS6detail17trampoline_kernelINS0_14default_configENS1_38merge_sort_block_merge_config_selectorIjN6thrust23THRUST_200600_302600_NS5tupleIffNS6_9null_typeES8_S8_S8_S8_S8_S8_S8_EEEEZZNS1_27merge_sort_block_merge_implIS3_NS6_6detail15normal_iteratorINS6_10device_ptrIjEEEENSD_INSE_IS9_EEEEjNS1_19radix_merge_compareILb0ELb1EjNS0_19identity_decomposerEEEEE10hipError_tT0_T1_T2_jT3_P12ihipStream_tbPNSt15iterator_traitsISN_E10value_typeEPNST_ISO_E10value_typeEPSP_NS1_7vsmem_tEENKUlT_SN_SO_SP_E_clIPjSG_PS9_SI_EESM_S12_SN_SO_SP_EUlS12_E0_NS1_11comp_targetILNS1_3genE10ELNS1_11target_archE1201ELNS1_3gpuE5ELNS1_3repE0EEENS1_38merge_mergepath_config_static_selectorELNS0_4arch9wavefront6targetE0EEEvSO_,"axG",@progbits,_ZN7rocprim17ROCPRIM_400000_NS6detail17trampoline_kernelINS0_14default_configENS1_38merge_sort_block_merge_config_selectorIjN6thrust23THRUST_200600_302600_NS5tupleIffNS6_9null_typeES8_S8_S8_S8_S8_S8_S8_EEEEZZNS1_27merge_sort_block_merge_implIS3_NS6_6detail15normal_iteratorINS6_10device_ptrIjEEEENSD_INSE_IS9_EEEEjNS1_19radix_merge_compareILb0ELb1EjNS0_19identity_decomposerEEEEE10hipError_tT0_T1_T2_jT3_P12ihipStream_tbPNSt15iterator_traitsISN_E10value_typeEPNST_ISO_E10value_typeEPSP_NS1_7vsmem_tEENKUlT_SN_SO_SP_E_clIPjSG_PS9_SI_EESM_S12_SN_SO_SP_EUlS12_E0_NS1_11comp_targetILNS1_3genE10ELNS1_11target_archE1201ELNS1_3gpuE5ELNS1_3repE0EEENS1_38merge_mergepath_config_static_selectorELNS0_4arch9wavefront6targetE0EEEvSO_,comdat
	.protected	_ZN7rocprim17ROCPRIM_400000_NS6detail17trampoline_kernelINS0_14default_configENS1_38merge_sort_block_merge_config_selectorIjN6thrust23THRUST_200600_302600_NS5tupleIffNS6_9null_typeES8_S8_S8_S8_S8_S8_S8_EEEEZZNS1_27merge_sort_block_merge_implIS3_NS6_6detail15normal_iteratorINS6_10device_ptrIjEEEENSD_INSE_IS9_EEEEjNS1_19radix_merge_compareILb0ELb1EjNS0_19identity_decomposerEEEEE10hipError_tT0_T1_T2_jT3_P12ihipStream_tbPNSt15iterator_traitsISN_E10value_typeEPNST_ISO_E10value_typeEPSP_NS1_7vsmem_tEENKUlT_SN_SO_SP_E_clIPjSG_PS9_SI_EESM_S12_SN_SO_SP_EUlS12_E0_NS1_11comp_targetILNS1_3genE10ELNS1_11target_archE1201ELNS1_3gpuE5ELNS1_3repE0EEENS1_38merge_mergepath_config_static_selectorELNS0_4arch9wavefront6targetE0EEEvSO_ ; -- Begin function _ZN7rocprim17ROCPRIM_400000_NS6detail17trampoline_kernelINS0_14default_configENS1_38merge_sort_block_merge_config_selectorIjN6thrust23THRUST_200600_302600_NS5tupleIffNS6_9null_typeES8_S8_S8_S8_S8_S8_S8_EEEEZZNS1_27merge_sort_block_merge_implIS3_NS6_6detail15normal_iteratorINS6_10device_ptrIjEEEENSD_INSE_IS9_EEEEjNS1_19radix_merge_compareILb0ELb1EjNS0_19identity_decomposerEEEEE10hipError_tT0_T1_T2_jT3_P12ihipStream_tbPNSt15iterator_traitsISN_E10value_typeEPNST_ISO_E10value_typeEPSP_NS1_7vsmem_tEENKUlT_SN_SO_SP_E_clIPjSG_PS9_SI_EESM_S12_SN_SO_SP_EUlS12_E0_NS1_11comp_targetILNS1_3genE10ELNS1_11target_archE1201ELNS1_3gpuE5ELNS1_3repE0EEENS1_38merge_mergepath_config_static_selectorELNS0_4arch9wavefront6targetE0EEEvSO_
	.globl	_ZN7rocprim17ROCPRIM_400000_NS6detail17trampoline_kernelINS0_14default_configENS1_38merge_sort_block_merge_config_selectorIjN6thrust23THRUST_200600_302600_NS5tupleIffNS6_9null_typeES8_S8_S8_S8_S8_S8_S8_EEEEZZNS1_27merge_sort_block_merge_implIS3_NS6_6detail15normal_iteratorINS6_10device_ptrIjEEEENSD_INSE_IS9_EEEEjNS1_19radix_merge_compareILb0ELb1EjNS0_19identity_decomposerEEEEE10hipError_tT0_T1_T2_jT3_P12ihipStream_tbPNSt15iterator_traitsISN_E10value_typeEPNST_ISO_E10value_typeEPSP_NS1_7vsmem_tEENKUlT_SN_SO_SP_E_clIPjSG_PS9_SI_EESM_S12_SN_SO_SP_EUlS12_E0_NS1_11comp_targetILNS1_3genE10ELNS1_11target_archE1201ELNS1_3gpuE5ELNS1_3repE0EEENS1_38merge_mergepath_config_static_selectorELNS0_4arch9wavefront6targetE0EEEvSO_
	.p2align	8
	.type	_ZN7rocprim17ROCPRIM_400000_NS6detail17trampoline_kernelINS0_14default_configENS1_38merge_sort_block_merge_config_selectorIjN6thrust23THRUST_200600_302600_NS5tupleIffNS6_9null_typeES8_S8_S8_S8_S8_S8_S8_EEEEZZNS1_27merge_sort_block_merge_implIS3_NS6_6detail15normal_iteratorINS6_10device_ptrIjEEEENSD_INSE_IS9_EEEEjNS1_19radix_merge_compareILb0ELb1EjNS0_19identity_decomposerEEEEE10hipError_tT0_T1_T2_jT3_P12ihipStream_tbPNSt15iterator_traitsISN_E10value_typeEPNST_ISO_E10value_typeEPSP_NS1_7vsmem_tEENKUlT_SN_SO_SP_E_clIPjSG_PS9_SI_EESM_S12_SN_SO_SP_EUlS12_E0_NS1_11comp_targetILNS1_3genE10ELNS1_11target_archE1201ELNS1_3gpuE5ELNS1_3repE0EEENS1_38merge_mergepath_config_static_selectorELNS0_4arch9wavefront6targetE0EEEvSO_,@function
_ZN7rocprim17ROCPRIM_400000_NS6detail17trampoline_kernelINS0_14default_configENS1_38merge_sort_block_merge_config_selectorIjN6thrust23THRUST_200600_302600_NS5tupleIffNS6_9null_typeES8_S8_S8_S8_S8_S8_S8_EEEEZZNS1_27merge_sort_block_merge_implIS3_NS6_6detail15normal_iteratorINS6_10device_ptrIjEEEENSD_INSE_IS9_EEEEjNS1_19radix_merge_compareILb0ELb1EjNS0_19identity_decomposerEEEEE10hipError_tT0_T1_T2_jT3_P12ihipStream_tbPNSt15iterator_traitsISN_E10value_typeEPNST_ISO_E10value_typeEPSP_NS1_7vsmem_tEENKUlT_SN_SO_SP_E_clIPjSG_PS9_SI_EESM_S12_SN_SO_SP_EUlS12_E0_NS1_11comp_targetILNS1_3genE10ELNS1_11target_archE1201ELNS1_3gpuE5ELNS1_3repE0EEENS1_38merge_mergepath_config_static_selectorELNS0_4arch9wavefront6targetE0EEEvSO_: ; @_ZN7rocprim17ROCPRIM_400000_NS6detail17trampoline_kernelINS0_14default_configENS1_38merge_sort_block_merge_config_selectorIjN6thrust23THRUST_200600_302600_NS5tupleIffNS6_9null_typeES8_S8_S8_S8_S8_S8_S8_EEEEZZNS1_27merge_sort_block_merge_implIS3_NS6_6detail15normal_iteratorINS6_10device_ptrIjEEEENSD_INSE_IS9_EEEEjNS1_19radix_merge_compareILb0ELb1EjNS0_19identity_decomposerEEEEE10hipError_tT0_T1_T2_jT3_P12ihipStream_tbPNSt15iterator_traitsISN_E10value_typeEPNST_ISO_E10value_typeEPSP_NS1_7vsmem_tEENKUlT_SN_SO_SP_E_clIPjSG_PS9_SI_EESM_S12_SN_SO_SP_EUlS12_E0_NS1_11comp_targetILNS1_3genE10ELNS1_11target_archE1201ELNS1_3gpuE5ELNS1_3repE0EEENS1_38merge_mergepath_config_static_selectorELNS0_4arch9wavefront6targetE0EEEvSO_
; %bb.0:
	s_clause 0x1
	s_load_b64 s[20:21], s[0:1], 0x40
	s_load_b64 s[2:3], s[0:1], 0x30
	s_lshr_b32 s4, ttmp7, 16
	s_and_b32 s5, ttmp7, 0xffff
	s_wait_kmcnt 0x0
	s_mul_i32 s4, s21, s4
	s_delay_alu instid0(SALU_CYCLE_1) | instskip(NEXT) | instid1(SALU_CYCLE_1)
	s_add_co_i32 s4, s4, s5
	s_mul_i32 s4, s4, s20
	s_delay_alu instid0(SALU_CYCLE_1) | instskip(NEXT) | instid1(SALU_CYCLE_1)
	s_add_co_i32 s18, s4, ttmp9
	s_cmp_ge_u32 s18, s2
	s_cbranch_scc1 .LBB100_38
; %bb.1:
	v_mov_b32_e32 v2, 0
	s_add_nc_u64 s[22:23], s[0:1], 64
	s_mov_b32 s19, 0
	v_lshlrev_b32_e32 v6, 2, v0
                                        ; implicit-def: $vgpr8
	global_load_b32 v1, v2, s[22:23] offset:14
	s_clause 0x1
	s_load_b256 s[4:11], s[0:1], 0x10
	s_load_b64 s[12:13], s[0:1], 0x38
	s_wait_kmcnt 0x0
	s_lshr_b32 s25, s10, 10
	s_delay_alu instid0(SALU_CYCLE_1)
	s_cmp_lg_u32 s18, s25
	s_cselect_b32 s24, -1, 0
	s_lshl_b64 s[14:15], s[18:19], 2
	s_lshr_b32 s2, s11, 9
	s_add_nc_u64 s[12:13], s[12:13], s[14:15]
	s_and_b32 s2, s2, 0x7ffffe
	s_load_b64 s[14:15], s[12:13], 0x0
	s_sub_co_i32 s2, 0, s2
	s_lshl_b32 s12, s18, 10
	s_and_b32 s13, s18, s2
	s_or_b32 s2, s18, s2
	s_lshl_b32 s16, s13, 11
	s_lshl_b32 s13, s13, 10
	s_add_co_i32 s16, s16, s11
	s_sub_co_i32 s17, s12, s13
	s_sub_co_i32 s13, s16, s13
	s_add_co_i32 s16, s16, s17
	s_min_u32 s21, s10, s13
	s_add_co_i32 s13, s13, s11
	s_wait_kmcnt 0x0
	s_sub_co_i32 s11, s16, s14
	s_sub_co_i32 s17, s16, s15
	s_min_u32 s16, s10, s11
	s_add_co_i32 s11, s17, 0x400
	s_cmp_eq_u32 s2, -1
	s_mov_b32 s17, s19
	s_cselect_b32 s2, s13, s11
	s_cselect_b32 s13, s21, s15
	s_mov_b32 s15, s19
	s_lshl_b64 s[26:27], s[16:17], 2
	s_min_u32 s11, s2, s10
	s_sub_co_i32 s2, s13, s14
	s_lshl_b64 s[28:29], s[14:15], 2
	s_cmp_lt_u32 ttmp9, s20
	s_mov_b32 s21, s19
	s_cselect_b32 s20, 12, 18
	s_cmp_eq_u32 s18, s25
	s_add_nc_u64 s[20:21], s[22:23], s[20:21]
	s_load_u16 s13, s[20:21], 0x0
	s_load_b64 s[20:21], s[0:1], 0x8
	s_mov_b32 s0, -1
	s_wait_kmcnt 0x0
	s_add_nc_u64 s[22:23], s[20:21], s[28:29]
	s_add_nc_u64 s[20:21], s[20:21], s[26:27]
	s_wait_loadcnt 0x0
	v_lshrrev_b32_e32 v3, 16, v1
	v_and_b32_e32 v1, 0xffff, v1
	s_delay_alu instid0(VALU_DEP_1) | instskip(NEXT) | instid1(VALU_DEP_1)
	v_mul_lo_u32 v1, v1, v3
	v_mul_lo_u32 v4, v1, s13
                                        ; implicit-def: $vgpr1
	s_delay_alu instid0(VALU_DEP_1)
	v_add_nc_u32_e32 v3, v4, v0
	s_cbranch_scc0 .LBB100_7
; %bb.2:
	s_and_not1_b32 vcc_lo, exec_lo, s0
	s_sub_co_i32 s11, s11, s16
	s_cbranch_vccz .LBB100_8
.LBB100_3:
	v_mov_b32_e32 v9, 0
	s_and_saveexec_b32 s1, s19
	s_cbranch_execz .LBB100_5
.LBB100_4:
	v_mov_b32_e32 v2, 0
	s_delay_alu instid0(VALU_DEP_1) | instskip(NEXT) | instid1(VALU_DEP_1)
	v_lshlrev_b64_e32 v[4:5], 2, v[1:2]
	v_add_co_u32 v4, vcc_lo, s22, v4
	s_wait_alu 0xfffd
	s_delay_alu instid0(VALU_DEP_2) | instskip(SKIP_1) | instid1(VALU_DEP_1)
	v_add_co_ci_u32_e64 v5, null, s23, v5, vcc_lo
	v_sub_co_u32 v1, vcc_lo, v1, s2
	v_lshlrev_b64_e32 v[1:2], 2, v[1:2]
	s_delay_alu instid0(VALU_DEP_1) | instskip(SKIP_1) | instid1(VALU_DEP_2)
	v_add_co_u32 v1, s0, s20, v1
	s_wait_alu 0xf1ff
	v_add_co_ci_u32_e64 v2, null, s21, v2, s0
	s_wait_alu 0xfffd
	s_delay_alu instid0(VALU_DEP_1)
	v_dual_cndmask_b32 v1, v1, v4 :: v_dual_cndmask_b32 v2, v2, v5
	global_load_b32 v9, v[1:2], off
.LBB100_5:
	s_wait_alu 0xfffe
	s_or_b32 exec_lo, exec_lo, s1
	s_lshl_b64 s[0:1], s[14:15], 3
	v_lshlrev_b32_e32 v7, 3, v0
	s_wait_alu 0xfffe
	s_add_nc_u64 s[14:15], s[6:7], s[0:1]
	s_lshl_b64 s[0:1], s[16:17], 3
	s_and_not1_b32 vcc_lo, exec_lo, s24
	s_wait_alu 0xfffe
	s_add_nc_u64 s[6:7], s[6:7], s[0:1]
	s_wait_loadcnt 0x0
	ds_store_2addr_stride64_b32 v6, v8, v9 offset1:8
	s_cbranch_vccnz .LBB100_11
; %bb.6:
	v_add_co_u32 v12, s0, s14, v7
	v_sub_co_u32 v1, vcc_lo, v0, s2
	v_mov_b32_e32 v2, 0
	s_wait_alu 0xf1ff
	v_add_co_ci_u32_e64 v13, null, s15, 0, s0
	s_add_co_i32 s13, s11, s2
	v_mov_b32_e32 v4, v2
	v_lshlrev_b64_e32 v[10:11], 3, v[1:2]
	s_delay_alu instid0(VALU_DEP_2) | instskip(NEXT) | instid1(VALU_DEP_2)
	v_lshlrev_b64_e32 v[4:5], 3, v[3:4]
	v_add_co_u32 v10, s1, s6, v10
	s_wait_alu 0xf1ff
	s_delay_alu instid0(VALU_DEP_3) | instskip(NEXT) | instid1(VALU_DEP_3)
	v_add_co_ci_u32_e64 v11, null, s7, v11, s1
	v_add_co_u32 v4, s0, s14, v4
	s_wait_alu 0xf1ff
	v_add_co_ci_u32_e64 v5, null, s15, v5, s0
	v_sub_co_u32 v1, s0, v3, s2
	s_delay_alu instid0(VALU_DEP_1) | instskip(NEXT) | instid1(VALU_DEP_1)
	v_lshlrev_b64_e32 v[1:2], 3, v[1:2]
	v_add_co_u32 v14, s1, s6, v1
	s_wait_alu 0xf1ff
	s_delay_alu instid0(VALU_DEP_2) | instskip(SKIP_3) | instid1(VALU_DEP_3)
	v_add_co_ci_u32_e64 v15, null, s7, v2, s1
	s_wait_alu 0xfffd
	v_dual_cndmask_b32 v2, v11, v13 :: v_dual_cndmask_b32 v1, v10, v12
	v_cndmask_b32_e64 v4, v14, v4, s0
	v_cndmask_b32_e64 v5, v15, v5, s0
	global_load_b64 v[1:2], v[1:2], off
	global_load_b64 v[4:5], v[4:5], off
	s_cbranch_execz .LBB100_12
	s_branch .LBB100_17
.LBB100_7:
	v_sub_co_u32 v1, vcc_lo, v0, s2
	v_add_co_u32 v5, s0, s22, v6
	s_delay_alu instid0(VALU_DEP_1) | instskip(NEXT) | instid1(VALU_DEP_3)
	v_add_co_ci_u32_e64 v7, null, s23, 0, s0
	v_lshlrev_b64_e32 v[1:2], 2, v[1:2]
	s_mov_b32 s19, -1
	s_delay_alu instid0(VALU_DEP_1) | instskip(SKIP_1) | instid1(VALU_DEP_2)
	v_add_co_u32 v1, s0, s20, v1
	s_wait_alu 0xf1ff
	v_add_co_ci_u32_e64 v2, null, s21, v2, s0
	s_delay_alu instid0(VALU_DEP_1)
	v_dual_cndmask_b32 v1, v1, v5 :: v_dual_cndmask_b32 v2, v2, v7
	global_load_b32 v8, v[1:2], off
	v_add_nc_u32_e32 v1, v4, v0
	s_sub_co_i32 s11, s11, s16
	s_cbranch_execnz .LBB100_3
.LBB100_8:
	s_wait_loadcnt 0x0
	v_mov_b32_e32 v8, 0
	s_add_co_i32 s1, s11, s2
	s_mov_b32 s13, exec_lo
	s_wait_alu 0xfffe
	v_cmpx_gt_u32_e64 s1, v0
	s_cbranch_execz .LBB100_10
; %bb.9:
	v_add_co_u32 v4, s0, s22, v6
	v_sub_co_u32 v1, vcc_lo, v0, s2
	v_mov_b32_e32 v2, 0
	s_wait_alu 0xf1ff
	v_add_co_ci_u32_e64 v5, null, s23, 0, s0
	s_delay_alu instid0(VALU_DEP_2) | instskip(NEXT) | instid1(VALU_DEP_1)
	v_lshlrev_b64_e32 v[1:2], 2, v[1:2]
	v_add_co_u32 v1, s0, s20, v1
	s_wait_alu 0xf1ff
	s_delay_alu instid0(VALU_DEP_2) | instskip(SKIP_1) | instid1(VALU_DEP_1)
	v_add_co_ci_u32_e64 v2, null, s21, v2, s0
	s_wait_alu 0xfffd
	v_dual_cndmask_b32 v1, v1, v4 :: v_dual_cndmask_b32 v2, v2, v5
	global_load_b32 v8, v[1:2], off
.LBB100_10:
	s_or_b32 exec_lo, exec_lo, s13
	v_cmp_gt_u32_e64 s19, s1, v3
	v_mov_b32_e32 v1, v3
	v_mov_b32_e32 v9, 0
	s_and_saveexec_b32 s1, s19
	s_cbranch_execnz .LBB100_4
	s_branch .LBB100_5
.LBB100_11:
                                        ; implicit-def: $vgpr1
                                        ; implicit-def: $vgpr4
                                        ; implicit-def: $sgpr13
.LBB100_12:
	s_wait_loadcnt 0x0
	v_dual_mov_b32 v4, 0 :: v_dual_mov_b32 v1, 0
	v_mov_b32_e32 v2, 0
	s_add_co_i32 s13, s11, s2
	s_mov_b32 s1, exec_lo
	s_wait_alu 0xfffe
	v_cmpx_gt_u32_e64 s13, v0
	s_cbranch_execz .LBB100_14
; %bb.13:
	v_add_co_u32 v5, s0, s14, v7
	v_sub_co_u32 v1, vcc_lo, v0, s2
	v_mov_b32_e32 v2, 0
	s_wait_alu 0xf1ff
	v_add_co_ci_u32_e64 v10, null, s15, 0, s0
	s_delay_alu instid0(VALU_DEP_2) | instskip(NEXT) | instid1(VALU_DEP_1)
	v_lshlrev_b64_e32 v[1:2], 3, v[1:2]
	v_add_co_u32 v1, s0, s6, v1
	s_wait_alu 0xf1ff
	s_delay_alu instid0(VALU_DEP_2) | instskip(SKIP_1) | instid1(VALU_DEP_1)
	v_add_co_ci_u32_e64 v2, null, s7, v2, s0
	s_wait_alu 0xfffd
	v_dual_cndmask_b32 v1, v1, v5 :: v_dual_cndmask_b32 v2, v2, v10
	global_load_b64 v[1:2], v[1:2], off
.LBB100_14:
	s_or_b32 exec_lo, exec_lo, s1
	v_mov_b32_e32 v5, 0
	s_mov_b32 s1, exec_lo
	v_cmpx_gt_u32_e64 s13, v3
	s_cbranch_execz .LBB100_16
; %bb.15:
	v_mov_b32_e32 v4, 0
	s_delay_alu instid0(VALU_DEP_1) | instskip(NEXT) | instid1(VALU_DEP_1)
	v_lshlrev_b64_e32 v[10:11], 3, v[3:4]
	v_add_co_u32 v5, vcc_lo, s14, v10
	s_wait_alu 0xfffd
	s_delay_alu instid0(VALU_DEP_2) | instskip(SKIP_1) | instid1(VALU_DEP_1)
	v_add_co_ci_u32_e64 v10, null, s15, v11, vcc_lo
	v_sub_co_u32 v3, vcc_lo, v3, s2
	v_lshlrev_b64_e32 v[3:4], 3, v[3:4]
	s_delay_alu instid0(VALU_DEP_1) | instskip(SKIP_1) | instid1(VALU_DEP_2)
	v_add_co_u32 v3, s0, s6, v3
	s_wait_alu 0xf1ff
	v_add_co_ci_u32_e64 v4, null, s7, v4, s0
	s_wait_alu 0xfffd
	s_delay_alu instid0(VALU_DEP_1)
	v_dual_cndmask_b32 v3, v3, v5 :: v_dual_cndmask_b32 v4, v4, v10
	global_load_b64 v[4:5], v[3:4], off
.LBB100_16:
	s_wait_alu 0xfffe
	s_or_b32 exec_lo, exec_lo, s1
.LBB100_17:
	v_lshlrev_b32_e32 v10, 1, v0
	s_mov_b32 s0, exec_lo
	s_wait_loadcnt_dscnt 0x0
	s_barrier_signal -1
	s_barrier_wait -1
	s_wait_alu 0xfffe
	v_min_u32_e32 v11, s13, v10
	global_inv scope:SCOPE_SE
	v_sub_nc_u32_e64 v3, v11, s11 clamp
	v_min_u32_e32 v12, s2, v11
	s_delay_alu instid0(VALU_DEP_1)
	v_cmpx_lt_u32_e64 v3, v12
	s_cbranch_execz .LBB100_21
; %bb.18:
	v_lshlrev_b32_e32 v13, 2, v11
	s_mov_b32 s1, 0
	s_delay_alu instid0(VALU_DEP_1)
	v_lshl_add_u32 v13, s2, 2, v13
.LBB100_19:                             ; =>This Inner Loop Header: Depth=1
	v_add_nc_u32_e32 v14, v12, v3
	s_delay_alu instid0(VALU_DEP_1) | instskip(NEXT) | instid1(VALU_DEP_1)
	v_lshrrev_b32_e32 v14, 1, v14
	v_not_b32_e32 v15, v14
	v_add_nc_u32_e32 v17, 1, v14
	v_lshlrev_b32_e32 v16, 2, v14
	s_delay_alu instid0(VALU_DEP_3)
	v_lshl_add_u32 v15, v15, 2, v13
	ds_load_b32 v16, v16
	ds_load_b32 v15, v15
	s_wait_dscnt 0x1
	v_and_b32_e32 v16, s3, v16
	s_wait_dscnt 0x0
	v_and_b32_e32 v15, s3, v15
	s_delay_alu instid0(VALU_DEP_1) | instskip(SKIP_2) | instid1(VALU_DEP_1)
	v_cmp_gt_u32_e32 vcc_lo, v16, v15
	s_wait_alu 0xfffd
	v_dual_cndmask_b32 v12, v12, v14 :: v_dual_cndmask_b32 v3, v17, v3
	v_cmp_ge_u32_e32 vcc_lo, v3, v12
	s_wait_alu 0xfffe
	s_or_b32 s1, vcc_lo, s1
	s_wait_alu 0xfffe
	s_and_not1_b32 exec_lo, exec_lo, s1
	s_cbranch_execnz .LBB100_19
; %bb.20:
	s_or_b32 exec_lo, exec_lo, s1
.LBB100_21:
	s_delay_alu instid0(SALU_CYCLE_1) | instskip(SKIP_3) | instid1(VALU_DEP_3)
	s_or_b32 exec_lo, exec_lo, s0
	v_sub_nc_u32_e32 v11, v11, v3
	v_cmp_ge_u32_e32 vcc_lo, s2, v3
	v_dual_mov_b32 v13, 0 :: v_dual_mov_b32 v12, 0
	v_add_nc_u32_e32 v11, s2, v11
	s_delay_alu instid0(VALU_DEP_1)
	v_cmp_ge_u32_e64 s0, s13, v11
	s_or_b32 s0, vcc_lo, s0
	s_wait_alu 0xfffe
	s_and_saveexec_b32 s6, s0
	s_cbranch_execz .LBB100_27
; %bb.22:
	v_cmp_gt_u32_e32 vcc_lo, s2, v3
                                        ; implicit-def: $vgpr8
	s_and_saveexec_b32 s0, vcc_lo
; %bb.23:
	v_lshlrev_b32_e32 v8, 2, v3
	ds_load_b32 v8, v8
; %bb.24:
	s_wait_alu 0xfffe
	s_or_b32 exec_lo, exec_lo, s0
	v_cmp_le_u32_e64 s0, s13, v11
	s_mov_b32 s7, exec_lo
                                        ; implicit-def: $vgpr9
	v_cmpx_gt_u32_e64 s13, v11
; %bb.25:
	v_lshlrev_b32_e32 v9, 2, v11
	ds_load_b32 v9, v9
; %bb.26:
	s_wait_alu 0xfffe
	s_or_b32 exec_lo, exec_lo, s7
	s_wait_dscnt 0x0
	v_and_b32_e32 v12, s3, v9
	v_and_b32_e32 v13, s3, v8
	s_delay_alu instid0(VALU_DEP_1)
	v_cmp_le_u32_e64 s1, v13, v12
	v_mov_b32_e32 v13, s2
	s_and_b32 s1, vcc_lo, s1
	s_wait_alu 0xfffe
	s_or_b32 vcc_lo, s0, s1
	s_wait_alu 0xfffe
	v_cndmask_b32_e32 v12, v11, v3, vcc_lo
	s_delay_alu instid0(VALU_DEP_1) | instskip(NEXT) | instid1(VALU_DEP_1)
	v_dual_cndmask_b32 v13, s13, v13 :: v_dual_add_nc_u32 v14, 1, v12
	v_add_nc_u32_e32 v13, -1, v13
	s_delay_alu instid0(VALU_DEP_2) | instskip(NEXT) | instid1(VALU_DEP_2)
	v_cndmask_b32_e32 v11, v14, v11, vcc_lo
	v_min_u32_e32 v13, v14, v13
	v_cndmask_b32_e32 v3, v3, v14, vcc_lo
	s_delay_alu instid0(VALU_DEP_2) | instskip(NEXT) | instid1(VALU_DEP_2)
	v_lshlrev_b32_e32 v13, 2, v13
	v_cmp_gt_u32_e64 s0, s2, v3
	v_cmp_le_u32_e64 s2, s13, v11
	ds_load_b32 v13, v13
	s_wait_dscnt 0x0
	v_cndmask_b32_e32 v15, v13, v9, vcc_lo
	v_cndmask_b32_e32 v16, v8, v13, vcc_lo
	s_delay_alu instid0(VALU_DEP_2) | instskip(NEXT) | instid1(VALU_DEP_2)
	v_dual_cndmask_b32 v8, v9, v8 :: v_dual_and_b32 v13, s3, v15
	v_and_b32_e32 v17, s3, v16
	s_delay_alu instid0(VALU_DEP_1)
	v_cmp_le_u32_e64 s1, v17, v13
	s_and_b32 s0, s0, s1
	s_wait_alu 0xfffe
	s_or_b32 vcc_lo, s2, s0
	s_wait_alu 0xfffe
	v_cndmask_b32_e32 v13, v11, v3, vcc_lo
	v_cndmask_b32_e32 v9, v15, v16, vcc_lo
.LBB100_27:
	s_wait_alu 0xfffe
	s_or_b32 exec_lo, exec_lo, s6
	v_lshl_add_u32 v14, v0, 2, v6
	s_wait_loadcnt 0x0
	s_barrier_signal -1
	s_barrier_wait -1
	global_inv scope:SCOPE_SE
	ds_store_2addr_stride64_b64 v14, v[1:2], v[4:5] offset1:8
	v_lshlrev_b32_e32 v1, 3, v12
	v_lshlrev_b32_e32 v3, 3, v13
	s_wait_loadcnt_dscnt 0x0
	s_barrier_signal -1
	s_barrier_wait -1
	global_inv scope:SCOPE_SE
	ds_load_b64 v[1:2], v1
	ds_load_b64 v[3:4], v3
	v_lshrrev_b32_e32 v5, 4, v0
	v_or_b32_e32 v12, 0x200, v0
	s_mov_b32 s13, 0
	v_lshrrev_b32_e32 v13, 5, v0
	s_wait_alu 0xfffe
	s_lshl_b64 s[0:1], s[12:13], 2
	v_lshl_add_u32 v11, v5, 2, v14
	v_add_nc_u32_e32 v10, v5, v10
	v_lshrrev_b32_e32 v15, 5, v12
	s_wait_alu 0xfffe
	s_add_nc_u64 s[0:1], s[4:5], s[0:1]
	s_wait_loadcnt_dscnt 0x0
	s_wait_alu 0xfffe
	v_add_co_u32 v5, s0, s0, v6
	s_barrier_signal -1
	s_barrier_wait -1
	global_inv scope:SCOPE_SE
	s_wait_loadcnt 0x0
	s_barrier_signal -1
	s_barrier_wait -1
	global_inv scope:SCOPE_SE
	ds_store_2addr_b32 v11, v8, v9 offset1:1
	v_add_nc_u32_e32 v8, v13, v0
	v_lshl_add_u32 v9, v13, 2, v6
	v_lshl_add_u32 v13, v15, 2, v6
	s_wait_alu 0xf1ff
	v_add_co_ci_u32_e64 v6, null, s1, 0, s0
	v_lshl_add_u32 v11, v10, 2, v11
	v_lshl_add_u32 v10, v15, 3, v14
	s_and_b32 vcc_lo, exec_lo, s24
	s_mov_b32 s0, -1
	s_wait_loadcnt_dscnt 0x0
	s_wait_alu 0xfffe
	s_cbranch_vccz .LBB100_29
; %bb.28:
	s_barrier_signal -1
	s_barrier_wait -1
	global_inv scope:SCOPE_SE
	ds_load_b32 v14, v9
	ds_load_b32 v15, v13 offset:2048
	v_lshl_add_u32 v16, v8, 2, v9
	s_lshl_b64 s[0:1], s[12:13], 3
	s_wait_dscnt 0x1
	global_store_b32 v[5:6], v14, off
	s_wait_dscnt 0x0
	global_store_b32 v[5:6], v15, off offset:2048
	s_wait_loadcnt 0x0
	s_wait_storecnt 0x0
	s_barrier_signal -1
	s_barrier_wait -1
	global_inv scope:SCOPE_SE
	ds_store_2addr_b64 v11, v[1:2], v[3:4] offset1:1
	s_wait_loadcnt_dscnt 0x0
	s_barrier_signal -1
	s_barrier_wait -1
	global_inv scope:SCOPE_SE
	ds_load_b64 v[14:15], v16
	ds_load_b64 v[16:17], v10 offset:4096
	s_wait_alu 0xfffe
	s_add_nc_u64 s[2:3], s[8:9], s[0:1]
	s_mov_b32 s0, s13
	s_wait_dscnt 0x1
	global_store_b64 v7, v[14:15], s[2:3]
	s_wait_dscnt 0x0
	global_store_b64 v7, v[16:17], s[2:3] offset:4096
.LBB100_29:
	s_wait_alu 0xfffe
	s_and_not1_b32 vcc_lo, exec_lo, s0
	s_wait_alu 0xfffe
	s_cbranch_vccnz .LBB100_38
; %bb.30:
	s_barrier_signal -1
	s_barrier_wait -1
	s_wait_loadcnt 0x0
	s_wait_storecnt 0x0
	global_inv scope:SCOPE_SE
	ds_load_b32 v13, v13 offset:2048
	s_sub_co_i32 s0, s10, s12
	s_wait_alu 0xfffe
	v_cmp_gt_u32_e32 vcc_lo, s0, v0
	s_and_saveexec_b32 s1, vcc_lo
	s_cbranch_execz .LBB100_32
; %bb.31:
	ds_load_b32 v0, v9
	s_wait_dscnt 0x0
	global_store_b32 v[5:6], v0, off
.LBB100_32:
	s_wait_alu 0xfffe
	s_or_b32 exec_lo, exec_lo, s1
	v_cmp_gt_u32_e64 s0, s0, v12
	s_and_saveexec_b32 s1, s0
	s_cbranch_execz .LBB100_34
; %bb.33:
	s_wait_dscnt 0x0
	global_store_b32 v[5:6], v13, off offset:2048
.LBB100_34:
	s_wait_alu 0xfffe
	s_or_b32 exec_lo, exec_lo, s1
	s_wait_storecnt 0x0
	s_wait_loadcnt_dscnt 0x0
	s_barrier_signal -1
	s_barrier_wait -1
	global_inv scope:SCOPE_SE
	ds_store_2addr_b64 v11, v[1:2], v[3:4] offset1:1
	s_wait_loadcnt_dscnt 0x0
	s_barrier_signal -1
	s_barrier_wait -1
	global_inv scope:SCOPE_SE
	ds_load_b64 v[0:1], v10 offset:4096
	s_lshl_b64 s[2:3], s[12:13], 3
	s_wait_alu 0xfffe
	s_add_nc_u64 s[2:3], s[8:9], s[2:3]
	s_wait_alu 0xfffe
	v_add_co_u32 v2, s1, s2, v7
	s_wait_alu 0xf1ff
	v_add_co_ci_u32_e64 v3, null, s3, 0, s1
	s_and_saveexec_b32 s1, vcc_lo
	s_cbranch_execz .LBB100_36
; %bb.35:
	v_lshl_add_u32 v4, v8, 2, v9
	ds_load_b64 v[4:5], v4
	s_wait_dscnt 0x0
	global_store_b64 v[2:3], v[4:5], off
.LBB100_36:
	s_wait_alu 0xfffe
	s_or_b32 exec_lo, exec_lo, s1
	s_and_saveexec_b32 s1, s0
	s_cbranch_execz .LBB100_38
; %bb.37:
	s_wait_dscnt 0x0
	global_store_b64 v[2:3], v[0:1], off offset:4096
.LBB100_38:
	s_endpgm
	.section	.rodata,"a",@progbits
	.p2align	6, 0x0
	.amdhsa_kernel _ZN7rocprim17ROCPRIM_400000_NS6detail17trampoline_kernelINS0_14default_configENS1_38merge_sort_block_merge_config_selectorIjN6thrust23THRUST_200600_302600_NS5tupleIffNS6_9null_typeES8_S8_S8_S8_S8_S8_S8_EEEEZZNS1_27merge_sort_block_merge_implIS3_NS6_6detail15normal_iteratorINS6_10device_ptrIjEEEENSD_INSE_IS9_EEEEjNS1_19radix_merge_compareILb0ELb1EjNS0_19identity_decomposerEEEEE10hipError_tT0_T1_T2_jT3_P12ihipStream_tbPNSt15iterator_traitsISN_E10value_typeEPNST_ISO_E10value_typeEPSP_NS1_7vsmem_tEENKUlT_SN_SO_SP_E_clIPjSG_PS9_SI_EESM_S12_SN_SO_SP_EUlS12_E0_NS1_11comp_targetILNS1_3genE10ELNS1_11target_archE1201ELNS1_3gpuE5ELNS1_3repE0EEENS1_38merge_mergepath_config_static_selectorELNS0_4arch9wavefront6targetE0EEEvSO_
		.amdhsa_group_segment_fixed_size 8448
		.amdhsa_private_segment_fixed_size 0
		.amdhsa_kernarg_size 320
		.amdhsa_user_sgpr_count 2
		.amdhsa_user_sgpr_dispatch_ptr 0
		.amdhsa_user_sgpr_queue_ptr 0
		.amdhsa_user_sgpr_kernarg_segment_ptr 1
		.amdhsa_user_sgpr_dispatch_id 0
		.amdhsa_user_sgpr_private_segment_size 0
		.amdhsa_wavefront_size32 1
		.amdhsa_uses_dynamic_stack 0
		.amdhsa_enable_private_segment 0
		.amdhsa_system_sgpr_workgroup_id_x 1
		.amdhsa_system_sgpr_workgroup_id_y 1
		.amdhsa_system_sgpr_workgroup_id_z 1
		.amdhsa_system_sgpr_workgroup_info 0
		.amdhsa_system_vgpr_workitem_id 0
		.amdhsa_next_free_vgpr 18
		.amdhsa_next_free_sgpr 30
		.amdhsa_reserve_vcc 1
		.amdhsa_float_round_mode_32 0
		.amdhsa_float_round_mode_16_64 0
		.amdhsa_float_denorm_mode_32 3
		.amdhsa_float_denorm_mode_16_64 3
		.amdhsa_fp16_overflow 0
		.amdhsa_workgroup_processor_mode 1
		.amdhsa_memory_ordered 1
		.amdhsa_forward_progress 1
		.amdhsa_inst_pref_size 21
		.amdhsa_round_robin_scheduling 0
		.amdhsa_exception_fp_ieee_invalid_op 0
		.amdhsa_exception_fp_denorm_src 0
		.amdhsa_exception_fp_ieee_div_zero 0
		.amdhsa_exception_fp_ieee_overflow 0
		.amdhsa_exception_fp_ieee_underflow 0
		.amdhsa_exception_fp_ieee_inexact 0
		.amdhsa_exception_int_div_zero 0
	.end_amdhsa_kernel
	.section	.text._ZN7rocprim17ROCPRIM_400000_NS6detail17trampoline_kernelINS0_14default_configENS1_38merge_sort_block_merge_config_selectorIjN6thrust23THRUST_200600_302600_NS5tupleIffNS6_9null_typeES8_S8_S8_S8_S8_S8_S8_EEEEZZNS1_27merge_sort_block_merge_implIS3_NS6_6detail15normal_iteratorINS6_10device_ptrIjEEEENSD_INSE_IS9_EEEEjNS1_19radix_merge_compareILb0ELb1EjNS0_19identity_decomposerEEEEE10hipError_tT0_T1_T2_jT3_P12ihipStream_tbPNSt15iterator_traitsISN_E10value_typeEPNST_ISO_E10value_typeEPSP_NS1_7vsmem_tEENKUlT_SN_SO_SP_E_clIPjSG_PS9_SI_EESM_S12_SN_SO_SP_EUlS12_E0_NS1_11comp_targetILNS1_3genE10ELNS1_11target_archE1201ELNS1_3gpuE5ELNS1_3repE0EEENS1_38merge_mergepath_config_static_selectorELNS0_4arch9wavefront6targetE0EEEvSO_,"axG",@progbits,_ZN7rocprim17ROCPRIM_400000_NS6detail17trampoline_kernelINS0_14default_configENS1_38merge_sort_block_merge_config_selectorIjN6thrust23THRUST_200600_302600_NS5tupleIffNS6_9null_typeES8_S8_S8_S8_S8_S8_S8_EEEEZZNS1_27merge_sort_block_merge_implIS3_NS6_6detail15normal_iteratorINS6_10device_ptrIjEEEENSD_INSE_IS9_EEEEjNS1_19radix_merge_compareILb0ELb1EjNS0_19identity_decomposerEEEEE10hipError_tT0_T1_T2_jT3_P12ihipStream_tbPNSt15iterator_traitsISN_E10value_typeEPNST_ISO_E10value_typeEPSP_NS1_7vsmem_tEENKUlT_SN_SO_SP_E_clIPjSG_PS9_SI_EESM_S12_SN_SO_SP_EUlS12_E0_NS1_11comp_targetILNS1_3genE10ELNS1_11target_archE1201ELNS1_3gpuE5ELNS1_3repE0EEENS1_38merge_mergepath_config_static_selectorELNS0_4arch9wavefront6targetE0EEEvSO_,comdat
.Lfunc_end100:
	.size	_ZN7rocprim17ROCPRIM_400000_NS6detail17trampoline_kernelINS0_14default_configENS1_38merge_sort_block_merge_config_selectorIjN6thrust23THRUST_200600_302600_NS5tupleIffNS6_9null_typeES8_S8_S8_S8_S8_S8_S8_EEEEZZNS1_27merge_sort_block_merge_implIS3_NS6_6detail15normal_iteratorINS6_10device_ptrIjEEEENSD_INSE_IS9_EEEEjNS1_19radix_merge_compareILb0ELb1EjNS0_19identity_decomposerEEEEE10hipError_tT0_T1_T2_jT3_P12ihipStream_tbPNSt15iterator_traitsISN_E10value_typeEPNST_ISO_E10value_typeEPSP_NS1_7vsmem_tEENKUlT_SN_SO_SP_E_clIPjSG_PS9_SI_EESM_S12_SN_SO_SP_EUlS12_E0_NS1_11comp_targetILNS1_3genE10ELNS1_11target_archE1201ELNS1_3gpuE5ELNS1_3repE0EEENS1_38merge_mergepath_config_static_selectorELNS0_4arch9wavefront6targetE0EEEvSO_, .Lfunc_end100-_ZN7rocprim17ROCPRIM_400000_NS6detail17trampoline_kernelINS0_14default_configENS1_38merge_sort_block_merge_config_selectorIjN6thrust23THRUST_200600_302600_NS5tupleIffNS6_9null_typeES8_S8_S8_S8_S8_S8_S8_EEEEZZNS1_27merge_sort_block_merge_implIS3_NS6_6detail15normal_iteratorINS6_10device_ptrIjEEEENSD_INSE_IS9_EEEEjNS1_19radix_merge_compareILb0ELb1EjNS0_19identity_decomposerEEEEE10hipError_tT0_T1_T2_jT3_P12ihipStream_tbPNSt15iterator_traitsISN_E10value_typeEPNST_ISO_E10value_typeEPSP_NS1_7vsmem_tEENKUlT_SN_SO_SP_E_clIPjSG_PS9_SI_EESM_S12_SN_SO_SP_EUlS12_E0_NS1_11comp_targetILNS1_3genE10ELNS1_11target_archE1201ELNS1_3gpuE5ELNS1_3repE0EEENS1_38merge_mergepath_config_static_selectorELNS0_4arch9wavefront6targetE0EEEvSO_
                                        ; -- End function
	.set _ZN7rocprim17ROCPRIM_400000_NS6detail17trampoline_kernelINS0_14default_configENS1_38merge_sort_block_merge_config_selectorIjN6thrust23THRUST_200600_302600_NS5tupleIffNS6_9null_typeES8_S8_S8_S8_S8_S8_S8_EEEEZZNS1_27merge_sort_block_merge_implIS3_NS6_6detail15normal_iteratorINS6_10device_ptrIjEEEENSD_INSE_IS9_EEEEjNS1_19radix_merge_compareILb0ELb1EjNS0_19identity_decomposerEEEEE10hipError_tT0_T1_T2_jT3_P12ihipStream_tbPNSt15iterator_traitsISN_E10value_typeEPNST_ISO_E10value_typeEPSP_NS1_7vsmem_tEENKUlT_SN_SO_SP_E_clIPjSG_PS9_SI_EESM_S12_SN_SO_SP_EUlS12_E0_NS1_11comp_targetILNS1_3genE10ELNS1_11target_archE1201ELNS1_3gpuE5ELNS1_3repE0EEENS1_38merge_mergepath_config_static_selectorELNS0_4arch9wavefront6targetE0EEEvSO_.num_vgpr, 18
	.set _ZN7rocprim17ROCPRIM_400000_NS6detail17trampoline_kernelINS0_14default_configENS1_38merge_sort_block_merge_config_selectorIjN6thrust23THRUST_200600_302600_NS5tupleIffNS6_9null_typeES8_S8_S8_S8_S8_S8_S8_EEEEZZNS1_27merge_sort_block_merge_implIS3_NS6_6detail15normal_iteratorINS6_10device_ptrIjEEEENSD_INSE_IS9_EEEEjNS1_19radix_merge_compareILb0ELb1EjNS0_19identity_decomposerEEEEE10hipError_tT0_T1_T2_jT3_P12ihipStream_tbPNSt15iterator_traitsISN_E10value_typeEPNST_ISO_E10value_typeEPSP_NS1_7vsmem_tEENKUlT_SN_SO_SP_E_clIPjSG_PS9_SI_EESM_S12_SN_SO_SP_EUlS12_E0_NS1_11comp_targetILNS1_3genE10ELNS1_11target_archE1201ELNS1_3gpuE5ELNS1_3repE0EEENS1_38merge_mergepath_config_static_selectorELNS0_4arch9wavefront6targetE0EEEvSO_.num_agpr, 0
	.set _ZN7rocprim17ROCPRIM_400000_NS6detail17trampoline_kernelINS0_14default_configENS1_38merge_sort_block_merge_config_selectorIjN6thrust23THRUST_200600_302600_NS5tupleIffNS6_9null_typeES8_S8_S8_S8_S8_S8_S8_EEEEZZNS1_27merge_sort_block_merge_implIS3_NS6_6detail15normal_iteratorINS6_10device_ptrIjEEEENSD_INSE_IS9_EEEEjNS1_19radix_merge_compareILb0ELb1EjNS0_19identity_decomposerEEEEE10hipError_tT0_T1_T2_jT3_P12ihipStream_tbPNSt15iterator_traitsISN_E10value_typeEPNST_ISO_E10value_typeEPSP_NS1_7vsmem_tEENKUlT_SN_SO_SP_E_clIPjSG_PS9_SI_EESM_S12_SN_SO_SP_EUlS12_E0_NS1_11comp_targetILNS1_3genE10ELNS1_11target_archE1201ELNS1_3gpuE5ELNS1_3repE0EEENS1_38merge_mergepath_config_static_selectorELNS0_4arch9wavefront6targetE0EEEvSO_.numbered_sgpr, 30
	.set _ZN7rocprim17ROCPRIM_400000_NS6detail17trampoline_kernelINS0_14default_configENS1_38merge_sort_block_merge_config_selectorIjN6thrust23THRUST_200600_302600_NS5tupleIffNS6_9null_typeES8_S8_S8_S8_S8_S8_S8_EEEEZZNS1_27merge_sort_block_merge_implIS3_NS6_6detail15normal_iteratorINS6_10device_ptrIjEEEENSD_INSE_IS9_EEEEjNS1_19radix_merge_compareILb0ELb1EjNS0_19identity_decomposerEEEEE10hipError_tT0_T1_T2_jT3_P12ihipStream_tbPNSt15iterator_traitsISN_E10value_typeEPNST_ISO_E10value_typeEPSP_NS1_7vsmem_tEENKUlT_SN_SO_SP_E_clIPjSG_PS9_SI_EESM_S12_SN_SO_SP_EUlS12_E0_NS1_11comp_targetILNS1_3genE10ELNS1_11target_archE1201ELNS1_3gpuE5ELNS1_3repE0EEENS1_38merge_mergepath_config_static_selectorELNS0_4arch9wavefront6targetE0EEEvSO_.num_named_barrier, 0
	.set _ZN7rocprim17ROCPRIM_400000_NS6detail17trampoline_kernelINS0_14default_configENS1_38merge_sort_block_merge_config_selectorIjN6thrust23THRUST_200600_302600_NS5tupleIffNS6_9null_typeES8_S8_S8_S8_S8_S8_S8_EEEEZZNS1_27merge_sort_block_merge_implIS3_NS6_6detail15normal_iteratorINS6_10device_ptrIjEEEENSD_INSE_IS9_EEEEjNS1_19radix_merge_compareILb0ELb1EjNS0_19identity_decomposerEEEEE10hipError_tT0_T1_T2_jT3_P12ihipStream_tbPNSt15iterator_traitsISN_E10value_typeEPNST_ISO_E10value_typeEPSP_NS1_7vsmem_tEENKUlT_SN_SO_SP_E_clIPjSG_PS9_SI_EESM_S12_SN_SO_SP_EUlS12_E0_NS1_11comp_targetILNS1_3genE10ELNS1_11target_archE1201ELNS1_3gpuE5ELNS1_3repE0EEENS1_38merge_mergepath_config_static_selectorELNS0_4arch9wavefront6targetE0EEEvSO_.private_seg_size, 0
	.set _ZN7rocprim17ROCPRIM_400000_NS6detail17trampoline_kernelINS0_14default_configENS1_38merge_sort_block_merge_config_selectorIjN6thrust23THRUST_200600_302600_NS5tupleIffNS6_9null_typeES8_S8_S8_S8_S8_S8_S8_EEEEZZNS1_27merge_sort_block_merge_implIS3_NS6_6detail15normal_iteratorINS6_10device_ptrIjEEEENSD_INSE_IS9_EEEEjNS1_19radix_merge_compareILb0ELb1EjNS0_19identity_decomposerEEEEE10hipError_tT0_T1_T2_jT3_P12ihipStream_tbPNSt15iterator_traitsISN_E10value_typeEPNST_ISO_E10value_typeEPSP_NS1_7vsmem_tEENKUlT_SN_SO_SP_E_clIPjSG_PS9_SI_EESM_S12_SN_SO_SP_EUlS12_E0_NS1_11comp_targetILNS1_3genE10ELNS1_11target_archE1201ELNS1_3gpuE5ELNS1_3repE0EEENS1_38merge_mergepath_config_static_selectorELNS0_4arch9wavefront6targetE0EEEvSO_.uses_vcc, 1
	.set _ZN7rocprim17ROCPRIM_400000_NS6detail17trampoline_kernelINS0_14default_configENS1_38merge_sort_block_merge_config_selectorIjN6thrust23THRUST_200600_302600_NS5tupleIffNS6_9null_typeES8_S8_S8_S8_S8_S8_S8_EEEEZZNS1_27merge_sort_block_merge_implIS3_NS6_6detail15normal_iteratorINS6_10device_ptrIjEEEENSD_INSE_IS9_EEEEjNS1_19radix_merge_compareILb0ELb1EjNS0_19identity_decomposerEEEEE10hipError_tT0_T1_T2_jT3_P12ihipStream_tbPNSt15iterator_traitsISN_E10value_typeEPNST_ISO_E10value_typeEPSP_NS1_7vsmem_tEENKUlT_SN_SO_SP_E_clIPjSG_PS9_SI_EESM_S12_SN_SO_SP_EUlS12_E0_NS1_11comp_targetILNS1_3genE10ELNS1_11target_archE1201ELNS1_3gpuE5ELNS1_3repE0EEENS1_38merge_mergepath_config_static_selectorELNS0_4arch9wavefront6targetE0EEEvSO_.uses_flat_scratch, 0
	.set _ZN7rocprim17ROCPRIM_400000_NS6detail17trampoline_kernelINS0_14default_configENS1_38merge_sort_block_merge_config_selectorIjN6thrust23THRUST_200600_302600_NS5tupleIffNS6_9null_typeES8_S8_S8_S8_S8_S8_S8_EEEEZZNS1_27merge_sort_block_merge_implIS3_NS6_6detail15normal_iteratorINS6_10device_ptrIjEEEENSD_INSE_IS9_EEEEjNS1_19radix_merge_compareILb0ELb1EjNS0_19identity_decomposerEEEEE10hipError_tT0_T1_T2_jT3_P12ihipStream_tbPNSt15iterator_traitsISN_E10value_typeEPNST_ISO_E10value_typeEPSP_NS1_7vsmem_tEENKUlT_SN_SO_SP_E_clIPjSG_PS9_SI_EESM_S12_SN_SO_SP_EUlS12_E0_NS1_11comp_targetILNS1_3genE10ELNS1_11target_archE1201ELNS1_3gpuE5ELNS1_3repE0EEENS1_38merge_mergepath_config_static_selectorELNS0_4arch9wavefront6targetE0EEEvSO_.has_dyn_sized_stack, 0
	.set _ZN7rocprim17ROCPRIM_400000_NS6detail17trampoline_kernelINS0_14default_configENS1_38merge_sort_block_merge_config_selectorIjN6thrust23THRUST_200600_302600_NS5tupleIffNS6_9null_typeES8_S8_S8_S8_S8_S8_S8_EEEEZZNS1_27merge_sort_block_merge_implIS3_NS6_6detail15normal_iteratorINS6_10device_ptrIjEEEENSD_INSE_IS9_EEEEjNS1_19radix_merge_compareILb0ELb1EjNS0_19identity_decomposerEEEEE10hipError_tT0_T1_T2_jT3_P12ihipStream_tbPNSt15iterator_traitsISN_E10value_typeEPNST_ISO_E10value_typeEPSP_NS1_7vsmem_tEENKUlT_SN_SO_SP_E_clIPjSG_PS9_SI_EESM_S12_SN_SO_SP_EUlS12_E0_NS1_11comp_targetILNS1_3genE10ELNS1_11target_archE1201ELNS1_3gpuE5ELNS1_3repE0EEENS1_38merge_mergepath_config_static_selectorELNS0_4arch9wavefront6targetE0EEEvSO_.has_recursion, 0
	.set _ZN7rocprim17ROCPRIM_400000_NS6detail17trampoline_kernelINS0_14default_configENS1_38merge_sort_block_merge_config_selectorIjN6thrust23THRUST_200600_302600_NS5tupleIffNS6_9null_typeES8_S8_S8_S8_S8_S8_S8_EEEEZZNS1_27merge_sort_block_merge_implIS3_NS6_6detail15normal_iteratorINS6_10device_ptrIjEEEENSD_INSE_IS9_EEEEjNS1_19radix_merge_compareILb0ELb1EjNS0_19identity_decomposerEEEEE10hipError_tT0_T1_T2_jT3_P12ihipStream_tbPNSt15iterator_traitsISN_E10value_typeEPNST_ISO_E10value_typeEPSP_NS1_7vsmem_tEENKUlT_SN_SO_SP_E_clIPjSG_PS9_SI_EESM_S12_SN_SO_SP_EUlS12_E0_NS1_11comp_targetILNS1_3genE10ELNS1_11target_archE1201ELNS1_3gpuE5ELNS1_3repE0EEENS1_38merge_mergepath_config_static_selectorELNS0_4arch9wavefront6targetE0EEEvSO_.has_indirect_call, 0
	.section	.AMDGPU.csdata,"",@progbits
; Kernel info:
; codeLenInByte = 2568
; TotalNumSgprs: 32
; NumVgprs: 18
; ScratchSize: 0
; MemoryBound: 0
; FloatMode: 240
; IeeeMode: 1
; LDSByteSize: 8448 bytes/workgroup (compile time only)
; SGPRBlocks: 0
; VGPRBlocks: 2
; NumSGPRsForWavesPerEU: 32
; NumVGPRsForWavesPerEU: 18
; Occupancy: 16
; WaveLimiterHint : 1
; COMPUTE_PGM_RSRC2:SCRATCH_EN: 0
; COMPUTE_PGM_RSRC2:USER_SGPR: 2
; COMPUTE_PGM_RSRC2:TRAP_HANDLER: 0
; COMPUTE_PGM_RSRC2:TGID_X_EN: 1
; COMPUTE_PGM_RSRC2:TGID_Y_EN: 1
; COMPUTE_PGM_RSRC2:TGID_Z_EN: 1
; COMPUTE_PGM_RSRC2:TIDIG_COMP_CNT: 0
	.section	.text._ZN7rocprim17ROCPRIM_400000_NS6detail17trampoline_kernelINS0_14default_configENS1_38merge_sort_block_merge_config_selectorIjN6thrust23THRUST_200600_302600_NS5tupleIffNS6_9null_typeES8_S8_S8_S8_S8_S8_S8_EEEEZZNS1_27merge_sort_block_merge_implIS3_NS6_6detail15normal_iteratorINS6_10device_ptrIjEEEENSD_INSE_IS9_EEEEjNS1_19radix_merge_compareILb0ELb1EjNS0_19identity_decomposerEEEEE10hipError_tT0_T1_T2_jT3_P12ihipStream_tbPNSt15iterator_traitsISN_E10value_typeEPNST_ISO_E10value_typeEPSP_NS1_7vsmem_tEENKUlT_SN_SO_SP_E_clIPjSG_PS9_SI_EESM_S12_SN_SO_SP_EUlS12_E0_NS1_11comp_targetILNS1_3genE5ELNS1_11target_archE942ELNS1_3gpuE9ELNS1_3repE0EEENS1_38merge_mergepath_config_static_selectorELNS0_4arch9wavefront6targetE0EEEvSO_,"axG",@progbits,_ZN7rocprim17ROCPRIM_400000_NS6detail17trampoline_kernelINS0_14default_configENS1_38merge_sort_block_merge_config_selectorIjN6thrust23THRUST_200600_302600_NS5tupleIffNS6_9null_typeES8_S8_S8_S8_S8_S8_S8_EEEEZZNS1_27merge_sort_block_merge_implIS3_NS6_6detail15normal_iteratorINS6_10device_ptrIjEEEENSD_INSE_IS9_EEEEjNS1_19radix_merge_compareILb0ELb1EjNS0_19identity_decomposerEEEEE10hipError_tT0_T1_T2_jT3_P12ihipStream_tbPNSt15iterator_traitsISN_E10value_typeEPNST_ISO_E10value_typeEPSP_NS1_7vsmem_tEENKUlT_SN_SO_SP_E_clIPjSG_PS9_SI_EESM_S12_SN_SO_SP_EUlS12_E0_NS1_11comp_targetILNS1_3genE5ELNS1_11target_archE942ELNS1_3gpuE9ELNS1_3repE0EEENS1_38merge_mergepath_config_static_selectorELNS0_4arch9wavefront6targetE0EEEvSO_,comdat
	.protected	_ZN7rocprim17ROCPRIM_400000_NS6detail17trampoline_kernelINS0_14default_configENS1_38merge_sort_block_merge_config_selectorIjN6thrust23THRUST_200600_302600_NS5tupleIffNS6_9null_typeES8_S8_S8_S8_S8_S8_S8_EEEEZZNS1_27merge_sort_block_merge_implIS3_NS6_6detail15normal_iteratorINS6_10device_ptrIjEEEENSD_INSE_IS9_EEEEjNS1_19radix_merge_compareILb0ELb1EjNS0_19identity_decomposerEEEEE10hipError_tT0_T1_T2_jT3_P12ihipStream_tbPNSt15iterator_traitsISN_E10value_typeEPNST_ISO_E10value_typeEPSP_NS1_7vsmem_tEENKUlT_SN_SO_SP_E_clIPjSG_PS9_SI_EESM_S12_SN_SO_SP_EUlS12_E0_NS1_11comp_targetILNS1_3genE5ELNS1_11target_archE942ELNS1_3gpuE9ELNS1_3repE0EEENS1_38merge_mergepath_config_static_selectorELNS0_4arch9wavefront6targetE0EEEvSO_ ; -- Begin function _ZN7rocprim17ROCPRIM_400000_NS6detail17trampoline_kernelINS0_14default_configENS1_38merge_sort_block_merge_config_selectorIjN6thrust23THRUST_200600_302600_NS5tupleIffNS6_9null_typeES8_S8_S8_S8_S8_S8_S8_EEEEZZNS1_27merge_sort_block_merge_implIS3_NS6_6detail15normal_iteratorINS6_10device_ptrIjEEEENSD_INSE_IS9_EEEEjNS1_19radix_merge_compareILb0ELb1EjNS0_19identity_decomposerEEEEE10hipError_tT0_T1_T2_jT3_P12ihipStream_tbPNSt15iterator_traitsISN_E10value_typeEPNST_ISO_E10value_typeEPSP_NS1_7vsmem_tEENKUlT_SN_SO_SP_E_clIPjSG_PS9_SI_EESM_S12_SN_SO_SP_EUlS12_E0_NS1_11comp_targetILNS1_3genE5ELNS1_11target_archE942ELNS1_3gpuE9ELNS1_3repE0EEENS1_38merge_mergepath_config_static_selectorELNS0_4arch9wavefront6targetE0EEEvSO_
	.globl	_ZN7rocprim17ROCPRIM_400000_NS6detail17trampoline_kernelINS0_14default_configENS1_38merge_sort_block_merge_config_selectorIjN6thrust23THRUST_200600_302600_NS5tupleIffNS6_9null_typeES8_S8_S8_S8_S8_S8_S8_EEEEZZNS1_27merge_sort_block_merge_implIS3_NS6_6detail15normal_iteratorINS6_10device_ptrIjEEEENSD_INSE_IS9_EEEEjNS1_19radix_merge_compareILb0ELb1EjNS0_19identity_decomposerEEEEE10hipError_tT0_T1_T2_jT3_P12ihipStream_tbPNSt15iterator_traitsISN_E10value_typeEPNST_ISO_E10value_typeEPSP_NS1_7vsmem_tEENKUlT_SN_SO_SP_E_clIPjSG_PS9_SI_EESM_S12_SN_SO_SP_EUlS12_E0_NS1_11comp_targetILNS1_3genE5ELNS1_11target_archE942ELNS1_3gpuE9ELNS1_3repE0EEENS1_38merge_mergepath_config_static_selectorELNS0_4arch9wavefront6targetE0EEEvSO_
	.p2align	8
	.type	_ZN7rocprim17ROCPRIM_400000_NS6detail17trampoline_kernelINS0_14default_configENS1_38merge_sort_block_merge_config_selectorIjN6thrust23THRUST_200600_302600_NS5tupleIffNS6_9null_typeES8_S8_S8_S8_S8_S8_S8_EEEEZZNS1_27merge_sort_block_merge_implIS3_NS6_6detail15normal_iteratorINS6_10device_ptrIjEEEENSD_INSE_IS9_EEEEjNS1_19radix_merge_compareILb0ELb1EjNS0_19identity_decomposerEEEEE10hipError_tT0_T1_T2_jT3_P12ihipStream_tbPNSt15iterator_traitsISN_E10value_typeEPNST_ISO_E10value_typeEPSP_NS1_7vsmem_tEENKUlT_SN_SO_SP_E_clIPjSG_PS9_SI_EESM_S12_SN_SO_SP_EUlS12_E0_NS1_11comp_targetILNS1_3genE5ELNS1_11target_archE942ELNS1_3gpuE9ELNS1_3repE0EEENS1_38merge_mergepath_config_static_selectorELNS0_4arch9wavefront6targetE0EEEvSO_,@function
_ZN7rocprim17ROCPRIM_400000_NS6detail17trampoline_kernelINS0_14default_configENS1_38merge_sort_block_merge_config_selectorIjN6thrust23THRUST_200600_302600_NS5tupleIffNS6_9null_typeES8_S8_S8_S8_S8_S8_S8_EEEEZZNS1_27merge_sort_block_merge_implIS3_NS6_6detail15normal_iteratorINS6_10device_ptrIjEEEENSD_INSE_IS9_EEEEjNS1_19radix_merge_compareILb0ELb1EjNS0_19identity_decomposerEEEEE10hipError_tT0_T1_T2_jT3_P12ihipStream_tbPNSt15iterator_traitsISN_E10value_typeEPNST_ISO_E10value_typeEPSP_NS1_7vsmem_tEENKUlT_SN_SO_SP_E_clIPjSG_PS9_SI_EESM_S12_SN_SO_SP_EUlS12_E0_NS1_11comp_targetILNS1_3genE5ELNS1_11target_archE942ELNS1_3gpuE9ELNS1_3repE0EEENS1_38merge_mergepath_config_static_selectorELNS0_4arch9wavefront6targetE0EEEvSO_: ; @_ZN7rocprim17ROCPRIM_400000_NS6detail17trampoline_kernelINS0_14default_configENS1_38merge_sort_block_merge_config_selectorIjN6thrust23THRUST_200600_302600_NS5tupleIffNS6_9null_typeES8_S8_S8_S8_S8_S8_S8_EEEEZZNS1_27merge_sort_block_merge_implIS3_NS6_6detail15normal_iteratorINS6_10device_ptrIjEEEENSD_INSE_IS9_EEEEjNS1_19radix_merge_compareILb0ELb1EjNS0_19identity_decomposerEEEEE10hipError_tT0_T1_T2_jT3_P12ihipStream_tbPNSt15iterator_traitsISN_E10value_typeEPNST_ISO_E10value_typeEPSP_NS1_7vsmem_tEENKUlT_SN_SO_SP_E_clIPjSG_PS9_SI_EESM_S12_SN_SO_SP_EUlS12_E0_NS1_11comp_targetILNS1_3genE5ELNS1_11target_archE942ELNS1_3gpuE9ELNS1_3repE0EEENS1_38merge_mergepath_config_static_selectorELNS0_4arch9wavefront6targetE0EEEvSO_
; %bb.0:
	.section	.rodata,"a",@progbits
	.p2align	6, 0x0
	.amdhsa_kernel _ZN7rocprim17ROCPRIM_400000_NS6detail17trampoline_kernelINS0_14default_configENS1_38merge_sort_block_merge_config_selectorIjN6thrust23THRUST_200600_302600_NS5tupleIffNS6_9null_typeES8_S8_S8_S8_S8_S8_S8_EEEEZZNS1_27merge_sort_block_merge_implIS3_NS6_6detail15normal_iteratorINS6_10device_ptrIjEEEENSD_INSE_IS9_EEEEjNS1_19radix_merge_compareILb0ELb1EjNS0_19identity_decomposerEEEEE10hipError_tT0_T1_T2_jT3_P12ihipStream_tbPNSt15iterator_traitsISN_E10value_typeEPNST_ISO_E10value_typeEPSP_NS1_7vsmem_tEENKUlT_SN_SO_SP_E_clIPjSG_PS9_SI_EESM_S12_SN_SO_SP_EUlS12_E0_NS1_11comp_targetILNS1_3genE5ELNS1_11target_archE942ELNS1_3gpuE9ELNS1_3repE0EEENS1_38merge_mergepath_config_static_selectorELNS0_4arch9wavefront6targetE0EEEvSO_
		.amdhsa_group_segment_fixed_size 0
		.amdhsa_private_segment_fixed_size 0
		.amdhsa_kernarg_size 64
		.amdhsa_user_sgpr_count 2
		.amdhsa_user_sgpr_dispatch_ptr 0
		.amdhsa_user_sgpr_queue_ptr 0
		.amdhsa_user_sgpr_kernarg_segment_ptr 1
		.amdhsa_user_sgpr_dispatch_id 0
		.amdhsa_user_sgpr_private_segment_size 0
		.amdhsa_wavefront_size32 1
		.amdhsa_uses_dynamic_stack 0
		.amdhsa_enable_private_segment 0
		.amdhsa_system_sgpr_workgroup_id_x 1
		.amdhsa_system_sgpr_workgroup_id_y 0
		.amdhsa_system_sgpr_workgroup_id_z 0
		.amdhsa_system_sgpr_workgroup_info 0
		.amdhsa_system_vgpr_workitem_id 0
		.amdhsa_next_free_vgpr 1
		.amdhsa_next_free_sgpr 1
		.amdhsa_reserve_vcc 0
		.amdhsa_float_round_mode_32 0
		.amdhsa_float_round_mode_16_64 0
		.amdhsa_float_denorm_mode_32 3
		.amdhsa_float_denorm_mode_16_64 3
		.amdhsa_fp16_overflow 0
		.amdhsa_workgroup_processor_mode 1
		.amdhsa_memory_ordered 1
		.amdhsa_forward_progress 1
		.amdhsa_inst_pref_size 0
		.amdhsa_round_robin_scheduling 0
		.amdhsa_exception_fp_ieee_invalid_op 0
		.amdhsa_exception_fp_denorm_src 0
		.amdhsa_exception_fp_ieee_div_zero 0
		.amdhsa_exception_fp_ieee_overflow 0
		.amdhsa_exception_fp_ieee_underflow 0
		.amdhsa_exception_fp_ieee_inexact 0
		.amdhsa_exception_int_div_zero 0
	.end_amdhsa_kernel
	.section	.text._ZN7rocprim17ROCPRIM_400000_NS6detail17trampoline_kernelINS0_14default_configENS1_38merge_sort_block_merge_config_selectorIjN6thrust23THRUST_200600_302600_NS5tupleIffNS6_9null_typeES8_S8_S8_S8_S8_S8_S8_EEEEZZNS1_27merge_sort_block_merge_implIS3_NS6_6detail15normal_iteratorINS6_10device_ptrIjEEEENSD_INSE_IS9_EEEEjNS1_19radix_merge_compareILb0ELb1EjNS0_19identity_decomposerEEEEE10hipError_tT0_T1_T2_jT3_P12ihipStream_tbPNSt15iterator_traitsISN_E10value_typeEPNST_ISO_E10value_typeEPSP_NS1_7vsmem_tEENKUlT_SN_SO_SP_E_clIPjSG_PS9_SI_EESM_S12_SN_SO_SP_EUlS12_E0_NS1_11comp_targetILNS1_3genE5ELNS1_11target_archE942ELNS1_3gpuE9ELNS1_3repE0EEENS1_38merge_mergepath_config_static_selectorELNS0_4arch9wavefront6targetE0EEEvSO_,"axG",@progbits,_ZN7rocprim17ROCPRIM_400000_NS6detail17trampoline_kernelINS0_14default_configENS1_38merge_sort_block_merge_config_selectorIjN6thrust23THRUST_200600_302600_NS5tupleIffNS6_9null_typeES8_S8_S8_S8_S8_S8_S8_EEEEZZNS1_27merge_sort_block_merge_implIS3_NS6_6detail15normal_iteratorINS6_10device_ptrIjEEEENSD_INSE_IS9_EEEEjNS1_19radix_merge_compareILb0ELb1EjNS0_19identity_decomposerEEEEE10hipError_tT0_T1_T2_jT3_P12ihipStream_tbPNSt15iterator_traitsISN_E10value_typeEPNST_ISO_E10value_typeEPSP_NS1_7vsmem_tEENKUlT_SN_SO_SP_E_clIPjSG_PS9_SI_EESM_S12_SN_SO_SP_EUlS12_E0_NS1_11comp_targetILNS1_3genE5ELNS1_11target_archE942ELNS1_3gpuE9ELNS1_3repE0EEENS1_38merge_mergepath_config_static_selectorELNS0_4arch9wavefront6targetE0EEEvSO_,comdat
.Lfunc_end101:
	.size	_ZN7rocprim17ROCPRIM_400000_NS6detail17trampoline_kernelINS0_14default_configENS1_38merge_sort_block_merge_config_selectorIjN6thrust23THRUST_200600_302600_NS5tupleIffNS6_9null_typeES8_S8_S8_S8_S8_S8_S8_EEEEZZNS1_27merge_sort_block_merge_implIS3_NS6_6detail15normal_iteratorINS6_10device_ptrIjEEEENSD_INSE_IS9_EEEEjNS1_19radix_merge_compareILb0ELb1EjNS0_19identity_decomposerEEEEE10hipError_tT0_T1_T2_jT3_P12ihipStream_tbPNSt15iterator_traitsISN_E10value_typeEPNST_ISO_E10value_typeEPSP_NS1_7vsmem_tEENKUlT_SN_SO_SP_E_clIPjSG_PS9_SI_EESM_S12_SN_SO_SP_EUlS12_E0_NS1_11comp_targetILNS1_3genE5ELNS1_11target_archE942ELNS1_3gpuE9ELNS1_3repE0EEENS1_38merge_mergepath_config_static_selectorELNS0_4arch9wavefront6targetE0EEEvSO_, .Lfunc_end101-_ZN7rocprim17ROCPRIM_400000_NS6detail17trampoline_kernelINS0_14default_configENS1_38merge_sort_block_merge_config_selectorIjN6thrust23THRUST_200600_302600_NS5tupleIffNS6_9null_typeES8_S8_S8_S8_S8_S8_S8_EEEEZZNS1_27merge_sort_block_merge_implIS3_NS6_6detail15normal_iteratorINS6_10device_ptrIjEEEENSD_INSE_IS9_EEEEjNS1_19radix_merge_compareILb0ELb1EjNS0_19identity_decomposerEEEEE10hipError_tT0_T1_T2_jT3_P12ihipStream_tbPNSt15iterator_traitsISN_E10value_typeEPNST_ISO_E10value_typeEPSP_NS1_7vsmem_tEENKUlT_SN_SO_SP_E_clIPjSG_PS9_SI_EESM_S12_SN_SO_SP_EUlS12_E0_NS1_11comp_targetILNS1_3genE5ELNS1_11target_archE942ELNS1_3gpuE9ELNS1_3repE0EEENS1_38merge_mergepath_config_static_selectorELNS0_4arch9wavefront6targetE0EEEvSO_
                                        ; -- End function
	.set _ZN7rocprim17ROCPRIM_400000_NS6detail17trampoline_kernelINS0_14default_configENS1_38merge_sort_block_merge_config_selectorIjN6thrust23THRUST_200600_302600_NS5tupleIffNS6_9null_typeES8_S8_S8_S8_S8_S8_S8_EEEEZZNS1_27merge_sort_block_merge_implIS3_NS6_6detail15normal_iteratorINS6_10device_ptrIjEEEENSD_INSE_IS9_EEEEjNS1_19radix_merge_compareILb0ELb1EjNS0_19identity_decomposerEEEEE10hipError_tT0_T1_T2_jT3_P12ihipStream_tbPNSt15iterator_traitsISN_E10value_typeEPNST_ISO_E10value_typeEPSP_NS1_7vsmem_tEENKUlT_SN_SO_SP_E_clIPjSG_PS9_SI_EESM_S12_SN_SO_SP_EUlS12_E0_NS1_11comp_targetILNS1_3genE5ELNS1_11target_archE942ELNS1_3gpuE9ELNS1_3repE0EEENS1_38merge_mergepath_config_static_selectorELNS0_4arch9wavefront6targetE0EEEvSO_.num_vgpr, 0
	.set _ZN7rocprim17ROCPRIM_400000_NS6detail17trampoline_kernelINS0_14default_configENS1_38merge_sort_block_merge_config_selectorIjN6thrust23THRUST_200600_302600_NS5tupleIffNS6_9null_typeES8_S8_S8_S8_S8_S8_S8_EEEEZZNS1_27merge_sort_block_merge_implIS3_NS6_6detail15normal_iteratorINS6_10device_ptrIjEEEENSD_INSE_IS9_EEEEjNS1_19radix_merge_compareILb0ELb1EjNS0_19identity_decomposerEEEEE10hipError_tT0_T1_T2_jT3_P12ihipStream_tbPNSt15iterator_traitsISN_E10value_typeEPNST_ISO_E10value_typeEPSP_NS1_7vsmem_tEENKUlT_SN_SO_SP_E_clIPjSG_PS9_SI_EESM_S12_SN_SO_SP_EUlS12_E0_NS1_11comp_targetILNS1_3genE5ELNS1_11target_archE942ELNS1_3gpuE9ELNS1_3repE0EEENS1_38merge_mergepath_config_static_selectorELNS0_4arch9wavefront6targetE0EEEvSO_.num_agpr, 0
	.set _ZN7rocprim17ROCPRIM_400000_NS6detail17trampoline_kernelINS0_14default_configENS1_38merge_sort_block_merge_config_selectorIjN6thrust23THRUST_200600_302600_NS5tupleIffNS6_9null_typeES8_S8_S8_S8_S8_S8_S8_EEEEZZNS1_27merge_sort_block_merge_implIS3_NS6_6detail15normal_iteratorINS6_10device_ptrIjEEEENSD_INSE_IS9_EEEEjNS1_19radix_merge_compareILb0ELb1EjNS0_19identity_decomposerEEEEE10hipError_tT0_T1_T2_jT3_P12ihipStream_tbPNSt15iterator_traitsISN_E10value_typeEPNST_ISO_E10value_typeEPSP_NS1_7vsmem_tEENKUlT_SN_SO_SP_E_clIPjSG_PS9_SI_EESM_S12_SN_SO_SP_EUlS12_E0_NS1_11comp_targetILNS1_3genE5ELNS1_11target_archE942ELNS1_3gpuE9ELNS1_3repE0EEENS1_38merge_mergepath_config_static_selectorELNS0_4arch9wavefront6targetE0EEEvSO_.numbered_sgpr, 0
	.set _ZN7rocprim17ROCPRIM_400000_NS6detail17trampoline_kernelINS0_14default_configENS1_38merge_sort_block_merge_config_selectorIjN6thrust23THRUST_200600_302600_NS5tupleIffNS6_9null_typeES8_S8_S8_S8_S8_S8_S8_EEEEZZNS1_27merge_sort_block_merge_implIS3_NS6_6detail15normal_iteratorINS6_10device_ptrIjEEEENSD_INSE_IS9_EEEEjNS1_19radix_merge_compareILb0ELb1EjNS0_19identity_decomposerEEEEE10hipError_tT0_T1_T2_jT3_P12ihipStream_tbPNSt15iterator_traitsISN_E10value_typeEPNST_ISO_E10value_typeEPSP_NS1_7vsmem_tEENKUlT_SN_SO_SP_E_clIPjSG_PS9_SI_EESM_S12_SN_SO_SP_EUlS12_E0_NS1_11comp_targetILNS1_3genE5ELNS1_11target_archE942ELNS1_3gpuE9ELNS1_3repE0EEENS1_38merge_mergepath_config_static_selectorELNS0_4arch9wavefront6targetE0EEEvSO_.num_named_barrier, 0
	.set _ZN7rocprim17ROCPRIM_400000_NS6detail17trampoline_kernelINS0_14default_configENS1_38merge_sort_block_merge_config_selectorIjN6thrust23THRUST_200600_302600_NS5tupleIffNS6_9null_typeES8_S8_S8_S8_S8_S8_S8_EEEEZZNS1_27merge_sort_block_merge_implIS3_NS6_6detail15normal_iteratorINS6_10device_ptrIjEEEENSD_INSE_IS9_EEEEjNS1_19radix_merge_compareILb0ELb1EjNS0_19identity_decomposerEEEEE10hipError_tT0_T1_T2_jT3_P12ihipStream_tbPNSt15iterator_traitsISN_E10value_typeEPNST_ISO_E10value_typeEPSP_NS1_7vsmem_tEENKUlT_SN_SO_SP_E_clIPjSG_PS9_SI_EESM_S12_SN_SO_SP_EUlS12_E0_NS1_11comp_targetILNS1_3genE5ELNS1_11target_archE942ELNS1_3gpuE9ELNS1_3repE0EEENS1_38merge_mergepath_config_static_selectorELNS0_4arch9wavefront6targetE0EEEvSO_.private_seg_size, 0
	.set _ZN7rocprim17ROCPRIM_400000_NS6detail17trampoline_kernelINS0_14default_configENS1_38merge_sort_block_merge_config_selectorIjN6thrust23THRUST_200600_302600_NS5tupleIffNS6_9null_typeES8_S8_S8_S8_S8_S8_S8_EEEEZZNS1_27merge_sort_block_merge_implIS3_NS6_6detail15normal_iteratorINS6_10device_ptrIjEEEENSD_INSE_IS9_EEEEjNS1_19radix_merge_compareILb0ELb1EjNS0_19identity_decomposerEEEEE10hipError_tT0_T1_T2_jT3_P12ihipStream_tbPNSt15iterator_traitsISN_E10value_typeEPNST_ISO_E10value_typeEPSP_NS1_7vsmem_tEENKUlT_SN_SO_SP_E_clIPjSG_PS9_SI_EESM_S12_SN_SO_SP_EUlS12_E0_NS1_11comp_targetILNS1_3genE5ELNS1_11target_archE942ELNS1_3gpuE9ELNS1_3repE0EEENS1_38merge_mergepath_config_static_selectorELNS0_4arch9wavefront6targetE0EEEvSO_.uses_vcc, 0
	.set _ZN7rocprim17ROCPRIM_400000_NS6detail17trampoline_kernelINS0_14default_configENS1_38merge_sort_block_merge_config_selectorIjN6thrust23THRUST_200600_302600_NS5tupleIffNS6_9null_typeES8_S8_S8_S8_S8_S8_S8_EEEEZZNS1_27merge_sort_block_merge_implIS3_NS6_6detail15normal_iteratorINS6_10device_ptrIjEEEENSD_INSE_IS9_EEEEjNS1_19radix_merge_compareILb0ELb1EjNS0_19identity_decomposerEEEEE10hipError_tT0_T1_T2_jT3_P12ihipStream_tbPNSt15iterator_traitsISN_E10value_typeEPNST_ISO_E10value_typeEPSP_NS1_7vsmem_tEENKUlT_SN_SO_SP_E_clIPjSG_PS9_SI_EESM_S12_SN_SO_SP_EUlS12_E0_NS1_11comp_targetILNS1_3genE5ELNS1_11target_archE942ELNS1_3gpuE9ELNS1_3repE0EEENS1_38merge_mergepath_config_static_selectorELNS0_4arch9wavefront6targetE0EEEvSO_.uses_flat_scratch, 0
	.set _ZN7rocprim17ROCPRIM_400000_NS6detail17trampoline_kernelINS0_14default_configENS1_38merge_sort_block_merge_config_selectorIjN6thrust23THRUST_200600_302600_NS5tupleIffNS6_9null_typeES8_S8_S8_S8_S8_S8_S8_EEEEZZNS1_27merge_sort_block_merge_implIS3_NS6_6detail15normal_iteratorINS6_10device_ptrIjEEEENSD_INSE_IS9_EEEEjNS1_19radix_merge_compareILb0ELb1EjNS0_19identity_decomposerEEEEE10hipError_tT0_T1_T2_jT3_P12ihipStream_tbPNSt15iterator_traitsISN_E10value_typeEPNST_ISO_E10value_typeEPSP_NS1_7vsmem_tEENKUlT_SN_SO_SP_E_clIPjSG_PS9_SI_EESM_S12_SN_SO_SP_EUlS12_E0_NS1_11comp_targetILNS1_3genE5ELNS1_11target_archE942ELNS1_3gpuE9ELNS1_3repE0EEENS1_38merge_mergepath_config_static_selectorELNS0_4arch9wavefront6targetE0EEEvSO_.has_dyn_sized_stack, 0
	.set _ZN7rocprim17ROCPRIM_400000_NS6detail17trampoline_kernelINS0_14default_configENS1_38merge_sort_block_merge_config_selectorIjN6thrust23THRUST_200600_302600_NS5tupleIffNS6_9null_typeES8_S8_S8_S8_S8_S8_S8_EEEEZZNS1_27merge_sort_block_merge_implIS3_NS6_6detail15normal_iteratorINS6_10device_ptrIjEEEENSD_INSE_IS9_EEEEjNS1_19radix_merge_compareILb0ELb1EjNS0_19identity_decomposerEEEEE10hipError_tT0_T1_T2_jT3_P12ihipStream_tbPNSt15iterator_traitsISN_E10value_typeEPNST_ISO_E10value_typeEPSP_NS1_7vsmem_tEENKUlT_SN_SO_SP_E_clIPjSG_PS9_SI_EESM_S12_SN_SO_SP_EUlS12_E0_NS1_11comp_targetILNS1_3genE5ELNS1_11target_archE942ELNS1_3gpuE9ELNS1_3repE0EEENS1_38merge_mergepath_config_static_selectorELNS0_4arch9wavefront6targetE0EEEvSO_.has_recursion, 0
	.set _ZN7rocprim17ROCPRIM_400000_NS6detail17trampoline_kernelINS0_14default_configENS1_38merge_sort_block_merge_config_selectorIjN6thrust23THRUST_200600_302600_NS5tupleIffNS6_9null_typeES8_S8_S8_S8_S8_S8_S8_EEEEZZNS1_27merge_sort_block_merge_implIS3_NS6_6detail15normal_iteratorINS6_10device_ptrIjEEEENSD_INSE_IS9_EEEEjNS1_19radix_merge_compareILb0ELb1EjNS0_19identity_decomposerEEEEE10hipError_tT0_T1_T2_jT3_P12ihipStream_tbPNSt15iterator_traitsISN_E10value_typeEPNST_ISO_E10value_typeEPSP_NS1_7vsmem_tEENKUlT_SN_SO_SP_E_clIPjSG_PS9_SI_EESM_S12_SN_SO_SP_EUlS12_E0_NS1_11comp_targetILNS1_3genE5ELNS1_11target_archE942ELNS1_3gpuE9ELNS1_3repE0EEENS1_38merge_mergepath_config_static_selectorELNS0_4arch9wavefront6targetE0EEEvSO_.has_indirect_call, 0
	.section	.AMDGPU.csdata,"",@progbits
; Kernel info:
; codeLenInByte = 0
; TotalNumSgprs: 0
; NumVgprs: 0
; ScratchSize: 0
; MemoryBound: 0
; FloatMode: 240
; IeeeMode: 1
; LDSByteSize: 0 bytes/workgroup (compile time only)
; SGPRBlocks: 0
; VGPRBlocks: 0
; NumSGPRsForWavesPerEU: 1
; NumVGPRsForWavesPerEU: 1
; Occupancy: 16
; WaveLimiterHint : 0
; COMPUTE_PGM_RSRC2:SCRATCH_EN: 0
; COMPUTE_PGM_RSRC2:USER_SGPR: 2
; COMPUTE_PGM_RSRC2:TRAP_HANDLER: 0
; COMPUTE_PGM_RSRC2:TGID_X_EN: 1
; COMPUTE_PGM_RSRC2:TGID_Y_EN: 0
; COMPUTE_PGM_RSRC2:TGID_Z_EN: 0
; COMPUTE_PGM_RSRC2:TIDIG_COMP_CNT: 0
	.section	.text._ZN7rocprim17ROCPRIM_400000_NS6detail17trampoline_kernelINS0_14default_configENS1_38merge_sort_block_merge_config_selectorIjN6thrust23THRUST_200600_302600_NS5tupleIffNS6_9null_typeES8_S8_S8_S8_S8_S8_S8_EEEEZZNS1_27merge_sort_block_merge_implIS3_NS6_6detail15normal_iteratorINS6_10device_ptrIjEEEENSD_INSE_IS9_EEEEjNS1_19radix_merge_compareILb0ELb1EjNS0_19identity_decomposerEEEEE10hipError_tT0_T1_T2_jT3_P12ihipStream_tbPNSt15iterator_traitsISN_E10value_typeEPNST_ISO_E10value_typeEPSP_NS1_7vsmem_tEENKUlT_SN_SO_SP_E_clIPjSG_PS9_SI_EESM_S12_SN_SO_SP_EUlS12_E0_NS1_11comp_targetILNS1_3genE4ELNS1_11target_archE910ELNS1_3gpuE8ELNS1_3repE0EEENS1_38merge_mergepath_config_static_selectorELNS0_4arch9wavefront6targetE0EEEvSO_,"axG",@progbits,_ZN7rocprim17ROCPRIM_400000_NS6detail17trampoline_kernelINS0_14default_configENS1_38merge_sort_block_merge_config_selectorIjN6thrust23THRUST_200600_302600_NS5tupleIffNS6_9null_typeES8_S8_S8_S8_S8_S8_S8_EEEEZZNS1_27merge_sort_block_merge_implIS3_NS6_6detail15normal_iteratorINS6_10device_ptrIjEEEENSD_INSE_IS9_EEEEjNS1_19radix_merge_compareILb0ELb1EjNS0_19identity_decomposerEEEEE10hipError_tT0_T1_T2_jT3_P12ihipStream_tbPNSt15iterator_traitsISN_E10value_typeEPNST_ISO_E10value_typeEPSP_NS1_7vsmem_tEENKUlT_SN_SO_SP_E_clIPjSG_PS9_SI_EESM_S12_SN_SO_SP_EUlS12_E0_NS1_11comp_targetILNS1_3genE4ELNS1_11target_archE910ELNS1_3gpuE8ELNS1_3repE0EEENS1_38merge_mergepath_config_static_selectorELNS0_4arch9wavefront6targetE0EEEvSO_,comdat
	.protected	_ZN7rocprim17ROCPRIM_400000_NS6detail17trampoline_kernelINS0_14default_configENS1_38merge_sort_block_merge_config_selectorIjN6thrust23THRUST_200600_302600_NS5tupleIffNS6_9null_typeES8_S8_S8_S8_S8_S8_S8_EEEEZZNS1_27merge_sort_block_merge_implIS3_NS6_6detail15normal_iteratorINS6_10device_ptrIjEEEENSD_INSE_IS9_EEEEjNS1_19radix_merge_compareILb0ELb1EjNS0_19identity_decomposerEEEEE10hipError_tT0_T1_T2_jT3_P12ihipStream_tbPNSt15iterator_traitsISN_E10value_typeEPNST_ISO_E10value_typeEPSP_NS1_7vsmem_tEENKUlT_SN_SO_SP_E_clIPjSG_PS9_SI_EESM_S12_SN_SO_SP_EUlS12_E0_NS1_11comp_targetILNS1_3genE4ELNS1_11target_archE910ELNS1_3gpuE8ELNS1_3repE0EEENS1_38merge_mergepath_config_static_selectorELNS0_4arch9wavefront6targetE0EEEvSO_ ; -- Begin function _ZN7rocprim17ROCPRIM_400000_NS6detail17trampoline_kernelINS0_14default_configENS1_38merge_sort_block_merge_config_selectorIjN6thrust23THRUST_200600_302600_NS5tupleIffNS6_9null_typeES8_S8_S8_S8_S8_S8_S8_EEEEZZNS1_27merge_sort_block_merge_implIS3_NS6_6detail15normal_iteratorINS6_10device_ptrIjEEEENSD_INSE_IS9_EEEEjNS1_19radix_merge_compareILb0ELb1EjNS0_19identity_decomposerEEEEE10hipError_tT0_T1_T2_jT3_P12ihipStream_tbPNSt15iterator_traitsISN_E10value_typeEPNST_ISO_E10value_typeEPSP_NS1_7vsmem_tEENKUlT_SN_SO_SP_E_clIPjSG_PS9_SI_EESM_S12_SN_SO_SP_EUlS12_E0_NS1_11comp_targetILNS1_3genE4ELNS1_11target_archE910ELNS1_3gpuE8ELNS1_3repE0EEENS1_38merge_mergepath_config_static_selectorELNS0_4arch9wavefront6targetE0EEEvSO_
	.globl	_ZN7rocprim17ROCPRIM_400000_NS6detail17trampoline_kernelINS0_14default_configENS1_38merge_sort_block_merge_config_selectorIjN6thrust23THRUST_200600_302600_NS5tupleIffNS6_9null_typeES8_S8_S8_S8_S8_S8_S8_EEEEZZNS1_27merge_sort_block_merge_implIS3_NS6_6detail15normal_iteratorINS6_10device_ptrIjEEEENSD_INSE_IS9_EEEEjNS1_19radix_merge_compareILb0ELb1EjNS0_19identity_decomposerEEEEE10hipError_tT0_T1_T2_jT3_P12ihipStream_tbPNSt15iterator_traitsISN_E10value_typeEPNST_ISO_E10value_typeEPSP_NS1_7vsmem_tEENKUlT_SN_SO_SP_E_clIPjSG_PS9_SI_EESM_S12_SN_SO_SP_EUlS12_E0_NS1_11comp_targetILNS1_3genE4ELNS1_11target_archE910ELNS1_3gpuE8ELNS1_3repE0EEENS1_38merge_mergepath_config_static_selectorELNS0_4arch9wavefront6targetE0EEEvSO_
	.p2align	8
	.type	_ZN7rocprim17ROCPRIM_400000_NS6detail17trampoline_kernelINS0_14default_configENS1_38merge_sort_block_merge_config_selectorIjN6thrust23THRUST_200600_302600_NS5tupleIffNS6_9null_typeES8_S8_S8_S8_S8_S8_S8_EEEEZZNS1_27merge_sort_block_merge_implIS3_NS6_6detail15normal_iteratorINS6_10device_ptrIjEEEENSD_INSE_IS9_EEEEjNS1_19radix_merge_compareILb0ELb1EjNS0_19identity_decomposerEEEEE10hipError_tT0_T1_T2_jT3_P12ihipStream_tbPNSt15iterator_traitsISN_E10value_typeEPNST_ISO_E10value_typeEPSP_NS1_7vsmem_tEENKUlT_SN_SO_SP_E_clIPjSG_PS9_SI_EESM_S12_SN_SO_SP_EUlS12_E0_NS1_11comp_targetILNS1_3genE4ELNS1_11target_archE910ELNS1_3gpuE8ELNS1_3repE0EEENS1_38merge_mergepath_config_static_selectorELNS0_4arch9wavefront6targetE0EEEvSO_,@function
_ZN7rocprim17ROCPRIM_400000_NS6detail17trampoline_kernelINS0_14default_configENS1_38merge_sort_block_merge_config_selectorIjN6thrust23THRUST_200600_302600_NS5tupleIffNS6_9null_typeES8_S8_S8_S8_S8_S8_S8_EEEEZZNS1_27merge_sort_block_merge_implIS3_NS6_6detail15normal_iteratorINS6_10device_ptrIjEEEENSD_INSE_IS9_EEEEjNS1_19radix_merge_compareILb0ELb1EjNS0_19identity_decomposerEEEEE10hipError_tT0_T1_T2_jT3_P12ihipStream_tbPNSt15iterator_traitsISN_E10value_typeEPNST_ISO_E10value_typeEPSP_NS1_7vsmem_tEENKUlT_SN_SO_SP_E_clIPjSG_PS9_SI_EESM_S12_SN_SO_SP_EUlS12_E0_NS1_11comp_targetILNS1_3genE4ELNS1_11target_archE910ELNS1_3gpuE8ELNS1_3repE0EEENS1_38merge_mergepath_config_static_selectorELNS0_4arch9wavefront6targetE0EEEvSO_: ; @_ZN7rocprim17ROCPRIM_400000_NS6detail17trampoline_kernelINS0_14default_configENS1_38merge_sort_block_merge_config_selectorIjN6thrust23THRUST_200600_302600_NS5tupleIffNS6_9null_typeES8_S8_S8_S8_S8_S8_S8_EEEEZZNS1_27merge_sort_block_merge_implIS3_NS6_6detail15normal_iteratorINS6_10device_ptrIjEEEENSD_INSE_IS9_EEEEjNS1_19radix_merge_compareILb0ELb1EjNS0_19identity_decomposerEEEEE10hipError_tT0_T1_T2_jT3_P12ihipStream_tbPNSt15iterator_traitsISN_E10value_typeEPNST_ISO_E10value_typeEPSP_NS1_7vsmem_tEENKUlT_SN_SO_SP_E_clIPjSG_PS9_SI_EESM_S12_SN_SO_SP_EUlS12_E0_NS1_11comp_targetILNS1_3genE4ELNS1_11target_archE910ELNS1_3gpuE8ELNS1_3repE0EEENS1_38merge_mergepath_config_static_selectorELNS0_4arch9wavefront6targetE0EEEvSO_
; %bb.0:
	.section	.rodata,"a",@progbits
	.p2align	6, 0x0
	.amdhsa_kernel _ZN7rocprim17ROCPRIM_400000_NS6detail17trampoline_kernelINS0_14default_configENS1_38merge_sort_block_merge_config_selectorIjN6thrust23THRUST_200600_302600_NS5tupleIffNS6_9null_typeES8_S8_S8_S8_S8_S8_S8_EEEEZZNS1_27merge_sort_block_merge_implIS3_NS6_6detail15normal_iteratorINS6_10device_ptrIjEEEENSD_INSE_IS9_EEEEjNS1_19radix_merge_compareILb0ELb1EjNS0_19identity_decomposerEEEEE10hipError_tT0_T1_T2_jT3_P12ihipStream_tbPNSt15iterator_traitsISN_E10value_typeEPNST_ISO_E10value_typeEPSP_NS1_7vsmem_tEENKUlT_SN_SO_SP_E_clIPjSG_PS9_SI_EESM_S12_SN_SO_SP_EUlS12_E0_NS1_11comp_targetILNS1_3genE4ELNS1_11target_archE910ELNS1_3gpuE8ELNS1_3repE0EEENS1_38merge_mergepath_config_static_selectorELNS0_4arch9wavefront6targetE0EEEvSO_
		.amdhsa_group_segment_fixed_size 0
		.amdhsa_private_segment_fixed_size 0
		.amdhsa_kernarg_size 64
		.amdhsa_user_sgpr_count 2
		.amdhsa_user_sgpr_dispatch_ptr 0
		.amdhsa_user_sgpr_queue_ptr 0
		.amdhsa_user_sgpr_kernarg_segment_ptr 1
		.amdhsa_user_sgpr_dispatch_id 0
		.amdhsa_user_sgpr_private_segment_size 0
		.amdhsa_wavefront_size32 1
		.amdhsa_uses_dynamic_stack 0
		.amdhsa_enable_private_segment 0
		.amdhsa_system_sgpr_workgroup_id_x 1
		.amdhsa_system_sgpr_workgroup_id_y 0
		.amdhsa_system_sgpr_workgroup_id_z 0
		.amdhsa_system_sgpr_workgroup_info 0
		.amdhsa_system_vgpr_workitem_id 0
		.amdhsa_next_free_vgpr 1
		.amdhsa_next_free_sgpr 1
		.amdhsa_reserve_vcc 0
		.amdhsa_float_round_mode_32 0
		.amdhsa_float_round_mode_16_64 0
		.amdhsa_float_denorm_mode_32 3
		.amdhsa_float_denorm_mode_16_64 3
		.amdhsa_fp16_overflow 0
		.amdhsa_workgroup_processor_mode 1
		.amdhsa_memory_ordered 1
		.amdhsa_forward_progress 1
		.amdhsa_inst_pref_size 0
		.amdhsa_round_robin_scheduling 0
		.amdhsa_exception_fp_ieee_invalid_op 0
		.amdhsa_exception_fp_denorm_src 0
		.amdhsa_exception_fp_ieee_div_zero 0
		.amdhsa_exception_fp_ieee_overflow 0
		.amdhsa_exception_fp_ieee_underflow 0
		.amdhsa_exception_fp_ieee_inexact 0
		.amdhsa_exception_int_div_zero 0
	.end_amdhsa_kernel
	.section	.text._ZN7rocprim17ROCPRIM_400000_NS6detail17trampoline_kernelINS0_14default_configENS1_38merge_sort_block_merge_config_selectorIjN6thrust23THRUST_200600_302600_NS5tupleIffNS6_9null_typeES8_S8_S8_S8_S8_S8_S8_EEEEZZNS1_27merge_sort_block_merge_implIS3_NS6_6detail15normal_iteratorINS6_10device_ptrIjEEEENSD_INSE_IS9_EEEEjNS1_19radix_merge_compareILb0ELb1EjNS0_19identity_decomposerEEEEE10hipError_tT0_T1_T2_jT3_P12ihipStream_tbPNSt15iterator_traitsISN_E10value_typeEPNST_ISO_E10value_typeEPSP_NS1_7vsmem_tEENKUlT_SN_SO_SP_E_clIPjSG_PS9_SI_EESM_S12_SN_SO_SP_EUlS12_E0_NS1_11comp_targetILNS1_3genE4ELNS1_11target_archE910ELNS1_3gpuE8ELNS1_3repE0EEENS1_38merge_mergepath_config_static_selectorELNS0_4arch9wavefront6targetE0EEEvSO_,"axG",@progbits,_ZN7rocprim17ROCPRIM_400000_NS6detail17trampoline_kernelINS0_14default_configENS1_38merge_sort_block_merge_config_selectorIjN6thrust23THRUST_200600_302600_NS5tupleIffNS6_9null_typeES8_S8_S8_S8_S8_S8_S8_EEEEZZNS1_27merge_sort_block_merge_implIS3_NS6_6detail15normal_iteratorINS6_10device_ptrIjEEEENSD_INSE_IS9_EEEEjNS1_19radix_merge_compareILb0ELb1EjNS0_19identity_decomposerEEEEE10hipError_tT0_T1_T2_jT3_P12ihipStream_tbPNSt15iterator_traitsISN_E10value_typeEPNST_ISO_E10value_typeEPSP_NS1_7vsmem_tEENKUlT_SN_SO_SP_E_clIPjSG_PS9_SI_EESM_S12_SN_SO_SP_EUlS12_E0_NS1_11comp_targetILNS1_3genE4ELNS1_11target_archE910ELNS1_3gpuE8ELNS1_3repE0EEENS1_38merge_mergepath_config_static_selectorELNS0_4arch9wavefront6targetE0EEEvSO_,comdat
.Lfunc_end102:
	.size	_ZN7rocprim17ROCPRIM_400000_NS6detail17trampoline_kernelINS0_14default_configENS1_38merge_sort_block_merge_config_selectorIjN6thrust23THRUST_200600_302600_NS5tupleIffNS6_9null_typeES8_S8_S8_S8_S8_S8_S8_EEEEZZNS1_27merge_sort_block_merge_implIS3_NS6_6detail15normal_iteratorINS6_10device_ptrIjEEEENSD_INSE_IS9_EEEEjNS1_19radix_merge_compareILb0ELb1EjNS0_19identity_decomposerEEEEE10hipError_tT0_T1_T2_jT3_P12ihipStream_tbPNSt15iterator_traitsISN_E10value_typeEPNST_ISO_E10value_typeEPSP_NS1_7vsmem_tEENKUlT_SN_SO_SP_E_clIPjSG_PS9_SI_EESM_S12_SN_SO_SP_EUlS12_E0_NS1_11comp_targetILNS1_3genE4ELNS1_11target_archE910ELNS1_3gpuE8ELNS1_3repE0EEENS1_38merge_mergepath_config_static_selectorELNS0_4arch9wavefront6targetE0EEEvSO_, .Lfunc_end102-_ZN7rocprim17ROCPRIM_400000_NS6detail17trampoline_kernelINS0_14default_configENS1_38merge_sort_block_merge_config_selectorIjN6thrust23THRUST_200600_302600_NS5tupleIffNS6_9null_typeES8_S8_S8_S8_S8_S8_S8_EEEEZZNS1_27merge_sort_block_merge_implIS3_NS6_6detail15normal_iteratorINS6_10device_ptrIjEEEENSD_INSE_IS9_EEEEjNS1_19radix_merge_compareILb0ELb1EjNS0_19identity_decomposerEEEEE10hipError_tT0_T1_T2_jT3_P12ihipStream_tbPNSt15iterator_traitsISN_E10value_typeEPNST_ISO_E10value_typeEPSP_NS1_7vsmem_tEENKUlT_SN_SO_SP_E_clIPjSG_PS9_SI_EESM_S12_SN_SO_SP_EUlS12_E0_NS1_11comp_targetILNS1_3genE4ELNS1_11target_archE910ELNS1_3gpuE8ELNS1_3repE0EEENS1_38merge_mergepath_config_static_selectorELNS0_4arch9wavefront6targetE0EEEvSO_
                                        ; -- End function
	.set _ZN7rocprim17ROCPRIM_400000_NS6detail17trampoline_kernelINS0_14default_configENS1_38merge_sort_block_merge_config_selectorIjN6thrust23THRUST_200600_302600_NS5tupleIffNS6_9null_typeES8_S8_S8_S8_S8_S8_S8_EEEEZZNS1_27merge_sort_block_merge_implIS3_NS6_6detail15normal_iteratorINS6_10device_ptrIjEEEENSD_INSE_IS9_EEEEjNS1_19radix_merge_compareILb0ELb1EjNS0_19identity_decomposerEEEEE10hipError_tT0_T1_T2_jT3_P12ihipStream_tbPNSt15iterator_traitsISN_E10value_typeEPNST_ISO_E10value_typeEPSP_NS1_7vsmem_tEENKUlT_SN_SO_SP_E_clIPjSG_PS9_SI_EESM_S12_SN_SO_SP_EUlS12_E0_NS1_11comp_targetILNS1_3genE4ELNS1_11target_archE910ELNS1_3gpuE8ELNS1_3repE0EEENS1_38merge_mergepath_config_static_selectorELNS0_4arch9wavefront6targetE0EEEvSO_.num_vgpr, 0
	.set _ZN7rocprim17ROCPRIM_400000_NS6detail17trampoline_kernelINS0_14default_configENS1_38merge_sort_block_merge_config_selectorIjN6thrust23THRUST_200600_302600_NS5tupleIffNS6_9null_typeES8_S8_S8_S8_S8_S8_S8_EEEEZZNS1_27merge_sort_block_merge_implIS3_NS6_6detail15normal_iteratorINS6_10device_ptrIjEEEENSD_INSE_IS9_EEEEjNS1_19radix_merge_compareILb0ELb1EjNS0_19identity_decomposerEEEEE10hipError_tT0_T1_T2_jT3_P12ihipStream_tbPNSt15iterator_traitsISN_E10value_typeEPNST_ISO_E10value_typeEPSP_NS1_7vsmem_tEENKUlT_SN_SO_SP_E_clIPjSG_PS9_SI_EESM_S12_SN_SO_SP_EUlS12_E0_NS1_11comp_targetILNS1_3genE4ELNS1_11target_archE910ELNS1_3gpuE8ELNS1_3repE0EEENS1_38merge_mergepath_config_static_selectorELNS0_4arch9wavefront6targetE0EEEvSO_.num_agpr, 0
	.set _ZN7rocprim17ROCPRIM_400000_NS6detail17trampoline_kernelINS0_14default_configENS1_38merge_sort_block_merge_config_selectorIjN6thrust23THRUST_200600_302600_NS5tupleIffNS6_9null_typeES8_S8_S8_S8_S8_S8_S8_EEEEZZNS1_27merge_sort_block_merge_implIS3_NS6_6detail15normal_iteratorINS6_10device_ptrIjEEEENSD_INSE_IS9_EEEEjNS1_19radix_merge_compareILb0ELb1EjNS0_19identity_decomposerEEEEE10hipError_tT0_T1_T2_jT3_P12ihipStream_tbPNSt15iterator_traitsISN_E10value_typeEPNST_ISO_E10value_typeEPSP_NS1_7vsmem_tEENKUlT_SN_SO_SP_E_clIPjSG_PS9_SI_EESM_S12_SN_SO_SP_EUlS12_E0_NS1_11comp_targetILNS1_3genE4ELNS1_11target_archE910ELNS1_3gpuE8ELNS1_3repE0EEENS1_38merge_mergepath_config_static_selectorELNS0_4arch9wavefront6targetE0EEEvSO_.numbered_sgpr, 0
	.set _ZN7rocprim17ROCPRIM_400000_NS6detail17trampoline_kernelINS0_14default_configENS1_38merge_sort_block_merge_config_selectorIjN6thrust23THRUST_200600_302600_NS5tupleIffNS6_9null_typeES8_S8_S8_S8_S8_S8_S8_EEEEZZNS1_27merge_sort_block_merge_implIS3_NS6_6detail15normal_iteratorINS6_10device_ptrIjEEEENSD_INSE_IS9_EEEEjNS1_19radix_merge_compareILb0ELb1EjNS0_19identity_decomposerEEEEE10hipError_tT0_T1_T2_jT3_P12ihipStream_tbPNSt15iterator_traitsISN_E10value_typeEPNST_ISO_E10value_typeEPSP_NS1_7vsmem_tEENKUlT_SN_SO_SP_E_clIPjSG_PS9_SI_EESM_S12_SN_SO_SP_EUlS12_E0_NS1_11comp_targetILNS1_3genE4ELNS1_11target_archE910ELNS1_3gpuE8ELNS1_3repE0EEENS1_38merge_mergepath_config_static_selectorELNS0_4arch9wavefront6targetE0EEEvSO_.num_named_barrier, 0
	.set _ZN7rocprim17ROCPRIM_400000_NS6detail17trampoline_kernelINS0_14default_configENS1_38merge_sort_block_merge_config_selectorIjN6thrust23THRUST_200600_302600_NS5tupleIffNS6_9null_typeES8_S8_S8_S8_S8_S8_S8_EEEEZZNS1_27merge_sort_block_merge_implIS3_NS6_6detail15normal_iteratorINS6_10device_ptrIjEEEENSD_INSE_IS9_EEEEjNS1_19radix_merge_compareILb0ELb1EjNS0_19identity_decomposerEEEEE10hipError_tT0_T1_T2_jT3_P12ihipStream_tbPNSt15iterator_traitsISN_E10value_typeEPNST_ISO_E10value_typeEPSP_NS1_7vsmem_tEENKUlT_SN_SO_SP_E_clIPjSG_PS9_SI_EESM_S12_SN_SO_SP_EUlS12_E0_NS1_11comp_targetILNS1_3genE4ELNS1_11target_archE910ELNS1_3gpuE8ELNS1_3repE0EEENS1_38merge_mergepath_config_static_selectorELNS0_4arch9wavefront6targetE0EEEvSO_.private_seg_size, 0
	.set _ZN7rocprim17ROCPRIM_400000_NS6detail17trampoline_kernelINS0_14default_configENS1_38merge_sort_block_merge_config_selectorIjN6thrust23THRUST_200600_302600_NS5tupleIffNS6_9null_typeES8_S8_S8_S8_S8_S8_S8_EEEEZZNS1_27merge_sort_block_merge_implIS3_NS6_6detail15normal_iteratorINS6_10device_ptrIjEEEENSD_INSE_IS9_EEEEjNS1_19radix_merge_compareILb0ELb1EjNS0_19identity_decomposerEEEEE10hipError_tT0_T1_T2_jT3_P12ihipStream_tbPNSt15iterator_traitsISN_E10value_typeEPNST_ISO_E10value_typeEPSP_NS1_7vsmem_tEENKUlT_SN_SO_SP_E_clIPjSG_PS9_SI_EESM_S12_SN_SO_SP_EUlS12_E0_NS1_11comp_targetILNS1_3genE4ELNS1_11target_archE910ELNS1_3gpuE8ELNS1_3repE0EEENS1_38merge_mergepath_config_static_selectorELNS0_4arch9wavefront6targetE0EEEvSO_.uses_vcc, 0
	.set _ZN7rocprim17ROCPRIM_400000_NS6detail17trampoline_kernelINS0_14default_configENS1_38merge_sort_block_merge_config_selectorIjN6thrust23THRUST_200600_302600_NS5tupleIffNS6_9null_typeES8_S8_S8_S8_S8_S8_S8_EEEEZZNS1_27merge_sort_block_merge_implIS3_NS6_6detail15normal_iteratorINS6_10device_ptrIjEEEENSD_INSE_IS9_EEEEjNS1_19radix_merge_compareILb0ELb1EjNS0_19identity_decomposerEEEEE10hipError_tT0_T1_T2_jT3_P12ihipStream_tbPNSt15iterator_traitsISN_E10value_typeEPNST_ISO_E10value_typeEPSP_NS1_7vsmem_tEENKUlT_SN_SO_SP_E_clIPjSG_PS9_SI_EESM_S12_SN_SO_SP_EUlS12_E0_NS1_11comp_targetILNS1_3genE4ELNS1_11target_archE910ELNS1_3gpuE8ELNS1_3repE0EEENS1_38merge_mergepath_config_static_selectorELNS0_4arch9wavefront6targetE0EEEvSO_.uses_flat_scratch, 0
	.set _ZN7rocprim17ROCPRIM_400000_NS6detail17trampoline_kernelINS0_14default_configENS1_38merge_sort_block_merge_config_selectorIjN6thrust23THRUST_200600_302600_NS5tupleIffNS6_9null_typeES8_S8_S8_S8_S8_S8_S8_EEEEZZNS1_27merge_sort_block_merge_implIS3_NS6_6detail15normal_iteratorINS6_10device_ptrIjEEEENSD_INSE_IS9_EEEEjNS1_19radix_merge_compareILb0ELb1EjNS0_19identity_decomposerEEEEE10hipError_tT0_T1_T2_jT3_P12ihipStream_tbPNSt15iterator_traitsISN_E10value_typeEPNST_ISO_E10value_typeEPSP_NS1_7vsmem_tEENKUlT_SN_SO_SP_E_clIPjSG_PS9_SI_EESM_S12_SN_SO_SP_EUlS12_E0_NS1_11comp_targetILNS1_3genE4ELNS1_11target_archE910ELNS1_3gpuE8ELNS1_3repE0EEENS1_38merge_mergepath_config_static_selectorELNS0_4arch9wavefront6targetE0EEEvSO_.has_dyn_sized_stack, 0
	.set _ZN7rocprim17ROCPRIM_400000_NS6detail17trampoline_kernelINS0_14default_configENS1_38merge_sort_block_merge_config_selectorIjN6thrust23THRUST_200600_302600_NS5tupleIffNS6_9null_typeES8_S8_S8_S8_S8_S8_S8_EEEEZZNS1_27merge_sort_block_merge_implIS3_NS6_6detail15normal_iteratorINS6_10device_ptrIjEEEENSD_INSE_IS9_EEEEjNS1_19radix_merge_compareILb0ELb1EjNS0_19identity_decomposerEEEEE10hipError_tT0_T1_T2_jT3_P12ihipStream_tbPNSt15iterator_traitsISN_E10value_typeEPNST_ISO_E10value_typeEPSP_NS1_7vsmem_tEENKUlT_SN_SO_SP_E_clIPjSG_PS9_SI_EESM_S12_SN_SO_SP_EUlS12_E0_NS1_11comp_targetILNS1_3genE4ELNS1_11target_archE910ELNS1_3gpuE8ELNS1_3repE0EEENS1_38merge_mergepath_config_static_selectorELNS0_4arch9wavefront6targetE0EEEvSO_.has_recursion, 0
	.set _ZN7rocprim17ROCPRIM_400000_NS6detail17trampoline_kernelINS0_14default_configENS1_38merge_sort_block_merge_config_selectorIjN6thrust23THRUST_200600_302600_NS5tupleIffNS6_9null_typeES8_S8_S8_S8_S8_S8_S8_EEEEZZNS1_27merge_sort_block_merge_implIS3_NS6_6detail15normal_iteratorINS6_10device_ptrIjEEEENSD_INSE_IS9_EEEEjNS1_19radix_merge_compareILb0ELb1EjNS0_19identity_decomposerEEEEE10hipError_tT0_T1_T2_jT3_P12ihipStream_tbPNSt15iterator_traitsISN_E10value_typeEPNST_ISO_E10value_typeEPSP_NS1_7vsmem_tEENKUlT_SN_SO_SP_E_clIPjSG_PS9_SI_EESM_S12_SN_SO_SP_EUlS12_E0_NS1_11comp_targetILNS1_3genE4ELNS1_11target_archE910ELNS1_3gpuE8ELNS1_3repE0EEENS1_38merge_mergepath_config_static_selectorELNS0_4arch9wavefront6targetE0EEEvSO_.has_indirect_call, 0
	.section	.AMDGPU.csdata,"",@progbits
; Kernel info:
; codeLenInByte = 0
; TotalNumSgprs: 0
; NumVgprs: 0
; ScratchSize: 0
; MemoryBound: 0
; FloatMode: 240
; IeeeMode: 1
; LDSByteSize: 0 bytes/workgroup (compile time only)
; SGPRBlocks: 0
; VGPRBlocks: 0
; NumSGPRsForWavesPerEU: 1
; NumVGPRsForWavesPerEU: 1
; Occupancy: 16
; WaveLimiterHint : 0
; COMPUTE_PGM_RSRC2:SCRATCH_EN: 0
; COMPUTE_PGM_RSRC2:USER_SGPR: 2
; COMPUTE_PGM_RSRC2:TRAP_HANDLER: 0
; COMPUTE_PGM_RSRC2:TGID_X_EN: 1
; COMPUTE_PGM_RSRC2:TGID_Y_EN: 0
; COMPUTE_PGM_RSRC2:TGID_Z_EN: 0
; COMPUTE_PGM_RSRC2:TIDIG_COMP_CNT: 0
	.section	.text._ZN7rocprim17ROCPRIM_400000_NS6detail17trampoline_kernelINS0_14default_configENS1_38merge_sort_block_merge_config_selectorIjN6thrust23THRUST_200600_302600_NS5tupleIffNS6_9null_typeES8_S8_S8_S8_S8_S8_S8_EEEEZZNS1_27merge_sort_block_merge_implIS3_NS6_6detail15normal_iteratorINS6_10device_ptrIjEEEENSD_INSE_IS9_EEEEjNS1_19radix_merge_compareILb0ELb1EjNS0_19identity_decomposerEEEEE10hipError_tT0_T1_T2_jT3_P12ihipStream_tbPNSt15iterator_traitsISN_E10value_typeEPNST_ISO_E10value_typeEPSP_NS1_7vsmem_tEENKUlT_SN_SO_SP_E_clIPjSG_PS9_SI_EESM_S12_SN_SO_SP_EUlS12_E0_NS1_11comp_targetILNS1_3genE3ELNS1_11target_archE908ELNS1_3gpuE7ELNS1_3repE0EEENS1_38merge_mergepath_config_static_selectorELNS0_4arch9wavefront6targetE0EEEvSO_,"axG",@progbits,_ZN7rocprim17ROCPRIM_400000_NS6detail17trampoline_kernelINS0_14default_configENS1_38merge_sort_block_merge_config_selectorIjN6thrust23THRUST_200600_302600_NS5tupleIffNS6_9null_typeES8_S8_S8_S8_S8_S8_S8_EEEEZZNS1_27merge_sort_block_merge_implIS3_NS6_6detail15normal_iteratorINS6_10device_ptrIjEEEENSD_INSE_IS9_EEEEjNS1_19radix_merge_compareILb0ELb1EjNS0_19identity_decomposerEEEEE10hipError_tT0_T1_T2_jT3_P12ihipStream_tbPNSt15iterator_traitsISN_E10value_typeEPNST_ISO_E10value_typeEPSP_NS1_7vsmem_tEENKUlT_SN_SO_SP_E_clIPjSG_PS9_SI_EESM_S12_SN_SO_SP_EUlS12_E0_NS1_11comp_targetILNS1_3genE3ELNS1_11target_archE908ELNS1_3gpuE7ELNS1_3repE0EEENS1_38merge_mergepath_config_static_selectorELNS0_4arch9wavefront6targetE0EEEvSO_,comdat
	.protected	_ZN7rocprim17ROCPRIM_400000_NS6detail17trampoline_kernelINS0_14default_configENS1_38merge_sort_block_merge_config_selectorIjN6thrust23THRUST_200600_302600_NS5tupleIffNS6_9null_typeES8_S8_S8_S8_S8_S8_S8_EEEEZZNS1_27merge_sort_block_merge_implIS3_NS6_6detail15normal_iteratorINS6_10device_ptrIjEEEENSD_INSE_IS9_EEEEjNS1_19radix_merge_compareILb0ELb1EjNS0_19identity_decomposerEEEEE10hipError_tT0_T1_T2_jT3_P12ihipStream_tbPNSt15iterator_traitsISN_E10value_typeEPNST_ISO_E10value_typeEPSP_NS1_7vsmem_tEENKUlT_SN_SO_SP_E_clIPjSG_PS9_SI_EESM_S12_SN_SO_SP_EUlS12_E0_NS1_11comp_targetILNS1_3genE3ELNS1_11target_archE908ELNS1_3gpuE7ELNS1_3repE0EEENS1_38merge_mergepath_config_static_selectorELNS0_4arch9wavefront6targetE0EEEvSO_ ; -- Begin function _ZN7rocprim17ROCPRIM_400000_NS6detail17trampoline_kernelINS0_14default_configENS1_38merge_sort_block_merge_config_selectorIjN6thrust23THRUST_200600_302600_NS5tupleIffNS6_9null_typeES8_S8_S8_S8_S8_S8_S8_EEEEZZNS1_27merge_sort_block_merge_implIS3_NS6_6detail15normal_iteratorINS6_10device_ptrIjEEEENSD_INSE_IS9_EEEEjNS1_19radix_merge_compareILb0ELb1EjNS0_19identity_decomposerEEEEE10hipError_tT0_T1_T2_jT3_P12ihipStream_tbPNSt15iterator_traitsISN_E10value_typeEPNST_ISO_E10value_typeEPSP_NS1_7vsmem_tEENKUlT_SN_SO_SP_E_clIPjSG_PS9_SI_EESM_S12_SN_SO_SP_EUlS12_E0_NS1_11comp_targetILNS1_3genE3ELNS1_11target_archE908ELNS1_3gpuE7ELNS1_3repE0EEENS1_38merge_mergepath_config_static_selectorELNS0_4arch9wavefront6targetE0EEEvSO_
	.globl	_ZN7rocprim17ROCPRIM_400000_NS6detail17trampoline_kernelINS0_14default_configENS1_38merge_sort_block_merge_config_selectorIjN6thrust23THRUST_200600_302600_NS5tupleIffNS6_9null_typeES8_S8_S8_S8_S8_S8_S8_EEEEZZNS1_27merge_sort_block_merge_implIS3_NS6_6detail15normal_iteratorINS6_10device_ptrIjEEEENSD_INSE_IS9_EEEEjNS1_19radix_merge_compareILb0ELb1EjNS0_19identity_decomposerEEEEE10hipError_tT0_T1_T2_jT3_P12ihipStream_tbPNSt15iterator_traitsISN_E10value_typeEPNST_ISO_E10value_typeEPSP_NS1_7vsmem_tEENKUlT_SN_SO_SP_E_clIPjSG_PS9_SI_EESM_S12_SN_SO_SP_EUlS12_E0_NS1_11comp_targetILNS1_3genE3ELNS1_11target_archE908ELNS1_3gpuE7ELNS1_3repE0EEENS1_38merge_mergepath_config_static_selectorELNS0_4arch9wavefront6targetE0EEEvSO_
	.p2align	8
	.type	_ZN7rocprim17ROCPRIM_400000_NS6detail17trampoline_kernelINS0_14default_configENS1_38merge_sort_block_merge_config_selectorIjN6thrust23THRUST_200600_302600_NS5tupleIffNS6_9null_typeES8_S8_S8_S8_S8_S8_S8_EEEEZZNS1_27merge_sort_block_merge_implIS3_NS6_6detail15normal_iteratorINS6_10device_ptrIjEEEENSD_INSE_IS9_EEEEjNS1_19radix_merge_compareILb0ELb1EjNS0_19identity_decomposerEEEEE10hipError_tT0_T1_T2_jT3_P12ihipStream_tbPNSt15iterator_traitsISN_E10value_typeEPNST_ISO_E10value_typeEPSP_NS1_7vsmem_tEENKUlT_SN_SO_SP_E_clIPjSG_PS9_SI_EESM_S12_SN_SO_SP_EUlS12_E0_NS1_11comp_targetILNS1_3genE3ELNS1_11target_archE908ELNS1_3gpuE7ELNS1_3repE0EEENS1_38merge_mergepath_config_static_selectorELNS0_4arch9wavefront6targetE0EEEvSO_,@function
_ZN7rocprim17ROCPRIM_400000_NS6detail17trampoline_kernelINS0_14default_configENS1_38merge_sort_block_merge_config_selectorIjN6thrust23THRUST_200600_302600_NS5tupleIffNS6_9null_typeES8_S8_S8_S8_S8_S8_S8_EEEEZZNS1_27merge_sort_block_merge_implIS3_NS6_6detail15normal_iteratorINS6_10device_ptrIjEEEENSD_INSE_IS9_EEEEjNS1_19radix_merge_compareILb0ELb1EjNS0_19identity_decomposerEEEEE10hipError_tT0_T1_T2_jT3_P12ihipStream_tbPNSt15iterator_traitsISN_E10value_typeEPNST_ISO_E10value_typeEPSP_NS1_7vsmem_tEENKUlT_SN_SO_SP_E_clIPjSG_PS9_SI_EESM_S12_SN_SO_SP_EUlS12_E0_NS1_11comp_targetILNS1_3genE3ELNS1_11target_archE908ELNS1_3gpuE7ELNS1_3repE0EEENS1_38merge_mergepath_config_static_selectorELNS0_4arch9wavefront6targetE0EEEvSO_: ; @_ZN7rocprim17ROCPRIM_400000_NS6detail17trampoline_kernelINS0_14default_configENS1_38merge_sort_block_merge_config_selectorIjN6thrust23THRUST_200600_302600_NS5tupleIffNS6_9null_typeES8_S8_S8_S8_S8_S8_S8_EEEEZZNS1_27merge_sort_block_merge_implIS3_NS6_6detail15normal_iteratorINS6_10device_ptrIjEEEENSD_INSE_IS9_EEEEjNS1_19radix_merge_compareILb0ELb1EjNS0_19identity_decomposerEEEEE10hipError_tT0_T1_T2_jT3_P12ihipStream_tbPNSt15iterator_traitsISN_E10value_typeEPNST_ISO_E10value_typeEPSP_NS1_7vsmem_tEENKUlT_SN_SO_SP_E_clIPjSG_PS9_SI_EESM_S12_SN_SO_SP_EUlS12_E0_NS1_11comp_targetILNS1_3genE3ELNS1_11target_archE908ELNS1_3gpuE7ELNS1_3repE0EEENS1_38merge_mergepath_config_static_selectorELNS0_4arch9wavefront6targetE0EEEvSO_
; %bb.0:
	.section	.rodata,"a",@progbits
	.p2align	6, 0x0
	.amdhsa_kernel _ZN7rocprim17ROCPRIM_400000_NS6detail17trampoline_kernelINS0_14default_configENS1_38merge_sort_block_merge_config_selectorIjN6thrust23THRUST_200600_302600_NS5tupleIffNS6_9null_typeES8_S8_S8_S8_S8_S8_S8_EEEEZZNS1_27merge_sort_block_merge_implIS3_NS6_6detail15normal_iteratorINS6_10device_ptrIjEEEENSD_INSE_IS9_EEEEjNS1_19radix_merge_compareILb0ELb1EjNS0_19identity_decomposerEEEEE10hipError_tT0_T1_T2_jT3_P12ihipStream_tbPNSt15iterator_traitsISN_E10value_typeEPNST_ISO_E10value_typeEPSP_NS1_7vsmem_tEENKUlT_SN_SO_SP_E_clIPjSG_PS9_SI_EESM_S12_SN_SO_SP_EUlS12_E0_NS1_11comp_targetILNS1_3genE3ELNS1_11target_archE908ELNS1_3gpuE7ELNS1_3repE0EEENS1_38merge_mergepath_config_static_selectorELNS0_4arch9wavefront6targetE0EEEvSO_
		.amdhsa_group_segment_fixed_size 0
		.amdhsa_private_segment_fixed_size 0
		.amdhsa_kernarg_size 64
		.amdhsa_user_sgpr_count 2
		.amdhsa_user_sgpr_dispatch_ptr 0
		.amdhsa_user_sgpr_queue_ptr 0
		.amdhsa_user_sgpr_kernarg_segment_ptr 1
		.amdhsa_user_sgpr_dispatch_id 0
		.amdhsa_user_sgpr_private_segment_size 0
		.amdhsa_wavefront_size32 1
		.amdhsa_uses_dynamic_stack 0
		.amdhsa_enable_private_segment 0
		.amdhsa_system_sgpr_workgroup_id_x 1
		.amdhsa_system_sgpr_workgroup_id_y 0
		.amdhsa_system_sgpr_workgroup_id_z 0
		.amdhsa_system_sgpr_workgroup_info 0
		.amdhsa_system_vgpr_workitem_id 0
		.amdhsa_next_free_vgpr 1
		.amdhsa_next_free_sgpr 1
		.amdhsa_reserve_vcc 0
		.amdhsa_float_round_mode_32 0
		.amdhsa_float_round_mode_16_64 0
		.amdhsa_float_denorm_mode_32 3
		.amdhsa_float_denorm_mode_16_64 3
		.amdhsa_fp16_overflow 0
		.amdhsa_workgroup_processor_mode 1
		.amdhsa_memory_ordered 1
		.amdhsa_forward_progress 1
		.amdhsa_inst_pref_size 0
		.amdhsa_round_robin_scheduling 0
		.amdhsa_exception_fp_ieee_invalid_op 0
		.amdhsa_exception_fp_denorm_src 0
		.amdhsa_exception_fp_ieee_div_zero 0
		.amdhsa_exception_fp_ieee_overflow 0
		.amdhsa_exception_fp_ieee_underflow 0
		.amdhsa_exception_fp_ieee_inexact 0
		.amdhsa_exception_int_div_zero 0
	.end_amdhsa_kernel
	.section	.text._ZN7rocprim17ROCPRIM_400000_NS6detail17trampoline_kernelINS0_14default_configENS1_38merge_sort_block_merge_config_selectorIjN6thrust23THRUST_200600_302600_NS5tupleIffNS6_9null_typeES8_S8_S8_S8_S8_S8_S8_EEEEZZNS1_27merge_sort_block_merge_implIS3_NS6_6detail15normal_iteratorINS6_10device_ptrIjEEEENSD_INSE_IS9_EEEEjNS1_19radix_merge_compareILb0ELb1EjNS0_19identity_decomposerEEEEE10hipError_tT0_T1_T2_jT3_P12ihipStream_tbPNSt15iterator_traitsISN_E10value_typeEPNST_ISO_E10value_typeEPSP_NS1_7vsmem_tEENKUlT_SN_SO_SP_E_clIPjSG_PS9_SI_EESM_S12_SN_SO_SP_EUlS12_E0_NS1_11comp_targetILNS1_3genE3ELNS1_11target_archE908ELNS1_3gpuE7ELNS1_3repE0EEENS1_38merge_mergepath_config_static_selectorELNS0_4arch9wavefront6targetE0EEEvSO_,"axG",@progbits,_ZN7rocprim17ROCPRIM_400000_NS6detail17trampoline_kernelINS0_14default_configENS1_38merge_sort_block_merge_config_selectorIjN6thrust23THRUST_200600_302600_NS5tupleIffNS6_9null_typeES8_S8_S8_S8_S8_S8_S8_EEEEZZNS1_27merge_sort_block_merge_implIS3_NS6_6detail15normal_iteratorINS6_10device_ptrIjEEEENSD_INSE_IS9_EEEEjNS1_19radix_merge_compareILb0ELb1EjNS0_19identity_decomposerEEEEE10hipError_tT0_T1_T2_jT3_P12ihipStream_tbPNSt15iterator_traitsISN_E10value_typeEPNST_ISO_E10value_typeEPSP_NS1_7vsmem_tEENKUlT_SN_SO_SP_E_clIPjSG_PS9_SI_EESM_S12_SN_SO_SP_EUlS12_E0_NS1_11comp_targetILNS1_3genE3ELNS1_11target_archE908ELNS1_3gpuE7ELNS1_3repE0EEENS1_38merge_mergepath_config_static_selectorELNS0_4arch9wavefront6targetE0EEEvSO_,comdat
.Lfunc_end103:
	.size	_ZN7rocprim17ROCPRIM_400000_NS6detail17trampoline_kernelINS0_14default_configENS1_38merge_sort_block_merge_config_selectorIjN6thrust23THRUST_200600_302600_NS5tupleIffNS6_9null_typeES8_S8_S8_S8_S8_S8_S8_EEEEZZNS1_27merge_sort_block_merge_implIS3_NS6_6detail15normal_iteratorINS6_10device_ptrIjEEEENSD_INSE_IS9_EEEEjNS1_19radix_merge_compareILb0ELb1EjNS0_19identity_decomposerEEEEE10hipError_tT0_T1_T2_jT3_P12ihipStream_tbPNSt15iterator_traitsISN_E10value_typeEPNST_ISO_E10value_typeEPSP_NS1_7vsmem_tEENKUlT_SN_SO_SP_E_clIPjSG_PS9_SI_EESM_S12_SN_SO_SP_EUlS12_E0_NS1_11comp_targetILNS1_3genE3ELNS1_11target_archE908ELNS1_3gpuE7ELNS1_3repE0EEENS1_38merge_mergepath_config_static_selectorELNS0_4arch9wavefront6targetE0EEEvSO_, .Lfunc_end103-_ZN7rocprim17ROCPRIM_400000_NS6detail17trampoline_kernelINS0_14default_configENS1_38merge_sort_block_merge_config_selectorIjN6thrust23THRUST_200600_302600_NS5tupleIffNS6_9null_typeES8_S8_S8_S8_S8_S8_S8_EEEEZZNS1_27merge_sort_block_merge_implIS3_NS6_6detail15normal_iteratorINS6_10device_ptrIjEEEENSD_INSE_IS9_EEEEjNS1_19radix_merge_compareILb0ELb1EjNS0_19identity_decomposerEEEEE10hipError_tT0_T1_T2_jT3_P12ihipStream_tbPNSt15iterator_traitsISN_E10value_typeEPNST_ISO_E10value_typeEPSP_NS1_7vsmem_tEENKUlT_SN_SO_SP_E_clIPjSG_PS9_SI_EESM_S12_SN_SO_SP_EUlS12_E0_NS1_11comp_targetILNS1_3genE3ELNS1_11target_archE908ELNS1_3gpuE7ELNS1_3repE0EEENS1_38merge_mergepath_config_static_selectorELNS0_4arch9wavefront6targetE0EEEvSO_
                                        ; -- End function
	.set _ZN7rocprim17ROCPRIM_400000_NS6detail17trampoline_kernelINS0_14default_configENS1_38merge_sort_block_merge_config_selectorIjN6thrust23THRUST_200600_302600_NS5tupleIffNS6_9null_typeES8_S8_S8_S8_S8_S8_S8_EEEEZZNS1_27merge_sort_block_merge_implIS3_NS6_6detail15normal_iteratorINS6_10device_ptrIjEEEENSD_INSE_IS9_EEEEjNS1_19radix_merge_compareILb0ELb1EjNS0_19identity_decomposerEEEEE10hipError_tT0_T1_T2_jT3_P12ihipStream_tbPNSt15iterator_traitsISN_E10value_typeEPNST_ISO_E10value_typeEPSP_NS1_7vsmem_tEENKUlT_SN_SO_SP_E_clIPjSG_PS9_SI_EESM_S12_SN_SO_SP_EUlS12_E0_NS1_11comp_targetILNS1_3genE3ELNS1_11target_archE908ELNS1_3gpuE7ELNS1_3repE0EEENS1_38merge_mergepath_config_static_selectorELNS0_4arch9wavefront6targetE0EEEvSO_.num_vgpr, 0
	.set _ZN7rocprim17ROCPRIM_400000_NS6detail17trampoline_kernelINS0_14default_configENS1_38merge_sort_block_merge_config_selectorIjN6thrust23THRUST_200600_302600_NS5tupleIffNS6_9null_typeES8_S8_S8_S8_S8_S8_S8_EEEEZZNS1_27merge_sort_block_merge_implIS3_NS6_6detail15normal_iteratorINS6_10device_ptrIjEEEENSD_INSE_IS9_EEEEjNS1_19radix_merge_compareILb0ELb1EjNS0_19identity_decomposerEEEEE10hipError_tT0_T1_T2_jT3_P12ihipStream_tbPNSt15iterator_traitsISN_E10value_typeEPNST_ISO_E10value_typeEPSP_NS1_7vsmem_tEENKUlT_SN_SO_SP_E_clIPjSG_PS9_SI_EESM_S12_SN_SO_SP_EUlS12_E0_NS1_11comp_targetILNS1_3genE3ELNS1_11target_archE908ELNS1_3gpuE7ELNS1_3repE0EEENS1_38merge_mergepath_config_static_selectorELNS0_4arch9wavefront6targetE0EEEvSO_.num_agpr, 0
	.set _ZN7rocprim17ROCPRIM_400000_NS6detail17trampoline_kernelINS0_14default_configENS1_38merge_sort_block_merge_config_selectorIjN6thrust23THRUST_200600_302600_NS5tupleIffNS6_9null_typeES8_S8_S8_S8_S8_S8_S8_EEEEZZNS1_27merge_sort_block_merge_implIS3_NS6_6detail15normal_iteratorINS6_10device_ptrIjEEEENSD_INSE_IS9_EEEEjNS1_19radix_merge_compareILb0ELb1EjNS0_19identity_decomposerEEEEE10hipError_tT0_T1_T2_jT3_P12ihipStream_tbPNSt15iterator_traitsISN_E10value_typeEPNST_ISO_E10value_typeEPSP_NS1_7vsmem_tEENKUlT_SN_SO_SP_E_clIPjSG_PS9_SI_EESM_S12_SN_SO_SP_EUlS12_E0_NS1_11comp_targetILNS1_3genE3ELNS1_11target_archE908ELNS1_3gpuE7ELNS1_3repE0EEENS1_38merge_mergepath_config_static_selectorELNS0_4arch9wavefront6targetE0EEEvSO_.numbered_sgpr, 0
	.set _ZN7rocprim17ROCPRIM_400000_NS6detail17trampoline_kernelINS0_14default_configENS1_38merge_sort_block_merge_config_selectorIjN6thrust23THRUST_200600_302600_NS5tupleIffNS6_9null_typeES8_S8_S8_S8_S8_S8_S8_EEEEZZNS1_27merge_sort_block_merge_implIS3_NS6_6detail15normal_iteratorINS6_10device_ptrIjEEEENSD_INSE_IS9_EEEEjNS1_19radix_merge_compareILb0ELb1EjNS0_19identity_decomposerEEEEE10hipError_tT0_T1_T2_jT3_P12ihipStream_tbPNSt15iterator_traitsISN_E10value_typeEPNST_ISO_E10value_typeEPSP_NS1_7vsmem_tEENKUlT_SN_SO_SP_E_clIPjSG_PS9_SI_EESM_S12_SN_SO_SP_EUlS12_E0_NS1_11comp_targetILNS1_3genE3ELNS1_11target_archE908ELNS1_3gpuE7ELNS1_3repE0EEENS1_38merge_mergepath_config_static_selectorELNS0_4arch9wavefront6targetE0EEEvSO_.num_named_barrier, 0
	.set _ZN7rocprim17ROCPRIM_400000_NS6detail17trampoline_kernelINS0_14default_configENS1_38merge_sort_block_merge_config_selectorIjN6thrust23THRUST_200600_302600_NS5tupleIffNS6_9null_typeES8_S8_S8_S8_S8_S8_S8_EEEEZZNS1_27merge_sort_block_merge_implIS3_NS6_6detail15normal_iteratorINS6_10device_ptrIjEEEENSD_INSE_IS9_EEEEjNS1_19radix_merge_compareILb0ELb1EjNS0_19identity_decomposerEEEEE10hipError_tT0_T1_T2_jT3_P12ihipStream_tbPNSt15iterator_traitsISN_E10value_typeEPNST_ISO_E10value_typeEPSP_NS1_7vsmem_tEENKUlT_SN_SO_SP_E_clIPjSG_PS9_SI_EESM_S12_SN_SO_SP_EUlS12_E0_NS1_11comp_targetILNS1_3genE3ELNS1_11target_archE908ELNS1_3gpuE7ELNS1_3repE0EEENS1_38merge_mergepath_config_static_selectorELNS0_4arch9wavefront6targetE0EEEvSO_.private_seg_size, 0
	.set _ZN7rocprim17ROCPRIM_400000_NS6detail17trampoline_kernelINS0_14default_configENS1_38merge_sort_block_merge_config_selectorIjN6thrust23THRUST_200600_302600_NS5tupleIffNS6_9null_typeES8_S8_S8_S8_S8_S8_S8_EEEEZZNS1_27merge_sort_block_merge_implIS3_NS6_6detail15normal_iteratorINS6_10device_ptrIjEEEENSD_INSE_IS9_EEEEjNS1_19radix_merge_compareILb0ELb1EjNS0_19identity_decomposerEEEEE10hipError_tT0_T1_T2_jT3_P12ihipStream_tbPNSt15iterator_traitsISN_E10value_typeEPNST_ISO_E10value_typeEPSP_NS1_7vsmem_tEENKUlT_SN_SO_SP_E_clIPjSG_PS9_SI_EESM_S12_SN_SO_SP_EUlS12_E0_NS1_11comp_targetILNS1_3genE3ELNS1_11target_archE908ELNS1_3gpuE7ELNS1_3repE0EEENS1_38merge_mergepath_config_static_selectorELNS0_4arch9wavefront6targetE0EEEvSO_.uses_vcc, 0
	.set _ZN7rocprim17ROCPRIM_400000_NS6detail17trampoline_kernelINS0_14default_configENS1_38merge_sort_block_merge_config_selectorIjN6thrust23THRUST_200600_302600_NS5tupleIffNS6_9null_typeES8_S8_S8_S8_S8_S8_S8_EEEEZZNS1_27merge_sort_block_merge_implIS3_NS6_6detail15normal_iteratorINS6_10device_ptrIjEEEENSD_INSE_IS9_EEEEjNS1_19radix_merge_compareILb0ELb1EjNS0_19identity_decomposerEEEEE10hipError_tT0_T1_T2_jT3_P12ihipStream_tbPNSt15iterator_traitsISN_E10value_typeEPNST_ISO_E10value_typeEPSP_NS1_7vsmem_tEENKUlT_SN_SO_SP_E_clIPjSG_PS9_SI_EESM_S12_SN_SO_SP_EUlS12_E0_NS1_11comp_targetILNS1_3genE3ELNS1_11target_archE908ELNS1_3gpuE7ELNS1_3repE0EEENS1_38merge_mergepath_config_static_selectorELNS0_4arch9wavefront6targetE0EEEvSO_.uses_flat_scratch, 0
	.set _ZN7rocprim17ROCPRIM_400000_NS6detail17trampoline_kernelINS0_14default_configENS1_38merge_sort_block_merge_config_selectorIjN6thrust23THRUST_200600_302600_NS5tupleIffNS6_9null_typeES8_S8_S8_S8_S8_S8_S8_EEEEZZNS1_27merge_sort_block_merge_implIS3_NS6_6detail15normal_iteratorINS6_10device_ptrIjEEEENSD_INSE_IS9_EEEEjNS1_19radix_merge_compareILb0ELb1EjNS0_19identity_decomposerEEEEE10hipError_tT0_T1_T2_jT3_P12ihipStream_tbPNSt15iterator_traitsISN_E10value_typeEPNST_ISO_E10value_typeEPSP_NS1_7vsmem_tEENKUlT_SN_SO_SP_E_clIPjSG_PS9_SI_EESM_S12_SN_SO_SP_EUlS12_E0_NS1_11comp_targetILNS1_3genE3ELNS1_11target_archE908ELNS1_3gpuE7ELNS1_3repE0EEENS1_38merge_mergepath_config_static_selectorELNS0_4arch9wavefront6targetE0EEEvSO_.has_dyn_sized_stack, 0
	.set _ZN7rocprim17ROCPRIM_400000_NS6detail17trampoline_kernelINS0_14default_configENS1_38merge_sort_block_merge_config_selectorIjN6thrust23THRUST_200600_302600_NS5tupleIffNS6_9null_typeES8_S8_S8_S8_S8_S8_S8_EEEEZZNS1_27merge_sort_block_merge_implIS3_NS6_6detail15normal_iteratorINS6_10device_ptrIjEEEENSD_INSE_IS9_EEEEjNS1_19radix_merge_compareILb0ELb1EjNS0_19identity_decomposerEEEEE10hipError_tT0_T1_T2_jT3_P12ihipStream_tbPNSt15iterator_traitsISN_E10value_typeEPNST_ISO_E10value_typeEPSP_NS1_7vsmem_tEENKUlT_SN_SO_SP_E_clIPjSG_PS9_SI_EESM_S12_SN_SO_SP_EUlS12_E0_NS1_11comp_targetILNS1_3genE3ELNS1_11target_archE908ELNS1_3gpuE7ELNS1_3repE0EEENS1_38merge_mergepath_config_static_selectorELNS0_4arch9wavefront6targetE0EEEvSO_.has_recursion, 0
	.set _ZN7rocprim17ROCPRIM_400000_NS6detail17trampoline_kernelINS0_14default_configENS1_38merge_sort_block_merge_config_selectorIjN6thrust23THRUST_200600_302600_NS5tupleIffNS6_9null_typeES8_S8_S8_S8_S8_S8_S8_EEEEZZNS1_27merge_sort_block_merge_implIS3_NS6_6detail15normal_iteratorINS6_10device_ptrIjEEEENSD_INSE_IS9_EEEEjNS1_19radix_merge_compareILb0ELb1EjNS0_19identity_decomposerEEEEE10hipError_tT0_T1_T2_jT3_P12ihipStream_tbPNSt15iterator_traitsISN_E10value_typeEPNST_ISO_E10value_typeEPSP_NS1_7vsmem_tEENKUlT_SN_SO_SP_E_clIPjSG_PS9_SI_EESM_S12_SN_SO_SP_EUlS12_E0_NS1_11comp_targetILNS1_3genE3ELNS1_11target_archE908ELNS1_3gpuE7ELNS1_3repE0EEENS1_38merge_mergepath_config_static_selectorELNS0_4arch9wavefront6targetE0EEEvSO_.has_indirect_call, 0
	.section	.AMDGPU.csdata,"",@progbits
; Kernel info:
; codeLenInByte = 0
; TotalNumSgprs: 0
; NumVgprs: 0
; ScratchSize: 0
; MemoryBound: 0
; FloatMode: 240
; IeeeMode: 1
; LDSByteSize: 0 bytes/workgroup (compile time only)
; SGPRBlocks: 0
; VGPRBlocks: 0
; NumSGPRsForWavesPerEU: 1
; NumVGPRsForWavesPerEU: 1
; Occupancy: 16
; WaveLimiterHint : 0
; COMPUTE_PGM_RSRC2:SCRATCH_EN: 0
; COMPUTE_PGM_RSRC2:USER_SGPR: 2
; COMPUTE_PGM_RSRC2:TRAP_HANDLER: 0
; COMPUTE_PGM_RSRC2:TGID_X_EN: 1
; COMPUTE_PGM_RSRC2:TGID_Y_EN: 0
; COMPUTE_PGM_RSRC2:TGID_Z_EN: 0
; COMPUTE_PGM_RSRC2:TIDIG_COMP_CNT: 0
	.section	.text._ZN7rocprim17ROCPRIM_400000_NS6detail17trampoline_kernelINS0_14default_configENS1_38merge_sort_block_merge_config_selectorIjN6thrust23THRUST_200600_302600_NS5tupleIffNS6_9null_typeES8_S8_S8_S8_S8_S8_S8_EEEEZZNS1_27merge_sort_block_merge_implIS3_NS6_6detail15normal_iteratorINS6_10device_ptrIjEEEENSD_INSE_IS9_EEEEjNS1_19radix_merge_compareILb0ELb1EjNS0_19identity_decomposerEEEEE10hipError_tT0_T1_T2_jT3_P12ihipStream_tbPNSt15iterator_traitsISN_E10value_typeEPNST_ISO_E10value_typeEPSP_NS1_7vsmem_tEENKUlT_SN_SO_SP_E_clIPjSG_PS9_SI_EESM_S12_SN_SO_SP_EUlS12_E0_NS1_11comp_targetILNS1_3genE2ELNS1_11target_archE906ELNS1_3gpuE6ELNS1_3repE0EEENS1_38merge_mergepath_config_static_selectorELNS0_4arch9wavefront6targetE0EEEvSO_,"axG",@progbits,_ZN7rocprim17ROCPRIM_400000_NS6detail17trampoline_kernelINS0_14default_configENS1_38merge_sort_block_merge_config_selectorIjN6thrust23THRUST_200600_302600_NS5tupleIffNS6_9null_typeES8_S8_S8_S8_S8_S8_S8_EEEEZZNS1_27merge_sort_block_merge_implIS3_NS6_6detail15normal_iteratorINS6_10device_ptrIjEEEENSD_INSE_IS9_EEEEjNS1_19radix_merge_compareILb0ELb1EjNS0_19identity_decomposerEEEEE10hipError_tT0_T1_T2_jT3_P12ihipStream_tbPNSt15iterator_traitsISN_E10value_typeEPNST_ISO_E10value_typeEPSP_NS1_7vsmem_tEENKUlT_SN_SO_SP_E_clIPjSG_PS9_SI_EESM_S12_SN_SO_SP_EUlS12_E0_NS1_11comp_targetILNS1_3genE2ELNS1_11target_archE906ELNS1_3gpuE6ELNS1_3repE0EEENS1_38merge_mergepath_config_static_selectorELNS0_4arch9wavefront6targetE0EEEvSO_,comdat
	.protected	_ZN7rocprim17ROCPRIM_400000_NS6detail17trampoline_kernelINS0_14default_configENS1_38merge_sort_block_merge_config_selectorIjN6thrust23THRUST_200600_302600_NS5tupleIffNS6_9null_typeES8_S8_S8_S8_S8_S8_S8_EEEEZZNS1_27merge_sort_block_merge_implIS3_NS6_6detail15normal_iteratorINS6_10device_ptrIjEEEENSD_INSE_IS9_EEEEjNS1_19radix_merge_compareILb0ELb1EjNS0_19identity_decomposerEEEEE10hipError_tT0_T1_T2_jT3_P12ihipStream_tbPNSt15iterator_traitsISN_E10value_typeEPNST_ISO_E10value_typeEPSP_NS1_7vsmem_tEENKUlT_SN_SO_SP_E_clIPjSG_PS9_SI_EESM_S12_SN_SO_SP_EUlS12_E0_NS1_11comp_targetILNS1_3genE2ELNS1_11target_archE906ELNS1_3gpuE6ELNS1_3repE0EEENS1_38merge_mergepath_config_static_selectorELNS0_4arch9wavefront6targetE0EEEvSO_ ; -- Begin function _ZN7rocprim17ROCPRIM_400000_NS6detail17trampoline_kernelINS0_14default_configENS1_38merge_sort_block_merge_config_selectorIjN6thrust23THRUST_200600_302600_NS5tupleIffNS6_9null_typeES8_S8_S8_S8_S8_S8_S8_EEEEZZNS1_27merge_sort_block_merge_implIS3_NS6_6detail15normal_iteratorINS6_10device_ptrIjEEEENSD_INSE_IS9_EEEEjNS1_19radix_merge_compareILb0ELb1EjNS0_19identity_decomposerEEEEE10hipError_tT0_T1_T2_jT3_P12ihipStream_tbPNSt15iterator_traitsISN_E10value_typeEPNST_ISO_E10value_typeEPSP_NS1_7vsmem_tEENKUlT_SN_SO_SP_E_clIPjSG_PS9_SI_EESM_S12_SN_SO_SP_EUlS12_E0_NS1_11comp_targetILNS1_3genE2ELNS1_11target_archE906ELNS1_3gpuE6ELNS1_3repE0EEENS1_38merge_mergepath_config_static_selectorELNS0_4arch9wavefront6targetE0EEEvSO_
	.globl	_ZN7rocprim17ROCPRIM_400000_NS6detail17trampoline_kernelINS0_14default_configENS1_38merge_sort_block_merge_config_selectorIjN6thrust23THRUST_200600_302600_NS5tupleIffNS6_9null_typeES8_S8_S8_S8_S8_S8_S8_EEEEZZNS1_27merge_sort_block_merge_implIS3_NS6_6detail15normal_iteratorINS6_10device_ptrIjEEEENSD_INSE_IS9_EEEEjNS1_19radix_merge_compareILb0ELb1EjNS0_19identity_decomposerEEEEE10hipError_tT0_T1_T2_jT3_P12ihipStream_tbPNSt15iterator_traitsISN_E10value_typeEPNST_ISO_E10value_typeEPSP_NS1_7vsmem_tEENKUlT_SN_SO_SP_E_clIPjSG_PS9_SI_EESM_S12_SN_SO_SP_EUlS12_E0_NS1_11comp_targetILNS1_3genE2ELNS1_11target_archE906ELNS1_3gpuE6ELNS1_3repE0EEENS1_38merge_mergepath_config_static_selectorELNS0_4arch9wavefront6targetE0EEEvSO_
	.p2align	8
	.type	_ZN7rocprim17ROCPRIM_400000_NS6detail17trampoline_kernelINS0_14default_configENS1_38merge_sort_block_merge_config_selectorIjN6thrust23THRUST_200600_302600_NS5tupleIffNS6_9null_typeES8_S8_S8_S8_S8_S8_S8_EEEEZZNS1_27merge_sort_block_merge_implIS3_NS6_6detail15normal_iteratorINS6_10device_ptrIjEEEENSD_INSE_IS9_EEEEjNS1_19radix_merge_compareILb0ELb1EjNS0_19identity_decomposerEEEEE10hipError_tT0_T1_T2_jT3_P12ihipStream_tbPNSt15iterator_traitsISN_E10value_typeEPNST_ISO_E10value_typeEPSP_NS1_7vsmem_tEENKUlT_SN_SO_SP_E_clIPjSG_PS9_SI_EESM_S12_SN_SO_SP_EUlS12_E0_NS1_11comp_targetILNS1_3genE2ELNS1_11target_archE906ELNS1_3gpuE6ELNS1_3repE0EEENS1_38merge_mergepath_config_static_selectorELNS0_4arch9wavefront6targetE0EEEvSO_,@function
_ZN7rocprim17ROCPRIM_400000_NS6detail17trampoline_kernelINS0_14default_configENS1_38merge_sort_block_merge_config_selectorIjN6thrust23THRUST_200600_302600_NS5tupleIffNS6_9null_typeES8_S8_S8_S8_S8_S8_S8_EEEEZZNS1_27merge_sort_block_merge_implIS3_NS6_6detail15normal_iteratorINS6_10device_ptrIjEEEENSD_INSE_IS9_EEEEjNS1_19radix_merge_compareILb0ELb1EjNS0_19identity_decomposerEEEEE10hipError_tT0_T1_T2_jT3_P12ihipStream_tbPNSt15iterator_traitsISN_E10value_typeEPNST_ISO_E10value_typeEPSP_NS1_7vsmem_tEENKUlT_SN_SO_SP_E_clIPjSG_PS9_SI_EESM_S12_SN_SO_SP_EUlS12_E0_NS1_11comp_targetILNS1_3genE2ELNS1_11target_archE906ELNS1_3gpuE6ELNS1_3repE0EEENS1_38merge_mergepath_config_static_selectorELNS0_4arch9wavefront6targetE0EEEvSO_: ; @_ZN7rocprim17ROCPRIM_400000_NS6detail17trampoline_kernelINS0_14default_configENS1_38merge_sort_block_merge_config_selectorIjN6thrust23THRUST_200600_302600_NS5tupleIffNS6_9null_typeES8_S8_S8_S8_S8_S8_S8_EEEEZZNS1_27merge_sort_block_merge_implIS3_NS6_6detail15normal_iteratorINS6_10device_ptrIjEEEENSD_INSE_IS9_EEEEjNS1_19radix_merge_compareILb0ELb1EjNS0_19identity_decomposerEEEEE10hipError_tT0_T1_T2_jT3_P12ihipStream_tbPNSt15iterator_traitsISN_E10value_typeEPNST_ISO_E10value_typeEPSP_NS1_7vsmem_tEENKUlT_SN_SO_SP_E_clIPjSG_PS9_SI_EESM_S12_SN_SO_SP_EUlS12_E0_NS1_11comp_targetILNS1_3genE2ELNS1_11target_archE906ELNS1_3gpuE6ELNS1_3repE0EEENS1_38merge_mergepath_config_static_selectorELNS0_4arch9wavefront6targetE0EEEvSO_
; %bb.0:
	.section	.rodata,"a",@progbits
	.p2align	6, 0x0
	.amdhsa_kernel _ZN7rocprim17ROCPRIM_400000_NS6detail17trampoline_kernelINS0_14default_configENS1_38merge_sort_block_merge_config_selectorIjN6thrust23THRUST_200600_302600_NS5tupleIffNS6_9null_typeES8_S8_S8_S8_S8_S8_S8_EEEEZZNS1_27merge_sort_block_merge_implIS3_NS6_6detail15normal_iteratorINS6_10device_ptrIjEEEENSD_INSE_IS9_EEEEjNS1_19radix_merge_compareILb0ELb1EjNS0_19identity_decomposerEEEEE10hipError_tT0_T1_T2_jT3_P12ihipStream_tbPNSt15iterator_traitsISN_E10value_typeEPNST_ISO_E10value_typeEPSP_NS1_7vsmem_tEENKUlT_SN_SO_SP_E_clIPjSG_PS9_SI_EESM_S12_SN_SO_SP_EUlS12_E0_NS1_11comp_targetILNS1_3genE2ELNS1_11target_archE906ELNS1_3gpuE6ELNS1_3repE0EEENS1_38merge_mergepath_config_static_selectorELNS0_4arch9wavefront6targetE0EEEvSO_
		.amdhsa_group_segment_fixed_size 0
		.amdhsa_private_segment_fixed_size 0
		.amdhsa_kernarg_size 64
		.amdhsa_user_sgpr_count 2
		.amdhsa_user_sgpr_dispatch_ptr 0
		.amdhsa_user_sgpr_queue_ptr 0
		.amdhsa_user_sgpr_kernarg_segment_ptr 1
		.amdhsa_user_sgpr_dispatch_id 0
		.amdhsa_user_sgpr_private_segment_size 0
		.amdhsa_wavefront_size32 1
		.amdhsa_uses_dynamic_stack 0
		.amdhsa_enable_private_segment 0
		.amdhsa_system_sgpr_workgroup_id_x 1
		.amdhsa_system_sgpr_workgroup_id_y 0
		.amdhsa_system_sgpr_workgroup_id_z 0
		.amdhsa_system_sgpr_workgroup_info 0
		.amdhsa_system_vgpr_workitem_id 0
		.amdhsa_next_free_vgpr 1
		.amdhsa_next_free_sgpr 1
		.amdhsa_reserve_vcc 0
		.amdhsa_float_round_mode_32 0
		.amdhsa_float_round_mode_16_64 0
		.amdhsa_float_denorm_mode_32 3
		.amdhsa_float_denorm_mode_16_64 3
		.amdhsa_fp16_overflow 0
		.amdhsa_workgroup_processor_mode 1
		.amdhsa_memory_ordered 1
		.amdhsa_forward_progress 1
		.amdhsa_inst_pref_size 0
		.amdhsa_round_robin_scheduling 0
		.amdhsa_exception_fp_ieee_invalid_op 0
		.amdhsa_exception_fp_denorm_src 0
		.amdhsa_exception_fp_ieee_div_zero 0
		.amdhsa_exception_fp_ieee_overflow 0
		.amdhsa_exception_fp_ieee_underflow 0
		.amdhsa_exception_fp_ieee_inexact 0
		.amdhsa_exception_int_div_zero 0
	.end_amdhsa_kernel
	.section	.text._ZN7rocprim17ROCPRIM_400000_NS6detail17trampoline_kernelINS0_14default_configENS1_38merge_sort_block_merge_config_selectorIjN6thrust23THRUST_200600_302600_NS5tupleIffNS6_9null_typeES8_S8_S8_S8_S8_S8_S8_EEEEZZNS1_27merge_sort_block_merge_implIS3_NS6_6detail15normal_iteratorINS6_10device_ptrIjEEEENSD_INSE_IS9_EEEEjNS1_19radix_merge_compareILb0ELb1EjNS0_19identity_decomposerEEEEE10hipError_tT0_T1_T2_jT3_P12ihipStream_tbPNSt15iterator_traitsISN_E10value_typeEPNST_ISO_E10value_typeEPSP_NS1_7vsmem_tEENKUlT_SN_SO_SP_E_clIPjSG_PS9_SI_EESM_S12_SN_SO_SP_EUlS12_E0_NS1_11comp_targetILNS1_3genE2ELNS1_11target_archE906ELNS1_3gpuE6ELNS1_3repE0EEENS1_38merge_mergepath_config_static_selectorELNS0_4arch9wavefront6targetE0EEEvSO_,"axG",@progbits,_ZN7rocprim17ROCPRIM_400000_NS6detail17trampoline_kernelINS0_14default_configENS1_38merge_sort_block_merge_config_selectorIjN6thrust23THRUST_200600_302600_NS5tupleIffNS6_9null_typeES8_S8_S8_S8_S8_S8_S8_EEEEZZNS1_27merge_sort_block_merge_implIS3_NS6_6detail15normal_iteratorINS6_10device_ptrIjEEEENSD_INSE_IS9_EEEEjNS1_19radix_merge_compareILb0ELb1EjNS0_19identity_decomposerEEEEE10hipError_tT0_T1_T2_jT3_P12ihipStream_tbPNSt15iterator_traitsISN_E10value_typeEPNST_ISO_E10value_typeEPSP_NS1_7vsmem_tEENKUlT_SN_SO_SP_E_clIPjSG_PS9_SI_EESM_S12_SN_SO_SP_EUlS12_E0_NS1_11comp_targetILNS1_3genE2ELNS1_11target_archE906ELNS1_3gpuE6ELNS1_3repE0EEENS1_38merge_mergepath_config_static_selectorELNS0_4arch9wavefront6targetE0EEEvSO_,comdat
.Lfunc_end104:
	.size	_ZN7rocprim17ROCPRIM_400000_NS6detail17trampoline_kernelINS0_14default_configENS1_38merge_sort_block_merge_config_selectorIjN6thrust23THRUST_200600_302600_NS5tupleIffNS6_9null_typeES8_S8_S8_S8_S8_S8_S8_EEEEZZNS1_27merge_sort_block_merge_implIS3_NS6_6detail15normal_iteratorINS6_10device_ptrIjEEEENSD_INSE_IS9_EEEEjNS1_19radix_merge_compareILb0ELb1EjNS0_19identity_decomposerEEEEE10hipError_tT0_T1_T2_jT3_P12ihipStream_tbPNSt15iterator_traitsISN_E10value_typeEPNST_ISO_E10value_typeEPSP_NS1_7vsmem_tEENKUlT_SN_SO_SP_E_clIPjSG_PS9_SI_EESM_S12_SN_SO_SP_EUlS12_E0_NS1_11comp_targetILNS1_3genE2ELNS1_11target_archE906ELNS1_3gpuE6ELNS1_3repE0EEENS1_38merge_mergepath_config_static_selectorELNS0_4arch9wavefront6targetE0EEEvSO_, .Lfunc_end104-_ZN7rocprim17ROCPRIM_400000_NS6detail17trampoline_kernelINS0_14default_configENS1_38merge_sort_block_merge_config_selectorIjN6thrust23THRUST_200600_302600_NS5tupleIffNS6_9null_typeES8_S8_S8_S8_S8_S8_S8_EEEEZZNS1_27merge_sort_block_merge_implIS3_NS6_6detail15normal_iteratorINS6_10device_ptrIjEEEENSD_INSE_IS9_EEEEjNS1_19radix_merge_compareILb0ELb1EjNS0_19identity_decomposerEEEEE10hipError_tT0_T1_T2_jT3_P12ihipStream_tbPNSt15iterator_traitsISN_E10value_typeEPNST_ISO_E10value_typeEPSP_NS1_7vsmem_tEENKUlT_SN_SO_SP_E_clIPjSG_PS9_SI_EESM_S12_SN_SO_SP_EUlS12_E0_NS1_11comp_targetILNS1_3genE2ELNS1_11target_archE906ELNS1_3gpuE6ELNS1_3repE0EEENS1_38merge_mergepath_config_static_selectorELNS0_4arch9wavefront6targetE0EEEvSO_
                                        ; -- End function
	.set _ZN7rocprim17ROCPRIM_400000_NS6detail17trampoline_kernelINS0_14default_configENS1_38merge_sort_block_merge_config_selectorIjN6thrust23THRUST_200600_302600_NS5tupleIffNS6_9null_typeES8_S8_S8_S8_S8_S8_S8_EEEEZZNS1_27merge_sort_block_merge_implIS3_NS6_6detail15normal_iteratorINS6_10device_ptrIjEEEENSD_INSE_IS9_EEEEjNS1_19radix_merge_compareILb0ELb1EjNS0_19identity_decomposerEEEEE10hipError_tT0_T1_T2_jT3_P12ihipStream_tbPNSt15iterator_traitsISN_E10value_typeEPNST_ISO_E10value_typeEPSP_NS1_7vsmem_tEENKUlT_SN_SO_SP_E_clIPjSG_PS9_SI_EESM_S12_SN_SO_SP_EUlS12_E0_NS1_11comp_targetILNS1_3genE2ELNS1_11target_archE906ELNS1_3gpuE6ELNS1_3repE0EEENS1_38merge_mergepath_config_static_selectorELNS0_4arch9wavefront6targetE0EEEvSO_.num_vgpr, 0
	.set _ZN7rocprim17ROCPRIM_400000_NS6detail17trampoline_kernelINS0_14default_configENS1_38merge_sort_block_merge_config_selectorIjN6thrust23THRUST_200600_302600_NS5tupleIffNS6_9null_typeES8_S8_S8_S8_S8_S8_S8_EEEEZZNS1_27merge_sort_block_merge_implIS3_NS6_6detail15normal_iteratorINS6_10device_ptrIjEEEENSD_INSE_IS9_EEEEjNS1_19radix_merge_compareILb0ELb1EjNS0_19identity_decomposerEEEEE10hipError_tT0_T1_T2_jT3_P12ihipStream_tbPNSt15iterator_traitsISN_E10value_typeEPNST_ISO_E10value_typeEPSP_NS1_7vsmem_tEENKUlT_SN_SO_SP_E_clIPjSG_PS9_SI_EESM_S12_SN_SO_SP_EUlS12_E0_NS1_11comp_targetILNS1_3genE2ELNS1_11target_archE906ELNS1_3gpuE6ELNS1_3repE0EEENS1_38merge_mergepath_config_static_selectorELNS0_4arch9wavefront6targetE0EEEvSO_.num_agpr, 0
	.set _ZN7rocprim17ROCPRIM_400000_NS6detail17trampoline_kernelINS0_14default_configENS1_38merge_sort_block_merge_config_selectorIjN6thrust23THRUST_200600_302600_NS5tupleIffNS6_9null_typeES8_S8_S8_S8_S8_S8_S8_EEEEZZNS1_27merge_sort_block_merge_implIS3_NS6_6detail15normal_iteratorINS6_10device_ptrIjEEEENSD_INSE_IS9_EEEEjNS1_19radix_merge_compareILb0ELb1EjNS0_19identity_decomposerEEEEE10hipError_tT0_T1_T2_jT3_P12ihipStream_tbPNSt15iterator_traitsISN_E10value_typeEPNST_ISO_E10value_typeEPSP_NS1_7vsmem_tEENKUlT_SN_SO_SP_E_clIPjSG_PS9_SI_EESM_S12_SN_SO_SP_EUlS12_E0_NS1_11comp_targetILNS1_3genE2ELNS1_11target_archE906ELNS1_3gpuE6ELNS1_3repE0EEENS1_38merge_mergepath_config_static_selectorELNS0_4arch9wavefront6targetE0EEEvSO_.numbered_sgpr, 0
	.set _ZN7rocprim17ROCPRIM_400000_NS6detail17trampoline_kernelINS0_14default_configENS1_38merge_sort_block_merge_config_selectorIjN6thrust23THRUST_200600_302600_NS5tupleIffNS6_9null_typeES8_S8_S8_S8_S8_S8_S8_EEEEZZNS1_27merge_sort_block_merge_implIS3_NS6_6detail15normal_iteratorINS6_10device_ptrIjEEEENSD_INSE_IS9_EEEEjNS1_19radix_merge_compareILb0ELb1EjNS0_19identity_decomposerEEEEE10hipError_tT0_T1_T2_jT3_P12ihipStream_tbPNSt15iterator_traitsISN_E10value_typeEPNST_ISO_E10value_typeEPSP_NS1_7vsmem_tEENKUlT_SN_SO_SP_E_clIPjSG_PS9_SI_EESM_S12_SN_SO_SP_EUlS12_E0_NS1_11comp_targetILNS1_3genE2ELNS1_11target_archE906ELNS1_3gpuE6ELNS1_3repE0EEENS1_38merge_mergepath_config_static_selectorELNS0_4arch9wavefront6targetE0EEEvSO_.num_named_barrier, 0
	.set _ZN7rocprim17ROCPRIM_400000_NS6detail17trampoline_kernelINS0_14default_configENS1_38merge_sort_block_merge_config_selectorIjN6thrust23THRUST_200600_302600_NS5tupleIffNS6_9null_typeES8_S8_S8_S8_S8_S8_S8_EEEEZZNS1_27merge_sort_block_merge_implIS3_NS6_6detail15normal_iteratorINS6_10device_ptrIjEEEENSD_INSE_IS9_EEEEjNS1_19radix_merge_compareILb0ELb1EjNS0_19identity_decomposerEEEEE10hipError_tT0_T1_T2_jT3_P12ihipStream_tbPNSt15iterator_traitsISN_E10value_typeEPNST_ISO_E10value_typeEPSP_NS1_7vsmem_tEENKUlT_SN_SO_SP_E_clIPjSG_PS9_SI_EESM_S12_SN_SO_SP_EUlS12_E0_NS1_11comp_targetILNS1_3genE2ELNS1_11target_archE906ELNS1_3gpuE6ELNS1_3repE0EEENS1_38merge_mergepath_config_static_selectorELNS0_4arch9wavefront6targetE0EEEvSO_.private_seg_size, 0
	.set _ZN7rocprim17ROCPRIM_400000_NS6detail17trampoline_kernelINS0_14default_configENS1_38merge_sort_block_merge_config_selectorIjN6thrust23THRUST_200600_302600_NS5tupleIffNS6_9null_typeES8_S8_S8_S8_S8_S8_S8_EEEEZZNS1_27merge_sort_block_merge_implIS3_NS6_6detail15normal_iteratorINS6_10device_ptrIjEEEENSD_INSE_IS9_EEEEjNS1_19radix_merge_compareILb0ELb1EjNS0_19identity_decomposerEEEEE10hipError_tT0_T1_T2_jT3_P12ihipStream_tbPNSt15iterator_traitsISN_E10value_typeEPNST_ISO_E10value_typeEPSP_NS1_7vsmem_tEENKUlT_SN_SO_SP_E_clIPjSG_PS9_SI_EESM_S12_SN_SO_SP_EUlS12_E0_NS1_11comp_targetILNS1_3genE2ELNS1_11target_archE906ELNS1_3gpuE6ELNS1_3repE0EEENS1_38merge_mergepath_config_static_selectorELNS0_4arch9wavefront6targetE0EEEvSO_.uses_vcc, 0
	.set _ZN7rocprim17ROCPRIM_400000_NS6detail17trampoline_kernelINS0_14default_configENS1_38merge_sort_block_merge_config_selectorIjN6thrust23THRUST_200600_302600_NS5tupleIffNS6_9null_typeES8_S8_S8_S8_S8_S8_S8_EEEEZZNS1_27merge_sort_block_merge_implIS3_NS6_6detail15normal_iteratorINS6_10device_ptrIjEEEENSD_INSE_IS9_EEEEjNS1_19radix_merge_compareILb0ELb1EjNS0_19identity_decomposerEEEEE10hipError_tT0_T1_T2_jT3_P12ihipStream_tbPNSt15iterator_traitsISN_E10value_typeEPNST_ISO_E10value_typeEPSP_NS1_7vsmem_tEENKUlT_SN_SO_SP_E_clIPjSG_PS9_SI_EESM_S12_SN_SO_SP_EUlS12_E0_NS1_11comp_targetILNS1_3genE2ELNS1_11target_archE906ELNS1_3gpuE6ELNS1_3repE0EEENS1_38merge_mergepath_config_static_selectorELNS0_4arch9wavefront6targetE0EEEvSO_.uses_flat_scratch, 0
	.set _ZN7rocprim17ROCPRIM_400000_NS6detail17trampoline_kernelINS0_14default_configENS1_38merge_sort_block_merge_config_selectorIjN6thrust23THRUST_200600_302600_NS5tupleIffNS6_9null_typeES8_S8_S8_S8_S8_S8_S8_EEEEZZNS1_27merge_sort_block_merge_implIS3_NS6_6detail15normal_iteratorINS6_10device_ptrIjEEEENSD_INSE_IS9_EEEEjNS1_19radix_merge_compareILb0ELb1EjNS0_19identity_decomposerEEEEE10hipError_tT0_T1_T2_jT3_P12ihipStream_tbPNSt15iterator_traitsISN_E10value_typeEPNST_ISO_E10value_typeEPSP_NS1_7vsmem_tEENKUlT_SN_SO_SP_E_clIPjSG_PS9_SI_EESM_S12_SN_SO_SP_EUlS12_E0_NS1_11comp_targetILNS1_3genE2ELNS1_11target_archE906ELNS1_3gpuE6ELNS1_3repE0EEENS1_38merge_mergepath_config_static_selectorELNS0_4arch9wavefront6targetE0EEEvSO_.has_dyn_sized_stack, 0
	.set _ZN7rocprim17ROCPRIM_400000_NS6detail17trampoline_kernelINS0_14default_configENS1_38merge_sort_block_merge_config_selectorIjN6thrust23THRUST_200600_302600_NS5tupleIffNS6_9null_typeES8_S8_S8_S8_S8_S8_S8_EEEEZZNS1_27merge_sort_block_merge_implIS3_NS6_6detail15normal_iteratorINS6_10device_ptrIjEEEENSD_INSE_IS9_EEEEjNS1_19radix_merge_compareILb0ELb1EjNS0_19identity_decomposerEEEEE10hipError_tT0_T1_T2_jT3_P12ihipStream_tbPNSt15iterator_traitsISN_E10value_typeEPNST_ISO_E10value_typeEPSP_NS1_7vsmem_tEENKUlT_SN_SO_SP_E_clIPjSG_PS9_SI_EESM_S12_SN_SO_SP_EUlS12_E0_NS1_11comp_targetILNS1_3genE2ELNS1_11target_archE906ELNS1_3gpuE6ELNS1_3repE0EEENS1_38merge_mergepath_config_static_selectorELNS0_4arch9wavefront6targetE0EEEvSO_.has_recursion, 0
	.set _ZN7rocprim17ROCPRIM_400000_NS6detail17trampoline_kernelINS0_14default_configENS1_38merge_sort_block_merge_config_selectorIjN6thrust23THRUST_200600_302600_NS5tupleIffNS6_9null_typeES8_S8_S8_S8_S8_S8_S8_EEEEZZNS1_27merge_sort_block_merge_implIS3_NS6_6detail15normal_iteratorINS6_10device_ptrIjEEEENSD_INSE_IS9_EEEEjNS1_19radix_merge_compareILb0ELb1EjNS0_19identity_decomposerEEEEE10hipError_tT0_T1_T2_jT3_P12ihipStream_tbPNSt15iterator_traitsISN_E10value_typeEPNST_ISO_E10value_typeEPSP_NS1_7vsmem_tEENKUlT_SN_SO_SP_E_clIPjSG_PS9_SI_EESM_S12_SN_SO_SP_EUlS12_E0_NS1_11comp_targetILNS1_3genE2ELNS1_11target_archE906ELNS1_3gpuE6ELNS1_3repE0EEENS1_38merge_mergepath_config_static_selectorELNS0_4arch9wavefront6targetE0EEEvSO_.has_indirect_call, 0
	.section	.AMDGPU.csdata,"",@progbits
; Kernel info:
; codeLenInByte = 0
; TotalNumSgprs: 0
; NumVgprs: 0
; ScratchSize: 0
; MemoryBound: 0
; FloatMode: 240
; IeeeMode: 1
; LDSByteSize: 0 bytes/workgroup (compile time only)
; SGPRBlocks: 0
; VGPRBlocks: 0
; NumSGPRsForWavesPerEU: 1
; NumVGPRsForWavesPerEU: 1
; Occupancy: 16
; WaveLimiterHint : 0
; COMPUTE_PGM_RSRC2:SCRATCH_EN: 0
; COMPUTE_PGM_RSRC2:USER_SGPR: 2
; COMPUTE_PGM_RSRC2:TRAP_HANDLER: 0
; COMPUTE_PGM_RSRC2:TGID_X_EN: 1
; COMPUTE_PGM_RSRC2:TGID_Y_EN: 0
; COMPUTE_PGM_RSRC2:TGID_Z_EN: 0
; COMPUTE_PGM_RSRC2:TIDIG_COMP_CNT: 0
	.section	.text._ZN7rocprim17ROCPRIM_400000_NS6detail17trampoline_kernelINS0_14default_configENS1_38merge_sort_block_merge_config_selectorIjN6thrust23THRUST_200600_302600_NS5tupleIffNS6_9null_typeES8_S8_S8_S8_S8_S8_S8_EEEEZZNS1_27merge_sort_block_merge_implIS3_NS6_6detail15normal_iteratorINS6_10device_ptrIjEEEENSD_INSE_IS9_EEEEjNS1_19radix_merge_compareILb0ELb1EjNS0_19identity_decomposerEEEEE10hipError_tT0_T1_T2_jT3_P12ihipStream_tbPNSt15iterator_traitsISN_E10value_typeEPNST_ISO_E10value_typeEPSP_NS1_7vsmem_tEENKUlT_SN_SO_SP_E_clIPjSG_PS9_SI_EESM_S12_SN_SO_SP_EUlS12_E0_NS1_11comp_targetILNS1_3genE9ELNS1_11target_archE1100ELNS1_3gpuE3ELNS1_3repE0EEENS1_38merge_mergepath_config_static_selectorELNS0_4arch9wavefront6targetE0EEEvSO_,"axG",@progbits,_ZN7rocprim17ROCPRIM_400000_NS6detail17trampoline_kernelINS0_14default_configENS1_38merge_sort_block_merge_config_selectorIjN6thrust23THRUST_200600_302600_NS5tupleIffNS6_9null_typeES8_S8_S8_S8_S8_S8_S8_EEEEZZNS1_27merge_sort_block_merge_implIS3_NS6_6detail15normal_iteratorINS6_10device_ptrIjEEEENSD_INSE_IS9_EEEEjNS1_19radix_merge_compareILb0ELb1EjNS0_19identity_decomposerEEEEE10hipError_tT0_T1_T2_jT3_P12ihipStream_tbPNSt15iterator_traitsISN_E10value_typeEPNST_ISO_E10value_typeEPSP_NS1_7vsmem_tEENKUlT_SN_SO_SP_E_clIPjSG_PS9_SI_EESM_S12_SN_SO_SP_EUlS12_E0_NS1_11comp_targetILNS1_3genE9ELNS1_11target_archE1100ELNS1_3gpuE3ELNS1_3repE0EEENS1_38merge_mergepath_config_static_selectorELNS0_4arch9wavefront6targetE0EEEvSO_,comdat
	.protected	_ZN7rocprim17ROCPRIM_400000_NS6detail17trampoline_kernelINS0_14default_configENS1_38merge_sort_block_merge_config_selectorIjN6thrust23THRUST_200600_302600_NS5tupleIffNS6_9null_typeES8_S8_S8_S8_S8_S8_S8_EEEEZZNS1_27merge_sort_block_merge_implIS3_NS6_6detail15normal_iteratorINS6_10device_ptrIjEEEENSD_INSE_IS9_EEEEjNS1_19radix_merge_compareILb0ELb1EjNS0_19identity_decomposerEEEEE10hipError_tT0_T1_T2_jT3_P12ihipStream_tbPNSt15iterator_traitsISN_E10value_typeEPNST_ISO_E10value_typeEPSP_NS1_7vsmem_tEENKUlT_SN_SO_SP_E_clIPjSG_PS9_SI_EESM_S12_SN_SO_SP_EUlS12_E0_NS1_11comp_targetILNS1_3genE9ELNS1_11target_archE1100ELNS1_3gpuE3ELNS1_3repE0EEENS1_38merge_mergepath_config_static_selectorELNS0_4arch9wavefront6targetE0EEEvSO_ ; -- Begin function _ZN7rocprim17ROCPRIM_400000_NS6detail17trampoline_kernelINS0_14default_configENS1_38merge_sort_block_merge_config_selectorIjN6thrust23THRUST_200600_302600_NS5tupleIffNS6_9null_typeES8_S8_S8_S8_S8_S8_S8_EEEEZZNS1_27merge_sort_block_merge_implIS3_NS6_6detail15normal_iteratorINS6_10device_ptrIjEEEENSD_INSE_IS9_EEEEjNS1_19radix_merge_compareILb0ELb1EjNS0_19identity_decomposerEEEEE10hipError_tT0_T1_T2_jT3_P12ihipStream_tbPNSt15iterator_traitsISN_E10value_typeEPNST_ISO_E10value_typeEPSP_NS1_7vsmem_tEENKUlT_SN_SO_SP_E_clIPjSG_PS9_SI_EESM_S12_SN_SO_SP_EUlS12_E0_NS1_11comp_targetILNS1_3genE9ELNS1_11target_archE1100ELNS1_3gpuE3ELNS1_3repE0EEENS1_38merge_mergepath_config_static_selectorELNS0_4arch9wavefront6targetE0EEEvSO_
	.globl	_ZN7rocprim17ROCPRIM_400000_NS6detail17trampoline_kernelINS0_14default_configENS1_38merge_sort_block_merge_config_selectorIjN6thrust23THRUST_200600_302600_NS5tupleIffNS6_9null_typeES8_S8_S8_S8_S8_S8_S8_EEEEZZNS1_27merge_sort_block_merge_implIS3_NS6_6detail15normal_iteratorINS6_10device_ptrIjEEEENSD_INSE_IS9_EEEEjNS1_19radix_merge_compareILb0ELb1EjNS0_19identity_decomposerEEEEE10hipError_tT0_T1_T2_jT3_P12ihipStream_tbPNSt15iterator_traitsISN_E10value_typeEPNST_ISO_E10value_typeEPSP_NS1_7vsmem_tEENKUlT_SN_SO_SP_E_clIPjSG_PS9_SI_EESM_S12_SN_SO_SP_EUlS12_E0_NS1_11comp_targetILNS1_3genE9ELNS1_11target_archE1100ELNS1_3gpuE3ELNS1_3repE0EEENS1_38merge_mergepath_config_static_selectorELNS0_4arch9wavefront6targetE0EEEvSO_
	.p2align	8
	.type	_ZN7rocprim17ROCPRIM_400000_NS6detail17trampoline_kernelINS0_14default_configENS1_38merge_sort_block_merge_config_selectorIjN6thrust23THRUST_200600_302600_NS5tupleIffNS6_9null_typeES8_S8_S8_S8_S8_S8_S8_EEEEZZNS1_27merge_sort_block_merge_implIS3_NS6_6detail15normal_iteratorINS6_10device_ptrIjEEEENSD_INSE_IS9_EEEEjNS1_19radix_merge_compareILb0ELb1EjNS0_19identity_decomposerEEEEE10hipError_tT0_T1_T2_jT3_P12ihipStream_tbPNSt15iterator_traitsISN_E10value_typeEPNST_ISO_E10value_typeEPSP_NS1_7vsmem_tEENKUlT_SN_SO_SP_E_clIPjSG_PS9_SI_EESM_S12_SN_SO_SP_EUlS12_E0_NS1_11comp_targetILNS1_3genE9ELNS1_11target_archE1100ELNS1_3gpuE3ELNS1_3repE0EEENS1_38merge_mergepath_config_static_selectorELNS0_4arch9wavefront6targetE0EEEvSO_,@function
_ZN7rocprim17ROCPRIM_400000_NS6detail17trampoline_kernelINS0_14default_configENS1_38merge_sort_block_merge_config_selectorIjN6thrust23THRUST_200600_302600_NS5tupleIffNS6_9null_typeES8_S8_S8_S8_S8_S8_S8_EEEEZZNS1_27merge_sort_block_merge_implIS3_NS6_6detail15normal_iteratorINS6_10device_ptrIjEEEENSD_INSE_IS9_EEEEjNS1_19radix_merge_compareILb0ELb1EjNS0_19identity_decomposerEEEEE10hipError_tT0_T1_T2_jT3_P12ihipStream_tbPNSt15iterator_traitsISN_E10value_typeEPNST_ISO_E10value_typeEPSP_NS1_7vsmem_tEENKUlT_SN_SO_SP_E_clIPjSG_PS9_SI_EESM_S12_SN_SO_SP_EUlS12_E0_NS1_11comp_targetILNS1_3genE9ELNS1_11target_archE1100ELNS1_3gpuE3ELNS1_3repE0EEENS1_38merge_mergepath_config_static_selectorELNS0_4arch9wavefront6targetE0EEEvSO_: ; @_ZN7rocprim17ROCPRIM_400000_NS6detail17trampoline_kernelINS0_14default_configENS1_38merge_sort_block_merge_config_selectorIjN6thrust23THRUST_200600_302600_NS5tupleIffNS6_9null_typeES8_S8_S8_S8_S8_S8_S8_EEEEZZNS1_27merge_sort_block_merge_implIS3_NS6_6detail15normal_iteratorINS6_10device_ptrIjEEEENSD_INSE_IS9_EEEEjNS1_19radix_merge_compareILb0ELb1EjNS0_19identity_decomposerEEEEE10hipError_tT0_T1_T2_jT3_P12ihipStream_tbPNSt15iterator_traitsISN_E10value_typeEPNST_ISO_E10value_typeEPSP_NS1_7vsmem_tEENKUlT_SN_SO_SP_E_clIPjSG_PS9_SI_EESM_S12_SN_SO_SP_EUlS12_E0_NS1_11comp_targetILNS1_3genE9ELNS1_11target_archE1100ELNS1_3gpuE3ELNS1_3repE0EEENS1_38merge_mergepath_config_static_selectorELNS0_4arch9wavefront6targetE0EEEvSO_
; %bb.0:
	.section	.rodata,"a",@progbits
	.p2align	6, 0x0
	.amdhsa_kernel _ZN7rocprim17ROCPRIM_400000_NS6detail17trampoline_kernelINS0_14default_configENS1_38merge_sort_block_merge_config_selectorIjN6thrust23THRUST_200600_302600_NS5tupleIffNS6_9null_typeES8_S8_S8_S8_S8_S8_S8_EEEEZZNS1_27merge_sort_block_merge_implIS3_NS6_6detail15normal_iteratorINS6_10device_ptrIjEEEENSD_INSE_IS9_EEEEjNS1_19radix_merge_compareILb0ELb1EjNS0_19identity_decomposerEEEEE10hipError_tT0_T1_T2_jT3_P12ihipStream_tbPNSt15iterator_traitsISN_E10value_typeEPNST_ISO_E10value_typeEPSP_NS1_7vsmem_tEENKUlT_SN_SO_SP_E_clIPjSG_PS9_SI_EESM_S12_SN_SO_SP_EUlS12_E0_NS1_11comp_targetILNS1_3genE9ELNS1_11target_archE1100ELNS1_3gpuE3ELNS1_3repE0EEENS1_38merge_mergepath_config_static_selectorELNS0_4arch9wavefront6targetE0EEEvSO_
		.amdhsa_group_segment_fixed_size 0
		.amdhsa_private_segment_fixed_size 0
		.amdhsa_kernarg_size 64
		.amdhsa_user_sgpr_count 2
		.amdhsa_user_sgpr_dispatch_ptr 0
		.amdhsa_user_sgpr_queue_ptr 0
		.amdhsa_user_sgpr_kernarg_segment_ptr 1
		.amdhsa_user_sgpr_dispatch_id 0
		.amdhsa_user_sgpr_private_segment_size 0
		.amdhsa_wavefront_size32 1
		.amdhsa_uses_dynamic_stack 0
		.amdhsa_enable_private_segment 0
		.amdhsa_system_sgpr_workgroup_id_x 1
		.amdhsa_system_sgpr_workgroup_id_y 0
		.amdhsa_system_sgpr_workgroup_id_z 0
		.amdhsa_system_sgpr_workgroup_info 0
		.amdhsa_system_vgpr_workitem_id 0
		.amdhsa_next_free_vgpr 1
		.amdhsa_next_free_sgpr 1
		.amdhsa_reserve_vcc 0
		.amdhsa_float_round_mode_32 0
		.amdhsa_float_round_mode_16_64 0
		.amdhsa_float_denorm_mode_32 3
		.amdhsa_float_denorm_mode_16_64 3
		.amdhsa_fp16_overflow 0
		.amdhsa_workgroup_processor_mode 1
		.amdhsa_memory_ordered 1
		.amdhsa_forward_progress 1
		.amdhsa_inst_pref_size 0
		.amdhsa_round_robin_scheduling 0
		.amdhsa_exception_fp_ieee_invalid_op 0
		.amdhsa_exception_fp_denorm_src 0
		.amdhsa_exception_fp_ieee_div_zero 0
		.amdhsa_exception_fp_ieee_overflow 0
		.amdhsa_exception_fp_ieee_underflow 0
		.amdhsa_exception_fp_ieee_inexact 0
		.amdhsa_exception_int_div_zero 0
	.end_amdhsa_kernel
	.section	.text._ZN7rocprim17ROCPRIM_400000_NS6detail17trampoline_kernelINS0_14default_configENS1_38merge_sort_block_merge_config_selectorIjN6thrust23THRUST_200600_302600_NS5tupleIffNS6_9null_typeES8_S8_S8_S8_S8_S8_S8_EEEEZZNS1_27merge_sort_block_merge_implIS3_NS6_6detail15normal_iteratorINS6_10device_ptrIjEEEENSD_INSE_IS9_EEEEjNS1_19radix_merge_compareILb0ELb1EjNS0_19identity_decomposerEEEEE10hipError_tT0_T1_T2_jT3_P12ihipStream_tbPNSt15iterator_traitsISN_E10value_typeEPNST_ISO_E10value_typeEPSP_NS1_7vsmem_tEENKUlT_SN_SO_SP_E_clIPjSG_PS9_SI_EESM_S12_SN_SO_SP_EUlS12_E0_NS1_11comp_targetILNS1_3genE9ELNS1_11target_archE1100ELNS1_3gpuE3ELNS1_3repE0EEENS1_38merge_mergepath_config_static_selectorELNS0_4arch9wavefront6targetE0EEEvSO_,"axG",@progbits,_ZN7rocprim17ROCPRIM_400000_NS6detail17trampoline_kernelINS0_14default_configENS1_38merge_sort_block_merge_config_selectorIjN6thrust23THRUST_200600_302600_NS5tupleIffNS6_9null_typeES8_S8_S8_S8_S8_S8_S8_EEEEZZNS1_27merge_sort_block_merge_implIS3_NS6_6detail15normal_iteratorINS6_10device_ptrIjEEEENSD_INSE_IS9_EEEEjNS1_19radix_merge_compareILb0ELb1EjNS0_19identity_decomposerEEEEE10hipError_tT0_T1_T2_jT3_P12ihipStream_tbPNSt15iterator_traitsISN_E10value_typeEPNST_ISO_E10value_typeEPSP_NS1_7vsmem_tEENKUlT_SN_SO_SP_E_clIPjSG_PS9_SI_EESM_S12_SN_SO_SP_EUlS12_E0_NS1_11comp_targetILNS1_3genE9ELNS1_11target_archE1100ELNS1_3gpuE3ELNS1_3repE0EEENS1_38merge_mergepath_config_static_selectorELNS0_4arch9wavefront6targetE0EEEvSO_,comdat
.Lfunc_end105:
	.size	_ZN7rocprim17ROCPRIM_400000_NS6detail17trampoline_kernelINS0_14default_configENS1_38merge_sort_block_merge_config_selectorIjN6thrust23THRUST_200600_302600_NS5tupleIffNS6_9null_typeES8_S8_S8_S8_S8_S8_S8_EEEEZZNS1_27merge_sort_block_merge_implIS3_NS6_6detail15normal_iteratorINS6_10device_ptrIjEEEENSD_INSE_IS9_EEEEjNS1_19radix_merge_compareILb0ELb1EjNS0_19identity_decomposerEEEEE10hipError_tT0_T1_T2_jT3_P12ihipStream_tbPNSt15iterator_traitsISN_E10value_typeEPNST_ISO_E10value_typeEPSP_NS1_7vsmem_tEENKUlT_SN_SO_SP_E_clIPjSG_PS9_SI_EESM_S12_SN_SO_SP_EUlS12_E0_NS1_11comp_targetILNS1_3genE9ELNS1_11target_archE1100ELNS1_3gpuE3ELNS1_3repE0EEENS1_38merge_mergepath_config_static_selectorELNS0_4arch9wavefront6targetE0EEEvSO_, .Lfunc_end105-_ZN7rocprim17ROCPRIM_400000_NS6detail17trampoline_kernelINS0_14default_configENS1_38merge_sort_block_merge_config_selectorIjN6thrust23THRUST_200600_302600_NS5tupleIffNS6_9null_typeES8_S8_S8_S8_S8_S8_S8_EEEEZZNS1_27merge_sort_block_merge_implIS3_NS6_6detail15normal_iteratorINS6_10device_ptrIjEEEENSD_INSE_IS9_EEEEjNS1_19radix_merge_compareILb0ELb1EjNS0_19identity_decomposerEEEEE10hipError_tT0_T1_T2_jT3_P12ihipStream_tbPNSt15iterator_traitsISN_E10value_typeEPNST_ISO_E10value_typeEPSP_NS1_7vsmem_tEENKUlT_SN_SO_SP_E_clIPjSG_PS9_SI_EESM_S12_SN_SO_SP_EUlS12_E0_NS1_11comp_targetILNS1_3genE9ELNS1_11target_archE1100ELNS1_3gpuE3ELNS1_3repE0EEENS1_38merge_mergepath_config_static_selectorELNS0_4arch9wavefront6targetE0EEEvSO_
                                        ; -- End function
	.set _ZN7rocprim17ROCPRIM_400000_NS6detail17trampoline_kernelINS0_14default_configENS1_38merge_sort_block_merge_config_selectorIjN6thrust23THRUST_200600_302600_NS5tupleIffNS6_9null_typeES8_S8_S8_S8_S8_S8_S8_EEEEZZNS1_27merge_sort_block_merge_implIS3_NS6_6detail15normal_iteratorINS6_10device_ptrIjEEEENSD_INSE_IS9_EEEEjNS1_19radix_merge_compareILb0ELb1EjNS0_19identity_decomposerEEEEE10hipError_tT0_T1_T2_jT3_P12ihipStream_tbPNSt15iterator_traitsISN_E10value_typeEPNST_ISO_E10value_typeEPSP_NS1_7vsmem_tEENKUlT_SN_SO_SP_E_clIPjSG_PS9_SI_EESM_S12_SN_SO_SP_EUlS12_E0_NS1_11comp_targetILNS1_3genE9ELNS1_11target_archE1100ELNS1_3gpuE3ELNS1_3repE0EEENS1_38merge_mergepath_config_static_selectorELNS0_4arch9wavefront6targetE0EEEvSO_.num_vgpr, 0
	.set _ZN7rocprim17ROCPRIM_400000_NS6detail17trampoline_kernelINS0_14default_configENS1_38merge_sort_block_merge_config_selectorIjN6thrust23THRUST_200600_302600_NS5tupleIffNS6_9null_typeES8_S8_S8_S8_S8_S8_S8_EEEEZZNS1_27merge_sort_block_merge_implIS3_NS6_6detail15normal_iteratorINS6_10device_ptrIjEEEENSD_INSE_IS9_EEEEjNS1_19radix_merge_compareILb0ELb1EjNS0_19identity_decomposerEEEEE10hipError_tT0_T1_T2_jT3_P12ihipStream_tbPNSt15iterator_traitsISN_E10value_typeEPNST_ISO_E10value_typeEPSP_NS1_7vsmem_tEENKUlT_SN_SO_SP_E_clIPjSG_PS9_SI_EESM_S12_SN_SO_SP_EUlS12_E0_NS1_11comp_targetILNS1_3genE9ELNS1_11target_archE1100ELNS1_3gpuE3ELNS1_3repE0EEENS1_38merge_mergepath_config_static_selectorELNS0_4arch9wavefront6targetE0EEEvSO_.num_agpr, 0
	.set _ZN7rocprim17ROCPRIM_400000_NS6detail17trampoline_kernelINS0_14default_configENS1_38merge_sort_block_merge_config_selectorIjN6thrust23THRUST_200600_302600_NS5tupleIffNS6_9null_typeES8_S8_S8_S8_S8_S8_S8_EEEEZZNS1_27merge_sort_block_merge_implIS3_NS6_6detail15normal_iteratorINS6_10device_ptrIjEEEENSD_INSE_IS9_EEEEjNS1_19radix_merge_compareILb0ELb1EjNS0_19identity_decomposerEEEEE10hipError_tT0_T1_T2_jT3_P12ihipStream_tbPNSt15iterator_traitsISN_E10value_typeEPNST_ISO_E10value_typeEPSP_NS1_7vsmem_tEENKUlT_SN_SO_SP_E_clIPjSG_PS9_SI_EESM_S12_SN_SO_SP_EUlS12_E0_NS1_11comp_targetILNS1_3genE9ELNS1_11target_archE1100ELNS1_3gpuE3ELNS1_3repE0EEENS1_38merge_mergepath_config_static_selectorELNS0_4arch9wavefront6targetE0EEEvSO_.numbered_sgpr, 0
	.set _ZN7rocprim17ROCPRIM_400000_NS6detail17trampoline_kernelINS0_14default_configENS1_38merge_sort_block_merge_config_selectorIjN6thrust23THRUST_200600_302600_NS5tupleIffNS6_9null_typeES8_S8_S8_S8_S8_S8_S8_EEEEZZNS1_27merge_sort_block_merge_implIS3_NS6_6detail15normal_iteratorINS6_10device_ptrIjEEEENSD_INSE_IS9_EEEEjNS1_19radix_merge_compareILb0ELb1EjNS0_19identity_decomposerEEEEE10hipError_tT0_T1_T2_jT3_P12ihipStream_tbPNSt15iterator_traitsISN_E10value_typeEPNST_ISO_E10value_typeEPSP_NS1_7vsmem_tEENKUlT_SN_SO_SP_E_clIPjSG_PS9_SI_EESM_S12_SN_SO_SP_EUlS12_E0_NS1_11comp_targetILNS1_3genE9ELNS1_11target_archE1100ELNS1_3gpuE3ELNS1_3repE0EEENS1_38merge_mergepath_config_static_selectorELNS0_4arch9wavefront6targetE0EEEvSO_.num_named_barrier, 0
	.set _ZN7rocprim17ROCPRIM_400000_NS6detail17trampoline_kernelINS0_14default_configENS1_38merge_sort_block_merge_config_selectorIjN6thrust23THRUST_200600_302600_NS5tupleIffNS6_9null_typeES8_S8_S8_S8_S8_S8_S8_EEEEZZNS1_27merge_sort_block_merge_implIS3_NS6_6detail15normal_iteratorINS6_10device_ptrIjEEEENSD_INSE_IS9_EEEEjNS1_19radix_merge_compareILb0ELb1EjNS0_19identity_decomposerEEEEE10hipError_tT0_T1_T2_jT3_P12ihipStream_tbPNSt15iterator_traitsISN_E10value_typeEPNST_ISO_E10value_typeEPSP_NS1_7vsmem_tEENKUlT_SN_SO_SP_E_clIPjSG_PS9_SI_EESM_S12_SN_SO_SP_EUlS12_E0_NS1_11comp_targetILNS1_3genE9ELNS1_11target_archE1100ELNS1_3gpuE3ELNS1_3repE0EEENS1_38merge_mergepath_config_static_selectorELNS0_4arch9wavefront6targetE0EEEvSO_.private_seg_size, 0
	.set _ZN7rocprim17ROCPRIM_400000_NS6detail17trampoline_kernelINS0_14default_configENS1_38merge_sort_block_merge_config_selectorIjN6thrust23THRUST_200600_302600_NS5tupleIffNS6_9null_typeES8_S8_S8_S8_S8_S8_S8_EEEEZZNS1_27merge_sort_block_merge_implIS3_NS6_6detail15normal_iteratorINS6_10device_ptrIjEEEENSD_INSE_IS9_EEEEjNS1_19radix_merge_compareILb0ELb1EjNS0_19identity_decomposerEEEEE10hipError_tT0_T1_T2_jT3_P12ihipStream_tbPNSt15iterator_traitsISN_E10value_typeEPNST_ISO_E10value_typeEPSP_NS1_7vsmem_tEENKUlT_SN_SO_SP_E_clIPjSG_PS9_SI_EESM_S12_SN_SO_SP_EUlS12_E0_NS1_11comp_targetILNS1_3genE9ELNS1_11target_archE1100ELNS1_3gpuE3ELNS1_3repE0EEENS1_38merge_mergepath_config_static_selectorELNS0_4arch9wavefront6targetE0EEEvSO_.uses_vcc, 0
	.set _ZN7rocprim17ROCPRIM_400000_NS6detail17trampoline_kernelINS0_14default_configENS1_38merge_sort_block_merge_config_selectorIjN6thrust23THRUST_200600_302600_NS5tupleIffNS6_9null_typeES8_S8_S8_S8_S8_S8_S8_EEEEZZNS1_27merge_sort_block_merge_implIS3_NS6_6detail15normal_iteratorINS6_10device_ptrIjEEEENSD_INSE_IS9_EEEEjNS1_19radix_merge_compareILb0ELb1EjNS0_19identity_decomposerEEEEE10hipError_tT0_T1_T2_jT3_P12ihipStream_tbPNSt15iterator_traitsISN_E10value_typeEPNST_ISO_E10value_typeEPSP_NS1_7vsmem_tEENKUlT_SN_SO_SP_E_clIPjSG_PS9_SI_EESM_S12_SN_SO_SP_EUlS12_E0_NS1_11comp_targetILNS1_3genE9ELNS1_11target_archE1100ELNS1_3gpuE3ELNS1_3repE0EEENS1_38merge_mergepath_config_static_selectorELNS0_4arch9wavefront6targetE0EEEvSO_.uses_flat_scratch, 0
	.set _ZN7rocprim17ROCPRIM_400000_NS6detail17trampoline_kernelINS0_14default_configENS1_38merge_sort_block_merge_config_selectorIjN6thrust23THRUST_200600_302600_NS5tupleIffNS6_9null_typeES8_S8_S8_S8_S8_S8_S8_EEEEZZNS1_27merge_sort_block_merge_implIS3_NS6_6detail15normal_iteratorINS6_10device_ptrIjEEEENSD_INSE_IS9_EEEEjNS1_19radix_merge_compareILb0ELb1EjNS0_19identity_decomposerEEEEE10hipError_tT0_T1_T2_jT3_P12ihipStream_tbPNSt15iterator_traitsISN_E10value_typeEPNST_ISO_E10value_typeEPSP_NS1_7vsmem_tEENKUlT_SN_SO_SP_E_clIPjSG_PS9_SI_EESM_S12_SN_SO_SP_EUlS12_E0_NS1_11comp_targetILNS1_3genE9ELNS1_11target_archE1100ELNS1_3gpuE3ELNS1_3repE0EEENS1_38merge_mergepath_config_static_selectorELNS0_4arch9wavefront6targetE0EEEvSO_.has_dyn_sized_stack, 0
	.set _ZN7rocprim17ROCPRIM_400000_NS6detail17trampoline_kernelINS0_14default_configENS1_38merge_sort_block_merge_config_selectorIjN6thrust23THRUST_200600_302600_NS5tupleIffNS6_9null_typeES8_S8_S8_S8_S8_S8_S8_EEEEZZNS1_27merge_sort_block_merge_implIS3_NS6_6detail15normal_iteratorINS6_10device_ptrIjEEEENSD_INSE_IS9_EEEEjNS1_19radix_merge_compareILb0ELb1EjNS0_19identity_decomposerEEEEE10hipError_tT0_T1_T2_jT3_P12ihipStream_tbPNSt15iterator_traitsISN_E10value_typeEPNST_ISO_E10value_typeEPSP_NS1_7vsmem_tEENKUlT_SN_SO_SP_E_clIPjSG_PS9_SI_EESM_S12_SN_SO_SP_EUlS12_E0_NS1_11comp_targetILNS1_3genE9ELNS1_11target_archE1100ELNS1_3gpuE3ELNS1_3repE0EEENS1_38merge_mergepath_config_static_selectorELNS0_4arch9wavefront6targetE0EEEvSO_.has_recursion, 0
	.set _ZN7rocprim17ROCPRIM_400000_NS6detail17trampoline_kernelINS0_14default_configENS1_38merge_sort_block_merge_config_selectorIjN6thrust23THRUST_200600_302600_NS5tupleIffNS6_9null_typeES8_S8_S8_S8_S8_S8_S8_EEEEZZNS1_27merge_sort_block_merge_implIS3_NS6_6detail15normal_iteratorINS6_10device_ptrIjEEEENSD_INSE_IS9_EEEEjNS1_19radix_merge_compareILb0ELb1EjNS0_19identity_decomposerEEEEE10hipError_tT0_T1_T2_jT3_P12ihipStream_tbPNSt15iterator_traitsISN_E10value_typeEPNST_ISO_E10value_typeEPSP_NS1_7vsmem_tEENKUlT_SN_SO_SP_E_clIPjSG_PS9_SI_EESM_S12_SN_SO_SP_EUlS12_E0_NS1_11comp_targetILNS1_3genE9ELNS1_11target_archE1100ELNS1_3gpuE3ELNS1_3repE0EEENS1_38merge_mergepath_config_static_selectorELNS0_4arch9wavefront6targetE0EEEvSO_.has_indirect_call, 0
	.section	.AMDGPU.csdata,"",@progbits
; Kernel info:
; codeLenInByte = 0
; TotalNumSgprs: 0
; NumVgprs: 0
; ScratchSize: 0
; MemoryBound: 0
; FloatMode: 240
; IeeeMode: 1
; LDSByteSize: 0 bytes/workgroup (compile time only)
; SGPRBlocks: 0
; VGPRBlocks: 0
; NumSGPRsForWavesPerEU: 1
; NumVGPRsForWavesPerEU: 1
; Occupancy: 16
; WaveLimiterHint : 0
; COMPUTE_PGM_RSRC2:SCRATCH_EN: 0
; COMPUTE_PGM_RSRC2:USER_SGPR: 2
; COMPUTE_PGM_RSRC2:TRAP_HANDLER: 0
; COMPUTE_PGM_RSRC2:TGID_X_EN: 1
; COMPUTE_PGM_RSRC2:TGID_Y_EN: 0
; COMPUTE_PGM_RSRC2:TGID_Z_EN: 0
; COMPUTE_PGM_RSRC2:TIDIG_COMP_CNT: 0
	.section	.text._ZN7rocprim17ROCPRIM_400000_NS6detail17trampoline_kernelINS0_14default_configENS1_38merge_sort_block_merge_config_selectorIjN6thrust23THRUST_200600_302600_NS5tupleIffNS6_9null_typeES8_S8_S8_S8_S8_S8_S8_EEEEZZNS1_27merge_sort_block_merge_implIS3_NS6_6detail15normal_iteratorINS6_10device_ptrIjEEEENSD_INSE_IS9_EEEEjNS1_19radix_merge_compareILb0ELb1EjNS0_19identity_decomposerEEEEE10hipError_tT0_T1_T2_jT3_P12ihipStream_tbPNSt15iterator_traitsISN_E10value_typeEPNST_ISO_E10value_typeEPSP_NS1_7vsmem_tEENKUlT_SN_SO_SP_E_clIPjSG_PS9_SI_EESM_S12_SN_SO_SP_EUlS12_E0_NS1_11comp_targetILNS1_3genE8ELNS1_11target_archE1030ELNS1_3gpuE2ELNS1_3repE0EEENS1_38merge_mergepath_config_static_selectorELNS0_4arch9wavefront6targetE0EEEvSO_,"axG",@progbits,_ZN7rocprim17ROCPRIM_400000_NS6detail17trampoline_kernelINS0_14default_configENS1_38merge_sort_block_merge_config_selectorIjN6thrust23THRUST_200600_302600_NS5tupleIffNS6_9null_typeES8_S8_S8_S8_S8_S8_S8_EEEEZZNS1_27merge_sort_block_merge_implIS3_NS6_6detail15normal_iteratorINS6_10device_ptrIjEEEENSD_INSE_IS9_EEEEjNS1_19radix_merge_compareILb0ELb1EjNS0_19identity_decomposerEEEEE10hipError_tT0_T1_T2_jT3_P12ihipStream_tbPNSt15iterator_traitsISN_E10value_typeEPNST_ISO_E10value_typeEPSP_NS1_7vsmem_tEENKUlT_SN_SO_SP_E_clIPjSG_PS9_SI_EESM_S12_SN_SO_SP_EUlS12_E0_NS1_11comp_targetILNS1_3genE8ELNS1_11target_archE1030ELNS1_3gpuE2ELNS1_3repE0EEENS1_38merge_mergepath_config_static_selectorELNS0_4arch9wavefront6targetE0EEEvSO_,comdat
	.protected	_ZN7rocprim17ROCPRIM_400000_NS6detail17trampoline_kernelINS0_14default_configENS1_38merge_sort_block_merge_config_selectorIjN6thrust23THRUST_200600_302600_NS5tupleIffNS6_9null_typeES8_S8_S8_S8_S8_S8_S8_EEEEZZNS1_27merge_sort_block_merge_implIS3_NS6_6detail15normal_iteratorINS6_10device_ptrIjEEEENSD_INSE_IS9_EEEEjNS1_19radix_merge_compareILb0ELb1EjNS0_19identity_decomposerEEEEE10hipError_tT0_T1_T2_jT3_P12ihipStream_tbPNSt15iterator_traitsISN_E10value_typeEPNST_ISO_E10value_typeEPSP_NS1_7vsmem_tEENKUlT_SN_SO_SP_E_clIPjSG_PS9_SI_EESM_S12_SN_SO_SP_EUlS12_E0_NS1_11comp_targetILNS1_3genE8ELNS1_11target_archE1030ELNS1_3gpuE2ELNS1_3repE0EEENS1_38merge_mergepath_config_static_selectorELNS0_4arch9wavefront6targetE0EEEvSO_ ; -- Begin function _ZN7rocprim17ROCPRIM_400000_NS6detail17trampoline_kernelINS0_14default_configENS1_38merge_sort_block_merge_config_selectorIjN6thrust23THRUST_200600_302600_NS5tupleIffNS6_9null_typeES8_S8_S8_S8_S8_S8_S8_EEEEZZNS1_27merge_sort_block_merge_implIS3_NS6_6detail15normal_iteratorINS6_10device_ptrIjEEEENSD_INSE_IS9_EEEEjNS1_19radix_merge_compareILb0ELb1EjNS0_19identity_decomposerEEEEE10hipError_tT0_T1_T2_jT3_P12ihipStream_tbPNSt15iterator_traitsISN_E10value_typeEPNST_ISO_E10value_typeEPSP_NS1_7vsmem_tEENKUlT_SN_SO_SP_E_clIPjSG_PS9_SI_EESM_S12_SN_SO_SP_EUlS12_E0_NS1_11comp_targetILNS1_3genE8ELNS1_11target_archE1030ELNS1_3gpuE2ELNS1_3repE0EEENS1_38merge_mergepath_config_static_selectorELNS0_4arch9wavefront6targetE0EEEvSO_
	.globl	_ZN7rocprim17ROCPRIM_400000_NS6detail17trampoline_kernelINS0_14default_configENS1_38merge_sort_block_merge_config_selectorIjN6thrust23THRUST_200600_302600_NS5tupleIffNS6_9null_typeES8_S8_S8_S8_S8_S8_S8_EEEEZZNS1_27merge_sort_block_merge_implIS3_NS6_6detail15normal_iteratorINS6_10device_ptrIjEEEENSD_INSE_IS9_EEEEjNS1_19radix_merge_compareILb0ELb1EjNS0_19identity_decomposerEEEEE10hipError_tT0_T1_T2_jT3_P12ihipStream_tbPNSt15iterator_traitsISN_E10value_typeEPNST_ISO_E10value_typeEPSP_NS1_7vsmem_tEENKUlT_SN_SO_SP_E_clIPjSG_PS9_SI_EESM_S12_SN_SO_SP_EUlS12_E0_NS1_11comp_targetILNS1_3genE8ELNS1_11target_archE1030ELNS1_3gpuE2ELNS1_3repE0EEENS1_38merge_mergepath_config_static_selectorELNS0_4arch9wavefront6targetE0EEEvSO_
	.p2align	8
	.type	_ZN7rocprim17ROCPRIM_400000_NS6detail17trampoline_kernelINS0_14default_configENS1_38merge_sort_block_merge_config_selectorIjN6thrust23THRUST_200600_302600_NS5tupleIffNS6_9null_typeES8_S8_S8_S8_S8_S8_S8_EEEEZZNS1_27merge_sort_block_merge_implIS3_NS6_6detail15normal_iteratorINS6_10device_ptrIjEEEENSD_INSE_IS9_EEEEjNS1_19radix_merge_compareILb0ELb1EjNS0_19identity_decomposerEEEEE10hipError_tT0_T1_T2_jT3_P12ihipStream_tbPNSt15iterator_traitsISN_E10value_typeEPNST_ISO_E10value_typeEPSP_NS1_7vsmem_tEENKUlT_SN_SO_SP_E_clIPjSG_PS9_SI_EESM_S12_SN_SO_SP_EUlS12_E0_NS1_11comp_targetILNS1_3genE8ELNS1_11target_archE1030ELNS1_3gpuE2ELNS1_3repE0EEENS1_38merge_mergepath_config_static_selectorELNS0_4arch9wavefront6targetE0EEEvSO_,@function
_ZN7rocprim17ROCPRIM_400000_NS6detail17trampoline_kernelINS0_14default_configENS1_38merge_sort_block_merge_config_selectorIjN6thrust23THRUST_200600_302600_NS5tupleIffNS6_9null_typeES8_S8_S8_S8_S8_S8_S8_EEEEZZNS1_27merge_sort_block_merge_implIS3_NS6_6detail15normal_iteratorINS6_10device_ptrIjEEEENSD_INSE_IS9_EEEEjNS1_19radix_merge_compareILb0ELb1EjNS0_19identity_decomposerEEEEE10hipError_tT0_T1_T2_jT3_P12ihipStream_tbPNSt15iterator_traitsISN_E10value_typeEPNST_ISO_E10value_typeEPSP_NS1_7vsmem_tEENKUlT_SN_SO_SP_E_clIPjSG_PS9_SI_EESM_S12_SN_SO_SP_EUlS12_E0_NS1_11comp_targetILNS1_3genE8ELNS1_11target_archE1030ELNS1_3gpuE2ELNS1_3repE0EEENS1_38merge_mergepath_config_static_selectorELNS0_4arch9wavefront6targetE0EEEvSO_: ; @_ZN7rocprim17ROCPRIM_400000_NS6detail17trampoline_kernelINS0_14default_configENS1_38merge_sort_block_merge_config_selectorIjN6thrust23THRUST_200600_302600_NS5tupleIffNS6_9null_typeES8_S8_S8_S8_S8_S8_S8_EEEEZZNS1_27merge_sort_block_merge_implIS3_NS6_6detail15normal_iteratorINS6_10device_ptrIjEEEENSD_INSE_IS9_EEEEjNS1_19radix_merge_compareILb0ELb1EjNS0_19identity_decomposerEEEEE10hipError_tT0_T1_T2_jT3_P12ihipStream_tbPNSt15iterator_traitsISN_E10value_typeEPNST_ISO_E10value_typeEPSP_NS1_7vsmem_tEENKUlT_SN_SO_SP_E_clIPjSG_PS9_SI_EESM_S12_SN_SO_SP_EUlS12_E0_NS1_11comp_targetILNS1_3genE8ELNS1_11target_archE1030ELNS1_3gpuE2ELNS1_3repE0EEENS1_38merge_mergepath_config_static_selectorELNS0_4arch9wavefront6targetE0EEEvSO_
; %bb.0:
	.section	.rodata,"a",@progbits
	.p2align	6, 0x0
	.amdhsa_kernel _ZN7rocprim17ROCPRIM_400000_NS6detail17trampoline_kernelINS0_14default_configENS1_38merge_sort_block_merge_config_selectorIjN6thrust23THRUST_200600_302600_NS5tupleIffNS6_9null_typeES8_S8_S8_S8_S8_S8_S8_EEEEZZNS1_27merge_sort_block_merge_implIS3_NS6_6detail15normal_iteratorINS6_10device_ptrIjEEEENSD_INSE_IS9_EEEEjNS1_19radix_merge_compareILb0ELb1EjNS0_19identity_decomposerEEEEE10hipError_tT0_T1_T2_jT3_P12ihipStream_tbPNSt15iterator_traitsISN_E10value_typeEPNST_ISO_E10value_typeEPSP_NS1_7vsmem_tEENKUlT_SN_SO_SP_E_clIPjSG_PS9_SI_EESM_S12_SN_SO_SP_EUlS12_E0_NS1_11comp_targetILNS1_3genE8ELNS1_11target_archE1030ELNS1_3gpuE2ELNS1_3repE0EEENS1_38merge_mergepath_config_static_selectorELNS0_4arch9wavefront6targetE0EEEvSO_
		.amdhsa_group_segment_fixed_size 0
		.amdhsa_private_segment_fixed_size 0
		.amdhsa_kernarg_size 64
		.amdhsa_user_sgpr_count 2
		.amdhsa_user_sgpr_dispatch_ptr 0
		.amdhsa_user_sgpr_queue_ptr 0
		.amdhsa_user_sgpr_kernarg_segment_ptr 1
		.amdhsa_user_sgpr_dispatch_id 0
		.amdhsa_user_sgpr_private_segment_size 0
		.amdhsa_wavefront_size32 1
		.amdhsa_uses_dynamic_stack 0
		.amdhsa_enable_private_segment 0
		.amdhsa_system_sgpr_workgroup_id_x 1
		.amdhsa_system_sgpr_workgroup_id_y 0
		.amdhsa_system_sgpr_workgroup_id_z 0
		.amdhsa_system_sgpr_workgroup_info 0
		.amdhsa_system_vgpr_workitem_id 0
		.amdhsa_next_free_vgpr 1
		.amdhsa_next_free_sgpr 1
		.amdhsa_reserve_vcc 0
		.amdhsa_float_round_mode_32 0
		.amdhsa_float_round_mode_16_64 0
		.amdhsa_float_denorm_mode_32 3
		.amdhsa_float_denorm_mode_16_64 3
		.amdhsa_fp16_overflow 0
		.amdhsa_workgroup_processor_mode 1
		.amdhsa_memory_ordered 1
		.amdhsa_forward_progress 1
		.amdhsa_inst_pref_size 0
		.amdhsa_round_robin_scheduling 0
		.amdhsa_exception_fp_ieee_invalid_op 0
		.amdhsa_exception_fp_denorm_src 0
		.amdhsa_exception_fp_ieee_div_zero 0
		.amdhsa_exception_fp_ieee_overflow 0
		.amdhsa_exception_fp_ieee_underflow 0
		.amdhsa_exception_fp_ieee_inexact 0
		.amdhsa_exception_int_div_zero 0
	.end_amdhsa_kernel
	.section	.text._ZN7rocprim17ROCPRIM_400000_NS6detail17trampoline_kernelINS0_14default_configENS1_38merge_sort_block_merge_config_selectorIjN6thrust23THRUST_200600_302600_NS5tupleIffNS6_9null_typeES8_S8_S8_S8_S8_S8_S8_EEEEZZNS1_27merge_sort_block_merge_implIS3_NS6_6detail15normal_iteratorINS6_10device_ptrIjEEEENSD_INSE_IS9_EEEEjNS1_19radix_merge_compareILb0ELb1EjNS0_19identity_decomposerEEEEE10hipError_tT0_T1_T2_jT3_P12ihipStream_tbPNSt15iterator_traitsISN_E10value_typeEPNST_ISO_E10value_typeEPSP_NS1_7vsmem_tEENKUlT_SN_SO_SP_E_clIPjSG_PS9_SI_EESM_S12_SN_SO_SP_EUlS12_E0_NS1_11comp_targetILNS1_3genE8ELNS1_11target_archE1030ELNS1_3gpuE2ELNS1_3repE0EEENS1_38merge_mergepath_config_static_selectorELNS0_4arch9wavefront6targetE0EEEvSO_,"axG",@progbits,_ZN7rocprim17ROCPRIM_400000_NS6detail17trampoline_kernelINS0_14default_configENS1_38merge_sort_block_merge_config_selectorIjN6thrust23THRUST_200600_302600_NS5tupleIffNS6_9null_typeES8_S8_S8_S8_S8_S8_S8_EEEEZZNS1_27merge_sort_block_merge_implIS3_NS6_6detail15normal_iteratorINS6_10device_ptrIjEEEENSD_INSE_IS9_EEEEjNS1_19radix_merge_compareILb0ELb1EjNS0_19identity_decomposerEEEEE10hipError_tT0_T1_T2_jT3_P12ihipStream_tbPNSt15iterator_traitsISN_E10value_typeEPNST_ISO_E10value_typeEPSP_NS1_7vsmem_tEENKUlT_SN_SO_SP_E_clIPjSG_PS9_SI_EESM_S12_SN_SO_SP_EUlS12_E0_NS1_11comp_targetILNS1_3genE8ELNS1_11target_archE1030ELNS1_3gpuE2ELNS1_3repE0EEENS1_38merge_mergepath_config_static_selectorELNS0_4arch9wavefront6targetE0EEEvSO_,comdat
.Lfunc_end106:
	.size	_ZN7rocprim17ROCPRIM_400000_NS6detail17trampoline_kernelINS0_14default_configENS1_38merge_sort_block_merge_config_selectorIjN6thrust23THRUST_200600_302600_NS5tupleIffNS6_9null_typeES8_S8_S8_S8_S8_S8_S8_EEEEZZNS1_27merge_sort_block_merge_implIS3_NS6_6detail15normal_iteratorINS6_10device_ptrIjEEEENSD_INSE_IS9_EEEEjNS1_19radix_merge_compareILb0ELb1EjNS0_19identity_decomposerEEEEE10hipError_tT0_T1_T2_jT3_P12ihipStream_tbPNSt15iterator_traitsISN_E10value_typeEPNST_ISO_E10value_typeEPSP_NS1_7vsmem_tEENKUlT_SN_SO_SP_E_clIPjSG_PS9_SI_EESM_S12_SN_SO_SP_EUlS12_E0_NS1_11comp_targetILNS1_3genE8ELNS1_11target_archE1030ELNS1_3gpuE2ELNS1_3repE0EEENS1_38merge_mergepath_config_static_selectorELNS0_4arch9wavefront6targetE0EEEvSO_, .Lfunc_end106-_ZN7rocprim17ROCPRIM_400000_NS6detail17trampoline_kernelINS0_14default_configENS1_38merge_sort_block_merge_config_selectorIjN6thrust23THRUST_200600_302600_NS5tupleIffNS6_9null_typeES8_S8_S8_S8_S8_S8_S8_EEEEZZNS1_27merge_sort_block_merge_implIS3_NS6_6detail15normal_iteratorINS6_10device_ptrIjEEEENSD_INSE_IS9_EEEEjNS1_19radix_merge_compareILb0ELb1EjNS0_19identity_decomposerEEEEE10hipError_tT0_T1_T2_jT3_P12ihipStream_tbPNSt15iterator_traitsISN_E10value_typeEPNST_ISO_E10value_typeEPSP_NS1_7vsmem_tEENKUlT_SN_SO_SP_E_clIPjSG_PS9_SI_EESM_S12_SN_SO_SP_EUlS12_E0_NS1_11comp_targetILNS1_3genE8ELNS1_11target_archE1030ELNS1_3gpuE2ELNS1_3repE0EEENS1_38merge_mergepath_config_static_selectorELNS0_4arch9wavefront6targetE0EEEvSO_
                                        ; -- End function
	.set _ZN7rocprim17ROCPRIM_400000_NS6detail17trampoline_kernelINS0_14default_configENS1_38merge_sort_block_merge_config_selectorIjN6thrust23THRUST_200600_302600_NS5tupleIffNS6_9null_typeES8_S8_S8_S8_S8_S8_S8_EEEEZZNS1_27merge_sort_block_merge_implIS3_NS6_6detail15normal_iteratorINS6_10device_ptrIjEEEENSD_INSE_IS9_EEEEjNS1_19radix_merge_compareILb0ELb1EjNS0_19identity_decomposerEEEEE10hipError_tT0_T1_T2_jT3_P12ihipStream_tbPNSt15iterator_traitsISN_E10value_typeEPNST_ISO_E10value_typeEPSP_NS1_7vsmem_tEENKUlT_SN_SO_SP_E_clIPjSG_PS9_SI_EESM_S12_SN_SO_SP_EUlS12_E0_NS1_11comp_targetILNS1_3genE8ELNS1_11target_archE1030ELNS1_3gpuE2ELNS1_3repE0EEENS1_38merge_mergepath_config_static_selectorELNS0_4arch9wavefront6targetE0EEEvSO_.num_vgpr, 0
	.set _ZN7rocprim17ROCPRIM_400000_NS6detail17trampoline_kernelINS0_14default_configENS1_38merge_sort_block_merge_config_selectorIjN6thrust23THRUST_200600_302600_NS5tupleIffNS6_9null_typeES8_S8_S8_S8_S8_S8_S8_EEEEZZNS1_27merge_sort_block_merge_implIS3_NS6_6detail15normal_iteratorINS6_10device_ptrIjEEEENSD_INSE_IS9_EEEEjNS1_19radix_merge_compareILb0ELb1EjNS0_19identity_decomposerEEEEE10hipError_tT0_T1_T2_jT3_P12ihipStream_tbPNSt15iterator_traitsISN_E10value_typeEPNST_ISO_E10value_typeEPSP_NS1_7vsmem_tEENKUlT_SN_SO_SP_E_clIPjSG_PS9_SI_EESM_S12_SN_SO_SP_EUlS12_E0_NS1_11comp_targetILNS1_3genE8ELNS1_11target_archE1030ELNS1_3gpuE2ELNS1_3repE0EEENS1_38merge_mergepath_config_static_selectorELNS0_4arch9wavefront6targetE0EEEvSO_.num_agpr, 0
	.set _ZN7rocprim17ROCPRIM_400000_NS6detail17trampoline_kernelINS0_14default_configENS1_38merge_sort_block_merge_config_selectorIjN6thrust23THRUST_200600_302600_NS5tupleIffNS6_9null_typeES8_S8_S8_S8_S8_S8_S8_EEEEZZNS1_27merge_sort_block_merge_implIS3_NS6_6detail15normal_iteratorINS6_10device_ptrIjEEEENSD_INSE_IS9_EEEEjNS1_19radix_merge_compareILb0ELb1EjNS0_19identity_decomposerEEEEE10hipError_tT0_T1_T2_jT3_P12ihipStream_tbPNSt15iterator_traitsISN_E10value_typeEPNST_ISO_E10value_typeEPSP_NS1_7vsmem_tEENKUlT_SN_SO_SP_E_clIPjSG_PS9_SI_EESM_S12_SN_SO_SP_EUlS12_E0_NS1_11comp_targetILNS1_3genE8ELNS1_11target_archE1030ELNS1_3gpuE2ELNS1_3repE0EEENS1_38merge_mergepath_config_static_selectorELNS0_4arch9wavefront6targetE0EEEvSO_.numbered_sgpr, 0
	.set _ZN7rocprim17ROCPRIM_400000_NS6detail17trampoline_kernelINS0_14default_configENS1_38merge_sort_block_merge_config_selectorIjN6thrust23THRUST_200600_302600_NS5tupleIffNS6_9null_typeES8_S8_S8_S8_S8_S8_S8_EEEEZZNS1_27merge_sort_block_merge_implIS3_NS6_6detail15normal_iteratorINS6_10device_ptrIjEEEENSD_INSE_IS9_EEEEjNS1_19radix_merge_compareILb0ELb1EjNS0_19identity_decomposerEEEEE10hipError_tT0_T1_T2_jT3_P12ihipStream_tbPNSt15iterator_traitsISN_E10value_typeEPNST_ISO_E10value_typeEPSP_NS1_7vsmem_tEENKUlT_SN_SO_SP_E_clIPjSG_PS9_SI_EESM_S12_SN_SO_SP_EUlS12_E0_NS1_11comp_targetILNS1_3genE8ELNS1_11target_archE1030ELNS1_3gpuE2ELNS1_3repE0EEENS1_38merge_mergepath_config_static_selectorELNS0_4arch9wavefront6targetE0EEEvSO_.num_named_barrier, 0
	.set _ZN7rocprim17ROCPRIM_400000_NS6detail17trampoline_kernelINS0_14default_configENS1_38merge_sort_block_merge_config_selectorIjN6thrust23THRUST_200600_302600_NS5tupleIffNS6_9null_typeES8_S8_S8_S8_S8_S8_S8_EEEEZZNS1_27merge_sort_block_merge_implIS3_NS6_6detail15normal_iteratorINS6_10device_ptrIjEEEENSD_INSE_IS9_EEEEjNS1_19radix_merge_compareILb0ELb1EjNS0_19identity_decomposerEEEEE10hipError_tT0_T1_T2_jT3_P12ihipStream_tbPNSt15iterator_traitsISN_E10value_typeEPNST_ISO_E10value_typeEPSP_NS1_7vsmem_tEENKUlT_SN_SO_SP_E_clIPjSG_PS9_SI_EESM_S12_SN_SO_SP_EUlS12_E0_NS1_11comp_targetILNS1_3genE8ELNS1_11target_archE1030ELNS1_3gpuE2ELNS1_3repE0EEENS1_38merge_mergepath_config_static_selectorELNS0_4arch9wavefront6targetE0EEEvSO_.private_seg_size, 0
	.set _ZN7rocprim17ROCPRIM_400000_NS6detail17trampoline_kernelINS0_14default_configENS1_38merge_sort_block_merge_config_selectorIjN6thrust23THRUST_200600_302600_NS5tupleIffNS6_9null_typeES8_S8_S8_S8_S8_S8_S8_EEEEZZNS1_27merge_sort_block_merge_implIS3_NS6_6detail15normal_iteratorINS6_10device_ptrIjEEEENSD_INSE_IS9_EEEEjNS1_19radix_merge_compareILb0ELb1EjNS0_19identity_decomposerEEEEE10hipError_tT0_T1_T2_jT3_P12ihipStream_tbPNSt15iterator_traitsISN_E10value_typeEPNST_ISO_E10value_typeEPSP_NS1_7vsmem_tEENKUlT_SN_SO_SP_E_clIPjSG_PS9_SI_EESM_S12_SN_SO_SP_EUlS12_E0_NS1_11comp_targetILNS1_3genE8ELNS1_11target_archE1030ELNS1_3gpuE2ELNS1_3repE0EEENS1_38merge_mergepath_config_static_selectorELNS0_4arch9wavefront6targetE0EEEvSO_.uses_vcc, 0
	.set _ZN7rocprim17ROCPRIM_400000_NS6detail17trampoline_kernelINS0_14default_configENS1_38merge_sort_block_merge_config_selectorIjN6thrust23THRUST_200600_302600_NS5tupleIffNS6_9null_typeES8_S8_S8_S8_S8_S8_S8_EEEEZZNS1_27merge_sort_block_merge_implIS3_NS6_6detail15normal_iteratorINS6_10device_ptrIjEEEENSD_INSE_IS9_EEEEjNS1_19radix_merge_compareILb0ELb1EjNS0_19identity_decomposerEEEEE10hipError_tT0_T1_T2_jT3_P12ihipStream_tbPNSt15iterator_traitsISN_E10value_typeEPNST_ISO_E10value_typeEPSP_NS1_7vsmem_tEENKUlT_SN_SO_SP_E_clIPjSG_PS9_SI_EESM_S12_SN_SO_SP_EUlS12_E0_NS1_11comp_targetILNS1_3genE8ELNS1_11target_archE1030ELNS1_3gpuE2ELNS1_3repE0EEENS1_38merge_mergepath_config_static_selectorELNS0_4arch9wavefront6targetE0EEEvSO_.uses_flat_scratch, 0
	.set _ZN7rocprim17ROCPRIM_400000_NS6detail17trampoline_kernelINS0_14default_configENS1_38merge_sort_block_merge_config_selectorIjN6thrust23THRUST_200600_302600_NS5tupleIffNS6_9null_typeES8_S8_S8_S8_S8_S8_S8_EEEEZZNS1_27merge_sort_block_merge_implIS3_NS6_6detail15normal_iteratorINS6_10device_ptrIjEEEENSD_INSE_IS9_EEEEjNS1_19radix_merge_compareILb0ELb1EjNS0_19identity_decomposerEEEEE10hipError_tT0_T1_T2_jT3_P12ihipStream_tbPNSt15iterator_traitsISN_E10value_typeEPNST_ISO_E10value_typeEPSP_NS1_7vsmem_tEENKUlT_SN_SO_SP_E_clIPjSG_PS9_SI_EESM_S12_SN_SO_SP_EUlS12_E0_NS1_11comp_targetILNS1_3genE8ELNS1_11target_archE1030ELNS1_3gpuE2ELNS1_3repE0EEENS1_38merge_mergepath_config_static_selectorELNS0_4arch9wavefront6targetE0EEEvSO_.has_dyn_sized_stack, 0
	.set _ZN7rocprim17ROCPRIM_400000_NS6detail17trampoline_kernelINS0_14default_configENS1_38merge_sort_block_merge_config_selectorIjN6thrust23THRUST_200600_302600_NS5tupleIffNS6_9null_typeES8_S8_S8_S8_S8_S8_S8_EEEEZZNS1_27merge_sort_block_merge_implIS3_NS6_6detail15normal_iteratorINS6_10device_ptrIjEEEENSD_INSE_IS9_EEEEjNS1_19radix_merge_compareILb0ELb1EjNS0_19identity_decomposerEEEEE10hipError_tT0_T1_T2_jT3_P12ihipStream_tbPNSt15iterator_traitsISN_E10value_typeEPNST_ISO_E10value_typeEPSP_NS1_7vsmem_tEENKUlT_SN_SO_SP_E_clIPjSG_PS9_SI_EESM_S12_SN_SO_SP_EUlS12_E0_NS1_11comp_targetILNS1_3genE8ELNS1_11target_archE1030ELNS1_3gpuE2ELNS1_3repE0EEENS1_38merge_mergepath_config_static_selectorELNS0_4arch9wavefront6targetE0EEEvSO_.has_recursion, 0
	.set _ZN7rocprim17ROCPRIM_400000_NS6detail17trampoline_kernelINS0_14default_configENS1_38merge_sort_block_merge_config_selectorIjN6thrust23THRUST_200600_302600_NS5tupleIffNS6_9null_typeES8_S8_S8_S8_S8_S8_S8_EEEEZZNS1_27merge_sort_block_merge_implIS3_NS6_6detail15normal_iteratorINS6_10device_ptrIjEEEENSD_INSE_IS9_EEEEjNS1_19radix_merge_compareILb0ELb1EjNS0_19identity_decomposerEEEEE10hipError_tT0_T1_T2_jT3_P12ihipStream_tbPNSt15iterator_traitsISN_E10value_typeEPNST_ISO_E10value_typeEPSP_NS1_7vsmem_tEENKUlT_SN_SO_SP_E_clIPjSG_PS9_SI_EESM_S12_SN_SO_SP_EUlS12_E0_NS1_11comp_targetILNS1_3genE8ELNS1_11target_archE1030ELNS1_3gpuE2ELNS1_3repE0EEENS1_38merge_mergepath_config_static_selectorELNS0_4arch9wavefront6targetE0EEEvSO_.has_indirect_call, 0
	.section	.AMDGPU.csdata,"",@progbits
; Kernel info:
; codeLenInByte = 0
; TotalNumSgprs: 0
; NumVgprs: 0
; ScratchSize: 0
; MemoryBound: 0
; FloatMode: 240
; IeeeMode: 1
; LDSByteSize: 0 bytes/workgroup (compile time only)
; SGPRBlocks: 0
; VGPRBlocks: 0
; NumSGPRsForWavesPerEU: 1
; NumVGPRsForWavesPerEU: 1
; Occupancy: 16
; WaveLimiterHint : 0
; COMPUTE_PGM_RSRC2:SCRATCH_EN: 0
; COMPUTE_PGM_RSRC2:USER_SGPR: 2
; COMPUTE_PGM_RSRC2:TRAP_HANDLER: 0
; COMPUTE_PGM_RSRC2:TGID_X_EN: 1
; COMPUTE_PGM_RSRC2:TGID_Y_EN: 0
; COMPUTE_PGM_RSRC2:TGID_Z_EN: 0
; COMPUTE_PGM_RSRC2:TIDIG_COMP_CNT: 0
	.section	.text._ZN7rocprim17ROCPRIM_400000_NS6detail17trampoline_kernelINS0_14default_configENS1_38merge_sort_block_merge_config_selectorIjN6thrust23THRUST_200600_302600_NS5tupleIffNS6_9null_typeES8_S8_S8_S8_S8_S8_S8_EEEEZZNS1_27merge_sort_block_merge_implIS3_NS6_6detail15normal_iteratorINS6_10device_ptrIjEEEENSD_INSE_IS9_EEEEjNS1_19radix_merge_compareILb0ELb1EjNS0_19identity_decomposerEEEEE10hipError_tT0_T1_T2_jT3_P12ihipStream_tbPNSt15iterator_traitsISN_E10value_typeEPNST_ISO_E10value_typeEPSP_NS1_7vsmem_tEENKUlT_SN_SO_SP_E_clIPjSG_PS9_SI_EESM_S12_SN_SO_SP_EUlS12_E1_NS1_11comp_targetILNS1_3genE0ELNS1_11target_archE4294967295ELNS1_3gpuE0ELNS1_3repE0EEENS1_36merge_oddeven_config_static_selectorELNS0_4arch9wavefront6targetE0EEEvSO_,"axG",@progbits,_ZN7rocprim17ROCPRIM_400000_NS6detail17trampoline_kernelINS0_14default_configENS1_38merge_sort_block_merge_config_selectorIjN6thrust23THRUST_200600_302600_NS5tupleIffNS6_9null_typeES8_S8_S8_S8_S8_S8_S8_EEEEZZNS1_27merge_sort_block_merge_implIS3_NS6_6detail15normal_iteratorINS6_10device_ptrIjEEEENSD_INSE_IS9_EEEEjNS1_19radix_merge_compareILb0ELb1EjNS0_19identity_decomposerEEEEE10hipError_tT0_T1_T2_jT3_P12ihipStream_tbPNSt15iterator_traitsISN_E10value_typeEPNST_ISO_E10value_typeEPSP_NS1_7vsmem_tEENKUlT_SN_SO_SP_E_clIPjSG_PS9_SI_EESM_S12_SN_SO_SP_EUlS12_E1_NS1_11comp_targetILNS1_3genE0ELNS1_11target_archE4294967295ELNS1_3gpuE0ELNS1_3repE0EEENS1_36merge_oddeven_config_static_selectorELNS0_4arch9wavefront6targetE0EEEvSO_,comdat
	.protected	_ZN7rocprim17ROCPRIM_400000_NS6detail17trampoline_kernelINS0_14default_configENS1_38merge_sort_block_merge_config_selectorIjN6thrust23THRUST_200600_302600_NS5tupleIffNS6_9null_typeES8_S8_S8_S8_S8_S8_S8_EEEEZZNS1_27merge_sort_block_merge_implIS3_NS6_6detail15normal_iteratorINS6_10device_ptrIjEEEENSD_INSE_IS9_EEEEjNS1_19radix_merge_compareILb0ELb1EjNS0_19identity_decomposerEEEEE10hipError_tT0_T1_T2_jT3_P12ihipStream_tbPNSt15iterator_traitsISN_E10value_typeEPNST_ISO_E10value_typeEPSP_NS1_7vsmem_tEENKUlT_SN_SO_SP_E_clIPjSG_PS9_SI_EESM_S12_SN_SO_SP_EUlS12_E1_NS1_11comp_targetILNS1_3genE0ELNS1_11target_archE4294967295ELNS1_3gpuE0ELNS1_3repE0EEENS1_36merge_oddeven_config_static_selectorELNS0_4arch9wavefront6targetE0EEEvSO_ ; -- Begin function _ZN7rocprim17ROCPRIM_400000_NS6detail17trampoline_kernelINS0_14default_configENS1_38merge_sort_block_merge_config_selectorIjN6thrust23THRUST_200600_302600_NS5tupleIffNS6_9null_typeES8_S8_S8_S8_S8_S8_S8_EEEEZZNS1_27merge_sort_block_merge_implIS3_NS6_6detail15normal_iteratorINS6_10device_ptrIjEEEENSD_INSE_IS9_EEEEjNS1_19radix_merge_compareILb0ELb1EjNS0_19identity_decomposerEEEEE10hipError_tT0_T1_T2_jT3_P12ihipStream_tbPNSt15iterator_traitsISN_E10value_typeEPNST_ISO_E10value_typeEPSP_NS1_7vsmem_tEENKUlT_SN_SO_SP_E_clIPjSG_PS9_SI_EESM_S12_SN_SO_SP_EUlS12_E1_NS1_11comp_targetILNS1_3genE0ELNS1_11target_archE4294967295ELNS1_3gpuE0ELNS1_3repE0EEENS1_36merge_oddeven_config_static_selectorELNS0_4arch9wavefront6targetE0EEEvSO_
	.globl	_ZN7rocprim17ROCPRIM_400000_NS6detail17trampoline_kernelINS0_14default_configENS1_38merge_sort_block_merge_config_selectorIjN6thrust23THRUST_200600_302600_NS5tupleIffNS6_9null_typeES8_S8_S8_S8_S8_S8_S8_EEEEZZNS1_27merge_sort_block_merge_implIS3_NS6_6detail15normal_iteratorINS6_10device_ptrIjEEEENSD_INSE_IS9_EEEEjNS1_19radix_merge_compareILb0ELb1EjNS0_19identity_decomposerEEEEE10hipError_tT0_T1_T2_jT3_P12ihipStream_tbPNSt15iterator_traitsISN_E10value_typeEPNST_ISO_E10value_typeEPSP_NS1_7vsmem_tEENKUlT_SN_SO_SP_E_clIPjSG_PS9_SI_EESM_S12_SN_SO_SP_EUlS12_E1_NS1_11comp_targetILNS1_3genE0ELNS1_11target_archE4294967295ELNS1_3gpuE0ELNS1_3repE0EEENS1_36merge_oddeven_config_static_selectorELNS0_4arch9wavefront6targetE0EEEvSO_
	.p2align	8
	.type	_ZN7rocprim17ROCPRIM_400000_NS6detail17trampoline_kernelINS0_14default_configENS1_38merge_sort_block_merge_config_selectorIjN6thrust23THRUST_200600_302600_NS5tupleIffNS6_9null_typeES8_S8_S8_S8_S8_S8_S8_EEEEZZNS1_27merge_sort_block_merge_implIS3_NS6_6detail15normal_iteratorINS6_10device_ptrIjEEEENSD_INSE_IS9_EEEEjNS1_19radix_merge_compareILb0ELb1EjNS0_19identity_decomposerEEEEE10hipError_tT0_T1_T2_jT3_P12ihipStream_tbPNSt15iterator_traitsISN_E10value_typeEPNST_ISO_E10value_typeEPSP_NS1_7vsmem_tEENKUlT_SN_SO_SP_E_clIPjSG_PS9_SI_EESM_S12_SN_SO_SP_EUlS12_E1_NS1_11comp_targetILNS1_3genE0ELNS1_11target_archE4294967295ELNS1_3gpuE0ELNS1_3repE0EEENS1_36merge_oddeven_config_static_selectorELNS0_4arch9wavefront6targetE0EEEvSO_,@function
_ZN7rocprim17ROCPRIM_400000_NS6detail17trampoline_kernelINS0_14default_configENS1_38merge_sort_block_merge_config_selectorIjN6thrust23THRUST_200600_302600_NS5tupleIffNS6_9null_typeES8_S8_S8_S8_S8_S8_S8_EEEEZZNS1_27merge_sort_block_merge_implIS3_NS6_6detail15normal_iteratorINS6_10device_ptrIjEEEENSD_INSE_IS9_EEEEjNS1_19radix_merge_compareILb0ELb1EjNS0_19identity_decomposerEEEEE10hipError_tT0_T1_T2_jT3_P12ihipStream_tbPNSt15iterator_traitsISN_E10value_typeEPNST_ISO_E10value_typeEPSP_NS1_7vsmem_tEENKUlT_SN_SO_SP_E_clIPjSG_PS9_SI_EESM_S12_SN_SO_SP_EUlS12_E1_NS1_11comp_targetILNS1_3genE0ELNS1_11target_archE4294967295ELNS1_3gpuE0ELNS1_3repE0EEENS1_36merge_oddeven_config_static_selectorELNS0_4arch9wavefront6targetE0EEEvSO_: ; @_ZN7rocprim17ROCPRIM_400000_NS6detail17trampoline_kernelINS0_14default_configENS1_38merge_sort_block_merge_config_selectorIjN6thrust23THRUST_200600_302600_NS5tupleIffNS6_9null_typeES8_S8_S8_S8_S8_S8_S8_EEEEZZNS1_27merge_sort_block_merge_implIS3_NS6_6detail15normal_iteratorINS6_10device_ptrIjEEEENSD_INSE_IS9_EEEEjNS1_19radix_merge_compareILb0ELb1EjNS0_19identity_decomposerEEEEE10hipError_tT0_T1_T2_jT3_P12ihipStream_tbPNSt15iterator_traitsISN_E10value_typeEPNST_ISO_E10value_typeEPSP_NS1_7vsmem_tEENKUlT_SN_SO_SP_E_clIPjSG_PS9_SI_EESM_S12_SN_SO_SP_EUlS12_E1_NS1_11comp_targetILNS1_3genE0ELNS1_11target_archE4294967295ELNS1_3gpuE0ELNS1_3repE0EEENS1_36merge_oddeven_config_static_selectorELNS0_4arch9wavefront6targetE0EEEvSO_
; %bb.0:
	.section	.rodata,"a",@progbits
	.p2align	6, 0x0
	.amdhsa_kernel _ZN7rocprim17ROCPRIM_400000_NS6detail17trampoline_kernelINS0_14default_configENS1_38merge_sort_block_merge_config_selectorIjN6thrust23THRUST_200600_302600_NS5tupleIffNS6_9null_typeES8_S8_S8_S8_S8_S8_S8_EEEEZZNS1_27merge_sort_block_merge_implIS3_NS6_6detail15normal_iteratorINS6_10device_ptrIjEEEENSD_INSE_IS9_EEEEjNS1_19radix_merge_compareILb0ELb1EjNS0_19identity_decomposerEEEEE10hipError_tT0_T1_T2_jT3_P12ihipStream_tbPNSt15iterator_traitsISN_E10value_typeEPNST_ISO_E10value_typeEPSP_NS1_7vsmem_tEENKUlT_SN_SO_SP_E_clIPjSG_PS9_SI_EESM_S12_SN_SO_SP_EUlS12_E1_NS1_11comp_targetILNS1_3genE0ELNS1_11target_archE4294967295ELNS1_3gpuE0ELNS1_3repE0EEENS1_36merge_oddeven_config_static_selectorELNS0_4arch9wavefront6targetE0EEEvSO_
		.amdhsa_group_segment_fixed_size 0
		.amdhsa_private_segment_fixed_size 0
		.amdhsa_kernarg_size 48
		.amdhsa_user_sgpr_count 2
		.amdhsa_user_sgpr_dispatch_ptr 0
		.amdhsa_user_sgpr_queue_ptr 0
		.amdhsa_user_sgpr_kernarg_segment_ptr 1
		.amdhsa_user_sgpr_dispatch_id 0
		.amdhsa_user_sgpr_private_segment_size 0
		.amdhsa_wavefront_size32 1
		.amdhsa_uses_dynamic_stack 0
		.amdhsa_enable_private_segment 0
		.amdhsa_system_sgpr_workgroup_id_x 1
		.amdhsa_system_sgpr_workgroup_id_y 0
		.amdhsa_system_sgpr_workgroup_id_z 0
		.amdhsa_system_sgpr_workgroup_info 0
		.amdhsa_system_vgpr_workitem_id 0
		.amdhsa_next_free_vgpr 1
		.amdhsa_next_free_sgpr 1
		.amdhsa_reserve_vcc 0
		.amdhsa_float_round_mode_32 0
		.amdhsa_float_round_mode_16_64 0
		.amdhsa_float_denorm_mode_32 3
		.amdhsa_float_denorm_mode_16_64 3
		.amdhsa_fp16_overflow 0
		.amdhsa_workgroup_processor_mode 1
		.amdhsa_memory_ordered 1
		.amdhsa_forward_progress 1
		.amdhsa_inst_pref_size 0
		.amdhsa_round_robin_scheduling 0
		.amdhsa_exception_fp_ieee_invalid_op 0
		.amdhsa_exception_fp_denorm_src 0
		.amdhsa_exception_fp_ieee_div_zero 0
		.amdhsa_exception_fp_ieee_overflow 0
		.amdhsa_exception_fp_ieee_underflow 0
		.amdhsa_exception_fp_ieee_inexact 0
		.amdhsa_exception_int_div_zero 0
	.end_amdhsa_kernel
	.section	.text._ZN7rocprim17ROCPRIM_400000_NS6detail17trampoline_kernelINS0_14default_configENS1_38merge_sort_block_merge_config_selectorIjN6thrust23THRUST_200600_302600_NS5tupleIffNS6_9null_typeES8_S8_S8_S8_S8_S8_S8_EEEEZZNS1_27merge_sort_block_merge_implIS3_NS6_6detail15normal_iteratorINS6_10device_ptrIjEEEENSD_INSE_IS9_EEEEjNS1_19radix_merge_compareILb0ELb1EjNS0_19identity_decomposerEEEEE10hipError_tT0_T1_T2_jT3_P12ihipStream_tbPNSt15iterator_traitsISN_E10value_typeEPNST_ISO_E10value_typeEPSP_NS1_7vsmem_tEENKUlT_SN_SO_SP_E_clIPjSG_PS9_SI_EESM_S12_SN_SO_SP_EUlS12_E1_NS1_11comp_targetILNS1_3genE0ELNS1_11target_archE4294967295ELNS1_3gpuE0ELNS1_3repE0EEENS1_36merge_oddeven_config_static_selectorELNS0_4arch9wavefront6targetE0EEEvSO_,"axG",@progbits,_ZN7rocprim17ROCPRIM_400000_NS6detail17trampoline_kernelINS0_14default_configENS1_38merge_sort_block_merge_config_selectorIjN6thrust23THRUST_200600_302600_NS5tupleIffNS6_9null_typeES8_S8_S8_S8_S8_S8_S8_EEEEZZNS1_27merge_sort_block_merge_implIS3_NS6_6detail15normal_iteratorINS6_10device_ptrIjEEEENSD_INSE_IS9_EEEEjNS1_19radix_merge_compareILb0ELb1EjNS0_19identity_decomposerEEEEE10hipError_tT0_T1_T2_jT3_P12ihipStream_tbPNSt15iterator_traitsISN_E10value_typeEPNST_ISO_E10value_typeEPSP_NS1_7vsmem_tEENKUlT_SN_SO_SP_E_clIPjSG_PS9_SI_EESM_S12_SN_SO_SP_EUlS12_E1_NS1_11comp_targetILNS1_3genE0ELNS1_11target_archE4294967295ELNS1_3gpuE0ELNS1_3repE0EEENS1_36merge_oddeven_config_static_selectorELNS0_4arch9wavefront6targetE0EEEvSO_,comdat
.Lfunc_end107:
	.size	_ZN7rocprim17ROCPRIM_400000_NS6detail17trampoline_kernelINS0_14default_configENS1_38merge_sort_block_merge_config_selectorIjN6thrust23THRUST_200600_302600_NS5tupleIffNS6_9null_typeES8_S8_S8_S8_S8_S8_S8_EEEEZZNS1_27merge_sort_block_merge_implIS3_NS6_6detail15normal_iteratorINS6_10device_ptrIjEEEENSD_INSE_IS9_EEEEjNS1_19radix_merge_compareILb0ELb1EjNS0_19identity_decomposerEEEEE10hipError_tT0_T1_T2_jT3_P12ihipStream_tbPNSt15iterator_traitsISN_E10value_typeEPNST_ISO_E10value_typeEPSP_NS1_7vsmem_tEENKUlT_SN_SO_SP_E_clIPjSG_PS9_SI_EESM_S12_SN_SO_SP_EUlS12_E1_NS1_11comp_targetILNS1_3genE0ELNS1_11target_archE4294967295ELNS1_3gpuE0ELNS1_3repE0EEENS1_36merge_oddeven_config_static_selectorELNS0_4arch9wavefront6targetE0EEEvSO_, .Lfunc_end107-_ZN7rocprim17ROCPRIM_400000_NS6detail17trampoline_kernelINS0_14default_configENS1_38merge_sort_block_merge_config_selectorIjN6thrust23THRUST_200600_302600_NS5tupleIffNS6_9null_typeES8_S8_S8_S8_S8_S8_S8_EEEEZZNS1_27merge_sort_block_merge_implIS3_NS6_6detail15normal_iteratorINS6_10device_ptrIjEEEENSD_INSE_IS9_EEEEjNS1_19radix_merge_compareILb0ELb1EjNS0_19identity_decomposerEEEEE10hipError_tT0_T1_T2_jT3_P12ihipStream_tbPNSt15iterator_traitsISN_E10value_typeEPNST_ISO_E10value_typeEPSP_NS1_7vsmem_tEENKUlT_SN_SO_SP_E_clIPjSG_PS9_SI_EESM_S12_SN_SO_SP_EUlS12_E1_NS1_11comp_targetILNS1_3genE0ELNS1_11target_archE4294967295ELNS1_3gpuE0ELNS1_3repE0EEENS1_36merge_oddeven_config_static_selectorELNS0_4arch9wavefront6targetE0EEEvSO_
                                        ; -- End function
	.set _ZN7rocprim17ROCPRIM_400000_NS6detail17trampoline_kernelINS0_14default_configENS1_38merge_sort_block_merge_config_selectorIjN6thrust23THRUST_200600_302600_NS5tupleIffNS6_9null_typeES8_S8_S8_S8_S8_S8_S8_EEEEZZNS1_27merge_sort_block_merge_implIS3_NS6_6detail15normal_iteratorINS6_10device_ptrIjEEEENSD_INSE_IS9_EEEEjNS1_19radix_merge_compareILb0ELb1EjNS0_19identity_decomposerEEEEE10hipError_tT0_T1_T2_jT3_P12ihipStream_tbPNSt15iterator_traitsISN_E10value_typeEPNST_ISO_E10value_typeEPSP_NS1_7vsmem_tEENKUlT_SN_SO_SP_E_clIPjSG_PS9_SI_EESM_S12_SN_SO_SP_EUlS12_E1_NS1_11comp_targetILNS1_3genE0ELNS1_11target_archE4294967295ELNS1_3gpuE0ELNS1_3repE0EEENS1_36merge_oddeven_config_static_selectorELNS0_4arch9wavefront6targetE0EEEvSO_.num_vgpr, 0
	.set _ZN7rocprim17ROCPRIM_400000_NS6detail17trampoline_kernelINS0_14default_configENS1_38merge_sort_block_merge_config_selectorIjN6thrust23THRUST_200600_302600_NS5tupleIffNS6_9null_typeES8_S8_S8_S8_S8_S8_S8_EEEEZZNS1_27merge_sort_block_merge_implIS3_NS6_6detail15normal_iteratorINS6_10device_ptrIjEEEENSD_INSE_IS9_EEEEjNS1_19radix_merge_compareILb0ELb1EjNS0_19identity_decomposerEEEEE10hipError_tT0_T1_T2_jT3_P12ihipStream_tbPNSt15iterator_traitsISN_E10value_typeEPNST_ISO_E10value_typeEPSP_NS1_7vsmem_tEENKUlT_SN_SO_SP_E_clIPjSG_PS9_SI_EESM_S12_SN_SO_SP_EUlS12_E1_NS1_11comp_targetILNS1_3genE0ELNS1_11target_archE4294967295ELNS1_3gpuE0ELNS1_3repE0EEENS1_36merge_oddeven_config_static_selectorELNS0_4arch9wavefront6targetE0EEEvSO_.num_agpr, 0
	.set _ZN7rocprim17ROCPRIM_400000_NS6detail17trampoline_kernelINS0_14default_configENS1_38merge_sort_block_merge_config_selectorIjN6thrust23THRUST_200600_302600_NS5tupleIffNS6_9null_typeES8_S8_S8_S8_S8_S8_S8_EEEEZZNS1_27merge_sort_block_merge_implIS3_NS6_6detail15normal_iteratorINS6_10device_ptrIjEEEENSD_INSE_IS9_EEEEjNS1_19radix_merge_compareILb0ELb1EjNS0_19identity_decomposerEEEEE10hipError_tT0_T1_T2_jT3_P12ihipStream_tbPNSt15iterator_traitsISN_E10value_typeEPNST_ISO_E10value_typeEPSP_NS1_7vsmem_tEENKUlT_SN_SO_SP_E_clIPjSG_PS9_SI_EESM_S12_SN_SO_SP_EUlS12_E1_NS1_11comp_targetILNS1_3genE0ELNS1_11target_archE4294967295ELNS1_3gpuE0ELNS1_3repE0EEENS1_36merge_oddeven_config_static_selectorELNS0_4arch9wavefront6targetE0EEEvSO_.numbered_sgpr, 0
	.set _ZN7rocprim17ROCPRIM_400000_NS6detail17trampoline_kernelINS0_14default_configENS1_38merge_sort_block_merge_config_selectorIjN6thrust23THRUST_200600_302600_NS5tupleIffNS6_9null_typeES8_S8_S8_S8_S8_S8_S8_EEEEZZNS1_27merge_sort_block_merge_implIS3_NS6_6detail15normal_iteratorINS6_10device_ptrIjEEEENSD_INSE_IS9_EEEEjNS1_19radix_merge_compareILb0ELb1EjNS0_19identity_decomposerEEEEE10hipError_tT0_T1_T2_jT3_P12ihipStream_tbPNSt15iterator_traitsISN_E10value_typeEPNST_ISO_E10value_typeEPSP_NS1_7vsmem_tEENKUlT_SN_SO_SP_E_clIPjSG_PS9_SI_EESM_S12_SN_SO_SP_EUlS12_E1_NS1_11comp_targetILNS1_3genE0ELNS1_11target_archE4294967295ELNS1_3gpuE0ELNS1_3repE0EEENS1_36merge_oddeven_config_static_selectorELNS0_4arch9wavefront6targetE0EEEvSO_.num_named_barrier, 0
	.set _ZN7rocprim17ROCPRIM_400000_NS6detail17trampoline_kernelINS0_14default_configENS1_38merge_sort_block_merge_config_selectorIjN6thrust23THRUST_200600_302600_NS5tupleIffNS6_9null_typeES8_S8_S8_S8_S8_S8_S8_EEEEZZNS1_27merge_sort_block_merge_implIS3_NS6_6detail15normal_iteratorINS6_10device_ptrIjEEEENSD_INSE_IS9_EEEEjNS1_19radix_merge_compareILb0ELb1EjNS0_19identity_decomposerEEEEE10hipError_tT0_T1_T2_jT3_P12ihipStream_tbPNSt15iterator_traitsISN_E10value_typeEPNST_ISO_E10value_typeEPSP_NS1_7vsmem_tEENKUlT_SN_SO_SP_E_clIPjSG_PS9_SI_EESM_S12_SN_SO_SP_EUlS12_E1_NS1_11comp_targetILNS1_3genE0ELNS1_11target_archE4294967295ELNS1_3gpuE0ELNS1_3repE0EEENS1_36merge_oddeven_config_static_selectorELNS0_4arch9wavefront6targetE0EEEvSO_.private_seg_size, 0
	.set _ZN7rocprim17ROCPRIM_400000_NS6detail17trampoline_kernelINS0_14default_configENS1_38merge_sort_block_merge_config_selectorIjN6thrust23THRUST_200600_302600_NS5tupleIffNS6_9null_typeES8_S8_S8_S8_S8_S8_S8_EEEEZZNS1_27merge_sort_block_merge_implIS3_NS6_6detail15normal_iteratorINS6_10device_ptrIjEEEENSD_INSE_IS9_EEEEjNS1_19radix_merge_compareILb0ELb1EjNS0_19identity_decomposerEEEEE10hipError_tT0_T1_T2_jT3_P12ihipStream_tbPNSt15iterator_traitsISN_E10value_typeEPNST_ISO_E10value_typeEPSP_NS1_7vsmem_tEENKUlT_SN_SO_SP_E_clIPjSG_PS9_SI_EESM_S12_SN_SO_SP_EUlS12_E1_NS1_11comp_targetILNS1_3genE0ELNS1_11target_archE4294967295ELNS1_3gpuE0ELNS1_3repE0EEENS1_36merge_oddeven_config_static_selectorELNS0_4arch9wavefront6targetE0EEEvSO_.uses_vcc, 0
	.set _ZN7rocprim17ROCPRIM_400000_NS6detail17trampoline_kernelINS0_14default_configENS1_38merge_sort_block_merge_config_selectorIjN6thrust23THRUST_200600_302600_NS5tupleIffNS6_9null_typeES8_S8_S8_S8_S8_S8_S8_EEEEZZNS1_27merge_sort_block_merge_implIS3_NS6_6detail15normal_iteratorINS6_10device_ptrIjEEEENSD_INSE_IS9_EEEEjNS1_19radix_merge_compareILb0ELb1EjNS0_19identity_decomposerEEEEE10hipError_tT0_T1_T2_jT3_P12ihipStream_tbPNSt15iterator_traitsISN_E10value_typeEPNST_ISO_E10value_typeEPSP_NS1_7vsmem_tEENKUlT_SN_SO_SP_E_clIPjSG_PS9_SI_EESM_S12_SN_SO_SP_EUlS12_E1_NS1_11comp_targetILNS1_3genE0ELNS1_11target_archE4294967295ELNS1_3gpuE0ELNS1_3repE0EEENS1_36merge_oddeven_config_static_selectorELNS0_4arch9wavefront6targetE0EEEvSO_.uses_flat_scratch, 0
	.set _ZN7rocprim17ROCPRIM_400000_NS6detail17trampoline_kernelINS0_14default_configENS1_38merge_sort_block_merge_config_selectorIjN6thrust23THRUST_200600_302600_NS5tupleIffNS6_9null_typeES8_S8_S8_S8_S8_S8_S8_EEEEZZNS1_27merge_sort_block_merge_implIS3_NS6_6detail15normal_iteratorINS6_10device_ptrIjEEEENSD_INSE_IS9_EEEEjNS1_19radix_merge_compareILb0ELb1EjNS0_19identity_decomposerEEEEE10hipError_tT0_T1_T2_jT3_P12ihipStream_tbPNSt15iterator_traitsISN_E10value_typeEPNST_ISO_E10value_typeEPSP_NS1_7vsmem_tEENKUlT_SN_SO_SP_E_clIPjSG_PS9_SI_EESM_S12_SN_SO_SP_EUlS12_E1_NS1_11comp_targetILNS1_3genE0ELNS1_11target_archE4294967295ELNS1_3gpuE0ELNS1_3repE0EEENS1_36merge_oddeven_config_static_selectorELNS0_4arch9wavefront6targetE0EEEvSO_.has_dyn_sized_stack, 0
	.set _ZN7rocprim17ROCPRIM_400000_NS6detail17trampoline_kernelINS0_14default_configENS1_38merge_sort_block_merge_config_selectorIjN6thrust23THRUST_200600_302600_NS5tupleIffNS6_9null_typeES8_S8_S8_S8_S8_S8_S8_EEEEZZNS1_27merge_sort_block_merge_implIS3_NS6_6detail15normal_iteratorINS6_10device_ptrIjEEEENSD_INSE_IS9_EEEEjNS1_19radix_merge_compareILb0ELb1EjNS0_19identity_decomposerEEEEE10hipError_tT0_T1_T2_jT3_P12ihipStream_tbPNSt15iterator_traitsISN_E10value_typeEPNST_ISO_E10value_typeEPSP_NS1_7vsmem_tEENKUlT_SN_SO_SP_E_clIPjSG_PS9_SI_EESM_S12_SN_SO_SP_EUlS12_E1_NS1_11comp_targetILNS1_3genE0ELNS1_11target_archE4294967295ELNS1_3gpuE0ELNS1_3repE0EEENS1_36merge_oddeven_config_static_selectorELNS0_4arch9wavefront6targetE0EEEvSO_.has_recursion, 0
	.set _ZN7rocprim17ROCPRIM_400000_NS6detail17trampoline_kernelINS0_14default_configENS1_38merge_sort_block_merge_config_selectorIjN6thrust23THRUST_200600_302600_NS5tupleIffNS6_9null_typeES8_S8_S8_S8_S8_S8_S8_EEEEZZNS1_27merge_sort_block_merge_implIS3_NS6_6detail15normal_iteratorINS6_10device_ptrIjEEEENSD_INSE_IS9_EEEEjNS1_19radix_merge_compareILb0ELb1EjNS0_19identity_decomposerEEEEE10hipError_tT0_T1_T2_jT3_P12ihipStream_tbPNSt15iterator_traitsISN_E10value_typeEPNST_ISO_E10value_typeEPSP_NS1_7vsmem_tEENKUlT_SN_SO_SP_E_clIPjSG_PS9_SI_EESM_S12_SN_SO_SP_EUlS12_E1_NS1_11comp_targetILNS1_3genE0ELNS1_11target_archE4294967295ELNS1_3gpuE0ELNS1_3repE0EEENS1_36merge_oddeven_config_static_selectorELNS0_4arch9wavefront6targetE0EEEvSO_.has_indirect_call, 0
	.section	.AMDGPU.csdata,"",@progbits
; Kernel info:
; codeLenInByte = 0
; TotalNumSgprs: 0
; NumVgprs: 0
; ScratchSize: 0
; MemoryBound: 0
; FloatMode: 240
; IeeeMode: 1
; LDSByteSize: 0 bytes/workgroup (compile time only)
; SGPRBlocks: 0
; VGPRBlocks: 0
; NumSGPRsForWavesPerEU: 1
; NumVGPRsForWavesPerEU: 1
; Occupancy: 16
; WaveLimiterHint : 0
; COMPUTE_PGM_RSRC2:SCRATCH_EN: 0
; COMPUTE_PGM_RSRC2:USER_SGPR: 2
; COMPUTE_PGM_RSRC2:TRAP_HANDLER: 0
; COMPUTE_PGM_RSRC2:TGID_X_EN: 1
; COMPUTE_PGM_RSRC2:TGID_Y_EN: 0
; COMPUTE_PGM_RSRC2:TGID_Z_EN: 0
; COMPUTE_PGM_RSRC2:TIDIG_COMP_CNT: 0
	.section	.text._ZN7rocprim17ROCPRIM_400000_NS6detail17trampoline_kernelINS0_14default_configENS1_38merge_sort_block_merge_config_selectorIjN6thrust23THRUST_200600_302600_NS5tupleIffNS6_9null_typeES8_S8_S8_S8_S8_S8_S8_EEEEZZNS1_27merge_sort_block_merge_implIS3_NS6_6detail15normal_iteratorINS6_10device_ptrIjEEEENSD_INSE_IS9_EEEEjNS1_19radix_merge_compareILb0ELb1EjNS0_19identity_decomposerEEEEE10hipError_tT0_T1_T2_jT3_P12ihipStream_tbPNSt15iterator_traitsISN_E10value_typeEPNST_ISO_E10value_typeEPSP_NS1_7vsmem_tEENKUlT_SN_SO_SP_E_clIPjSG_PS9_SI_EESM_S12_SN_SO_SP_EUlS12_E1_NS1_11comp_targetILNS1_3genE10ELNS1_11target_archE1201ELNS1_3gpuE5ELNS1_3repE0EEENS1_36merge_oddeven_config_static_selectorELNS0_4arch9wavefront6targetE0EEEvSO_,"axG",@progbits,_ZN7rocprim17ROCPRIM_400000_NS6detail17trampoline_kernelINS0_14default_configENS1_38merge_sort_block_merge_config_selectorIjN6thrust23THRUST_200600_302600_NS5tupleIffNS6_9null_typeES8_S8_S8_S8_S8_S8_S8_EEEEZZNS1_27merge_sort_block_merge_implIS3_NS6_6detail15normal_iteratorINS6_10device_ptrIjEEEENSD_INSE_IS9_EEEEjNS1_19radix_merge_compareILb0ELb1EjNS0_19identity_decomposerEEEEE10hipError_tT0_T1_T2_jT3_P12ihipStream_tbPNSt15iterator_traitsISN_E10value_typeEPNST_ISO_E10value_typeEPSP_NS1_7vsmem_tEENKUlT_SN_SO_SP_E_clIPjSG_PS9_SI_EESM_S12_SN_SO_SP_EUlS12_E1_NS1_11comp_targetILNS1_3genE10ELNS1_11target_archE1201ELNS1_3gpuE5ELNS1_3repE0EEENS1_36merge_oddeven_config_static_selectorELNS0_4arch9wavefront6targetE0EEEvSO_,comdat
	.protected	_ZN7rocprim17ROCPRIM_400000_NS6detail17trampoline_kernelINS0_14default_configENS1_38merge_sort_block_merge_config_selectorIjN6thrust23THRUST_200600_302600_NS5tupleIffNS6_9null_typeES8_S8_S8_S8_S8_S8_S8_EEEEZZNS1_27merge_sort_block_merge_implIS3_NS6_6detail15normal_iteratorINS6_10device_ptrIjEEEENSD_INSE_IS9_EEEEjNS1_19radix_merge_compareILb0ELb1EjNS0_19identity_decomposerEEEEE10hipError_tT0_T1_T2_jT3_P12ihipStream_tbPNSt15iterator_traitsISN_E10value_typeEPNST_ISO_E10value_typeEPSP_NS1_7vsmem_tEENKUlT_SN_SO_SP_E_clIPjSG_PS9_SI_EESM_S12_SN_SO_SP_EUlS12_E1_NS1_11comp_targetILNS1_3genE10ELNS1_11target_archE1201ELNS1_3gpuE5ELNS1_3repE0EEENS1_36merge_oddeven_config_static_selectorELNS0_4arch9wavefront6targetE0EEEvSO_ ; -- Begin function _ZN7rocprim17ROCPRIM_400000_NS6detail17trampoline_kernelINS0_14default_configENS1_38merge_sort_block_merge_config_selectorIjN6thrust23THRUST_200600_302600_NS5tupleIffNS6_9null_typeES8_S8_S8_S8_S8_S8_S8_EEEEZZNS1_27merge_sort_block_merge_implIS3_NS6_6detail15normal_iteratorINS6_10device_ptrIjEEEENSD_INSE_IS9_EEEEjNS1_19radix_merge_compareILb0ELb1EjNS0_19identity_decomposerEEEEE10hipError_tT0_T1_T2_jT3_P12ihipStream_tbPNSt15iterator_traitsISN_E10value_typeEPNST_ISO_E10value_typeEPSP_NS1_7vsmem_tEENKUlT_SN_SO_SP_E_clIPjSG_PS9_SI_EESM_S12_SN_SO_SP_EUlS12_E1_NS1_11comp_targetILNS1_3genE10ELNS1_11target_archE1201ELNS1_3gpuE5ELNS1_3repE0EEENS1_36merge_oddeven_config_static_selectorELNS0_4arch9wavefront6targetE0EEEvSO_
	.globl	_ZN7rocprim17ROCPRIM_400000_NS6detail17trampoline_kernelINS0_14default_configENS1_38merge_sort_block_merge_config_selectorIjN6thrust23THRUST_200600_302600_NS5tupleIffNS6_9null_typeES8_S8_S8_S8_S8_S8_S8_EEEEZZNS1_27merge_sort_block_merge_implIS3_NS6_6detail15normal_iteratorINS6_10device_ptrIjEEEENSD_INSE_IS9_EEEEjNS1_19radix_merge_compareILb0ELb1EjNS0_19identity_decomposerEEEEE10hipError_tT0_T1_T2_jT3_P12ihipStream_tbPNSt15iterator_traitsISN_E10value_typeEPNST_ISO_E10value_typeEPSP_NS1_7vsmem_tEENKUlT_SN_SO_SP_E_clIPjSG_PS9_SI_EESM_S12_SN_SO_SP_EUlS12_E1_NS1_11comp_targetILNS1_3genE10ELNS1_11target_archE1201ELNS1_3gpuE5ELNS1_3repE0EEENS1_36merge_oddeven_config_static_selectorELNS0_4arch9wavefront6targetE0EEEvSO_
	.p2align	8
	.type	_ZN7rocprim17ROCPRIM_400000_NS6detail17trampoline_kernelINS0_14default_configENS1_38merge_sort_block_merge_config_selectorIjN6thrust23THRUST_200600_302600_NS5tupleIffNS6_9null_typeES8_S8_S8_S8_S8_S8_S8_EEEEZZNS1_27merge_sort_block_merge_implIS3_NS6_6detail15normal_iteratorINS6_10device_ptrIjEEEENSD_INSE_IS9_EEEEjNS1_19radix_merge_compareILb0ELb1EjNS0_19identity_decomposerEEEEE10hipError_tT0_T1_T2_jT3_P12ihipStream_tbPNSt15iterator_traitsISN_E10value_typeEPNST_ISO_E10value_typeEPSP_NS1_7vsmem_tEENKUlT_SN_SO_SP_E_clIPjSG_PS9_SI_EESM_S12_SN_SO_SP_EUlS12_E1_NS1_11comp_targetILNS1_3genE10ELNS1_11target_archE1201ELNS1_3gpuE5ELNS1_3repE0EEENS1_36merge_oddeven_config_static_selectorELNS0_4arch9wavefront6targetE0EEEvSO_,@function
_ZN7rocprim17ROCPRIM_400000_NS6detail17trampoline_kernelINS0_14default_configENS1_38merge_sort_block_merge_config_selectorIjN6thrust23THRUST_200600_302600_NS5tupleIffNS6_9null_typeES8_S8_S8_S8_S8_S8_S8_EEEEZZNS1_27merge_sort_block_merge_implIS3_NS6_6detail15normal_iteratorINS6_10device_ptrIjEEEENSD_INSE_IS9_EEEEjNS1_19radix_merge_compareILb0ELb1EjNS0_19identity_decomposerEEEEE10hipError_tT0_T1_T2_jT3_P12ihipStream_tbPNSt15iterator_traitsISN_E10value_typeEPNST_ISO_E10value_typeEPSP_NS1_7vsmem_tEENKUlT_SN_SO_SP_E_clIPjSG_PS9_SI_EESM_S12_SN_SO_SP_EUlS12_E1_NS1_11comp_targetILNS1_3genE10ELNS1_11target_archE1201ELNS1_3gpuE5ELNS1_3repE0EEENS1_36merge_oddeven_config_static_selectorELNS0_4arch9wavefront6targetE0EEEvSO_: ; @_ZN7rocprim17ROCPRIM_400000_NS6detail17trampoline_kernelINS0_14default_configENS1_38merge_sort_block_merge_config_selectorIjN6thrust23THRUST_200600_302600_NS5tupleIffNS6_9null_typeES8_S8_S8_S8_S8_S8_S8_EEEEZZNS1_27merge_sort_block_merge_implIS3_NS6_6detail15normal_iteratorINS6_10device_ptrIjEEEENSD_INSE_IS9_EEEEjNS1_19radix_merge_compareILb0ELb1EjNS0_19identity_decomposerEEEEE10hipError_tT0_T1_T2_jT3_P12ihipStream_tbPNSt15iterator_traitsISN_E10value_typeEPNST_ISO_E10value_typeEPSP_NS1_7vsmem_tEENKUlT_SN_SO_SP_E_clIPjSG_PS9_SI_EESM_S12_SN_SO_SP_EUlS12_E1_NS1_11comp_targetILNS1_3genE10ELNS1_11target_archE1201ELNS1_3gpuE5ELNS1_3repE0EEENS1_36merge_oddeven_config_static_selectorELNS0_4arch9wavefront6targetE0EEEvSO_
; %bb.0:
	s_load_b32 s14, s[0:1], 0x20
	s_lshl_b32 s12, ttmp9, 8
	s_wait_kmcnt 0x0
	s_lshr_b32 s2, s14, 8
	s_delay_alu instid0(SALU_CYCLE_1) | instskip(SKIP_4) | instid1(SALU_CYCLE_1)
	s_cmp_eq_u32 ttmp9, s2
	s_cselect_b32 s15, -1, 0
	s_cmp_lg_u32 ttmp9, s2
	s_cselect_b32 s2, -1, 0
	s_sub_co_i32 s3, s14, s12
	v_cmp_gt_u32_e64 s3, s3, v0
	s_or_b32 s2, s2, s3
	s_wait_alu 0xfffe
	s_and_saveexec_b32 s4, s2
	s_cbranch_execz .LBB108_24
; %bb.1:
	s_load_b256 s[4:11], s[0:1], 0x0
	s_mov_b32 s13, 0
	v_lshlrev_b32_e32 v1, 2, v0
	v_lshlrev_b32_e32 v2, 3, v0
	s_lshl_b64 s[16:17], s[12:13], 2
	s_lshl_b64 s[18:19], s[12:13], 3
	v_add_nc_u32_e32 v3, s12, v0
	s_mov_b32 s12, -1
	s_wait_kmcnt 0x0
	s_add_nc_u64 s[16:17], s[4:5], s[16:17]
	s_add_nc_u64 s[8:9], s[8:9], s[18:19]
	global_load_b32 v5, v1, s[16:17]
	global_load_b64 v[1:2], v2, s[8:9]
	s_load_b32 s9, s[0:1], 0x24
	s_wait_kmcnt 0x0
	s_lshr_b32 s2, s9, 8
	s_wait_alu 0xfffe
	s_sub_co_i32 s8, 0, s2
	s_delay_alu instid0(SALU_CYCLE_1) | instskip(NEXT) | instid1(SALU_CYCLE_1)
	s_and_b32 s8, ttmp9, s8
	s_and_b32 s2, s8, s2
	s_lshl_b32 s13, s8, 8
	s_sub_co_i32 s8, 0, s9
	s_wait_alu 0xfffe
	s_cmp_eq_u32 s2, 0
	s_cselect_b32 s2, -1, 0
	s_wait_alu 0xfffe
	s_and_b32 s16, s2, exec_lo
	s_cselect_b32 s8, s9, s8
	s_delay_alu instid0(SALU_CYCLE_1) | instskip(NEXT) | instid1(SALU_CYCLE_1)
	s_add_co_i32 s8, s8, s13
	s_cmp_gt_u32 s14, s8
	s_cbranch_scc1 .LBB108_9
; %bb.2:
	s_and_b32 vcc_lo, exec_lo, s15
	s_cbranch_vccz .LBB108_6
; %bb.3:
	s_mov_b32 s12, exec_lo
	v_cmpx_gt_u32_e64 s14, v3
	s_cbranch_execz .LBB108_5
; %bb.4:
	v_mov_b32_e32 v4, 0
	s_delay_alu instid0(VALU_DEP_1) | instskip(SKIP_1) | instid1(VALU_DEP_2)
	v_lshlrev_b64_e32 v[6:7], 2, v[3:4]
	v_lshlrev_b64_e32 v[8:9], 3, v[3:4]
	v_add_co_u32 v6, vcc_lo, s6, v6
	s_delay_alu instid0(VALU_DEP_1) | instskip(NEXT) | instid1(VALU_DEP_3)
	v_add_co_ci_u32_e64 v7, null, s7, v7, vcc_lo
	v_add_co_u32 v8, vcc_lo, s10, v8
	s_wait_alu 0xfffd
	s_delay_alu instid0(VALU_DEP_4)
	v_add_co_ci_u32_e64 v9, null, s11, v9, vcc_lo
	s_wait_loadcnt 0x1
	global_store_b32 v[6:7], v5, off
	s_wait_loadcnt 0x0
	global_store_b64 v[8:9], v[1:2], off
.LBB108_5:
	s_wait_alu 0xfffe
	s_or_b32 exec_lo, exec_lo, s12
	s_mov_b32 s12, 0
.LBB108_6:
	s_wait_alu 0xfffe
	s_and_not1_b32 vcc_lo, exec_lo, s12
	s_wait_alu 0xfffe
	s_cbranch_vccnz .LBB108_8
; %bb.7:
	v_mov_b32_e32 v4, 0
	s_delay_alu instid0(VALU_DEP_1) | instskip(SKIP_1) | instid1(VALU_DEP_2)
	v_lshlrev_b64_e32 v[6:7], 2, v[3:4]
	v_lshlrev_b64_e32 v[8:9], 3, v[3:4]
	v_add_co_u32 v6, vcc_lo, s6, v6
	s_wait_alu 0xfffd
	s_delay_alu instid0(VALU_DEP_3) | instskip(NEXT) | instid1(VALU_DEP_3)
	v_add_co_ci_u32_e64 v7, null, s7, v7, vcc_lo
	v_add_co_u32 v8, vcc_lo, s10, v8
	s_wait_alu 0xfffd
	v_add_co_ci_u32_e64 v9, null, s11, v9, vcc_lo
	s_wait_loadcnt 0x1
	global_store_b32 v[6:7], v5, off
	s_wait_loadcnt 0x0
	global_store_b64 v[8:9], v[1:2], off
.LBB108_8:
	s_mov_b32 s12, 0
.LBB108_9:
	s_wait_alu 0xfffe
	s_and_not1_b32 vcc_lo, exec_lo, s12
	s_wait_alu 0xfffe
	s_cbranch_vccnz .LBB108_24
; %bb.10:
	s_load_b32 s0, s[0:1], 0x28
	s_min_u32 s1, s8, s14
	s_and_b32 vcc_lo, exec_lo, s15
	s_add_co_i32 s12, s13, s1
	s_add_co_i32 s9, s1, s9
	s_wait_alu 0xfffe
	v_subrev_nc_u32_e32 v0, s12, v3
	s_min_u32 s12, s13, s1
	s_min_u32 s9, s9, s14
	s_wait_alu 0xfffe
	s_delay_alu instid0(VALU_DEP_1)
	v_add_nc_u32_e32 v0, s12, v0
	s_mov_b32 s12, -1
	s_wait_loadcnt 0x1
	s_wait_kmcnt 0x0
	v_and_b32_e32 v6, s0, v5
	s_cbranch_vccz .LBB108_18
; %bb.11:
	s_and_saveexec_b32 s12, s3
	s_cbranch_execz .LBB108_17
; %bb.12:
	v_mov_b32_e32 v7, s1
	s_cmp_ge_u32 s8, s9
	s_cbranch_scc1 .LBB108_16
; %bb.13:
	v_dual_mov_b32 v8, s9 :: v_dual_mov_b32 v7, s1
	v_mov_b32_e32 v4, 0
	s_mov_b32 s3, 0
.LBB108_14:                             ; =>This Inner Loop Header: Depth=1
	s_delay_alu instid0(VALU_DEP_2) | instskip(NEXT) | instid1(VALU_DEP_1)
	v_add_nc_u32_e32 v3, v7, v8
	v_lshrrev_b32_e32 v3, 1, v3
	s_delay_alu instid0(VALU_DEP_1) | instskip(NEXT) | instid1(VALU_DEP_1)
	v_lshlrev_b64_e32 v[9:10], 2, v[3:4]
	v_add_co_u32 v9, vcc_lo, s4, v9
	s_wait_alu 0xfffd
	s_delay_alu instid0(VALU_DEP_2) | instskip(SKIP_3) | instid1(VALU_DEP_1)
	v_add_co_ci_u32_e64 v10, null, s5, v10, vcc_lo
	global_load_b32 v9, v[9:10], off
	s_wait_loadcnt 0x0
	v_and_b32_e32 v9, s0, v9
	v_cmp_gt_u32_e32 vcc_lo, v6, v9
	s_wait_alu 0xfffd
	v_cndmask_b32_e64 v10, 0, 1, vcc_lo
	v_cmp_le_u32_e32 vcc_lo, v9, v6
	s_wait_alu 0xfffd
	v_cndmask_b32_e64 v9, 0, 1, vcc_lo
	s_delay_alu instid0(VALU_DEP_1) | instskip(SKIP_1) | instid1(VALU_DEP_2)
	v_cndmask_b32_e64 v9, v9, v10, s2
	v_add_nc_u32_e32 v10, 1, v3
	v_and_b32_e32 v9, 1, v9
	s_delay_alu instid0(VALU_DEP_1) | instskip(SKIP_3) | instid1(VALU_DEP_1)
	v_cmp_eq_u32_e32 vcc_lo, 1, v9
	s_wait_alu 0xfffd
	v_cndmask_b32_e32 v8, v3, v8, vcc_lo
	v_cndmask_b32_e32 v7, v7, v10, vcc_lo
	v_cmp_ge_u32_e32 vcc_lo, v7, v8
	s_wait_alu 0xfffe
	s_or_b32 s3, vcc_lo, s3
	s_wait_alu 0xfffe
	s_and_not1_b32 exec_lo, exec_lo, s3
	s_cbranch_execnz .LBB108_14
; %bb.15:
	s_or_b32 exec_lo, exec_lo, s3
.LBB108_16:
	s_delay_alu instid0(VALU_DEP_1) | instskip(NEXT) | instid1(VALU_DEP_1)
	v_dual_mov_b32 v4, 0 :: v_dual_add_nc_u32 v3, v7, v0
	v_lshlrev_b64_e32 v[7:8], 2, v[3:4]
	v_lshlrev_b64_e32 v[3:4], 3, v[3:4]
	s_delay_alu instid0(VALU_DEP_2) | instskip(SKIP_1) | instid1(VALU_DEP_3)
	v_add_co_u32 v7, vcc_lo, s6, v7
	s_wait_alu 0xfffd
	v_add_co_ci_u32_e64 v8, null, s7, v8, vcc_lo
	s_delay_alu instid0(VALU_DEP_3)
	v_add_co_u32 v3, vcc_lo, s10, v3
	s_wait_alu 0xfffd
	v_add_co_ci_u32_e64 v4, null, s11, v4, vcc_lo
	global_store_b32 v[7:8], v5, off
	s_wait_loadcnt 0x0
	global_store_b64 v[3:4], v[1:2], off
.LBB108_17:
	s_wait_alu 0xfffe
	s_or_b32 exec_lo, exec_lo, s12
	s_mov_b32 s12, 0
.LBB108_18:
	s_wait_alu 0xfffe
	s_and_not1_b32 vcc_lo, exec_lo, s12
	s_wait_alu 0xfffe
	s_cbranch_vccnz .LBB108_24
; %bb.19:
	v_mov_b32_e32 v7, s1
	s_cmp_ge_u32 s8, s9
	s_cbranch_scc1 .LBB108_23
; %bb.20:
	v_dual_mov_b32 v8, s9 :: v_dual_mov_b32 v7, s1
	v_mov_b32_e32 v4, 0
	s_mov_b32 s1, 0
.LBB108_21:                             ; =>This Inner Loop Header: Depth=1
	s_delay_alu instid0(VALU_DEP_2) | instskip(NEXT) | instid1(VALU_DEP_1)
	v_add_nc_u32_e32 v3, v7, v8
	v_lshrrev_b32_e32 v3, 1, v3
	s_delay_alu instid0(VALU_DEP_1) | instskip(NEXT) | instid1(VALU_DEP_1)
	v_lshlrev_b64_e32 v[9:10], 2, v[3:4]
	v_add_co_u32 v9, vcc_lo, s4, v9
	s_wait_alu 0xfffd
	s_delay_alu instid0(VALU_DEP_2) | instskip(SKIP_3) | instid1(VALU_DEP_1)
	v_add_co_ci_u32_e64 v10, null, s5, v10, vcc_lo
	global_load_b32 v9, v[9:10], off
	s_wait_loadcnt 0x0
	v_and_b32_e32 v9, s0, v9
	v_cmp_gt_u32_e32 vcc_lo, v6, v9
	s_wait_alu 0xfffd
	v_cndmask_b32_e64 v10, 0, 1, vcc_lo
	v_cmp_le_u32_e32 vcc_lo, v9, v6
	s_wait_alu 0xfffd
	v_cndmask_b32_e64 v9, 0, 1, vcc_lo
	s_delay_alu instid0(VALU_DEP_1) | instskip(SKIP_1) | instid1(VALU_DEP_2)
	v_cndmask_b32_e64 v9, v9, v10, s2
	v_add_nc_u32_e32 v10, 1, v3
	v_and_b32_e32 v9, 1, v9
	s_delay_alu instid0(VALU_DEP_1) | instskip(SKIP_3) | instid1(VALU_DEP_1)
	v_cmp_eq_u32_e32 vcc_lo, 1, v9
	s_wait_alu 0xfffd
	v_cndmask_b32_e32 v8, v3, v8, vcc_lo
	v_cndmask_b32_e32 v7, v7, v10, vcc_lo
	v_cmp_ge_u32_e32 vcc_lo, v7, v8
	s_wait_alu 0xfffe
	s_or_b32 s1, vcc_lo, s1
	s_wait_alu 0xfffe
	s_and_not1_b32 exec_lo, exec_lo, s1
	s_cbranch_execnz .LBB108_21
; %bb.22:
	s_or_b32 exec_lo, exec_lo, s1
.LBB108_23:
	s_delay_alu instid0(VALU_DEP_1) | instskip(NEXT) | instid1(VALU_DEP_1)
	v_dual_mov_b32 v4, 0 :: v_dual_add_nc_u32 v3, v7, v0
	v_lshlrev_b64_e32 v[6:7], 2, v[3:4]
	v_lshlrev_b64_e32 v[3:4], 3, v[3:4]
	s_delay_alu instid0(VALU_DEP_2) | instskip(SKIP_1) | instid1(VALU_DEP_3)
	v_add_co_u32 v6, vcc_lo, s6, v6
	s_wait_alu 0xfffd
	v_add_co_ci_u32_e64 v7, null, s7, v7, vcc_lo
	s_delay_alu instid0(VALU_DEP_3)
	v_add_co_u32 v3, vcc_lo, s10, v3
	s_wait_alu 0xfffd
	v_add_co_ci_u32_e64 v4, null, s11, v4, vcc_lo
	global_store_b32 v[6:7], v5, off
	s_wait_loadcnt 0x0
	global_store_b64 v[3:4], v[1:2], off
.LBB108_24:
	s_endpgm
	.section	.rodata,"a",@progbits
	.p2align	6, 0x0
	.amdhsa_kernel _ZN7rocprim17ROCPRIM_400000_NS6detail17trampoline_kernelINS0_14default_configENS1_38merge_sort_block_merge_config_selectorIjN6thrust23THRUST_200600_302600_NS5tupleIffNS6_9null_typeES8_S8_S8_S8_S8_S8_S8_EEEEZZNS1_27merge_sort_block_merge_implIS3_NS6_6detail15normal_iteratorINS6_10device_ptrIjEEEENSD_INSE_IS9_EEEEjNS1_19radix_merge_compareILb0ELb1EjNS0_19identity_decomposerEEEEE10hipError_tT0_T1_T2_jT3_P12ihipStream_tbPNSt15iterator_traitsISN_E10value_typeEPNST_ISO_E10value_typeEPSP_NS1_7vsmem_tEENKUlT_SN_SO_SP_E_clIPjSG_PS9_SI_EESM_S12_SN_SO_SP_EUlS12_E1_NS1_11comp_targetILNS1_3genE10ELNS1_11target_archE1201ELNS1_3gpuE5ELNS1_3repE0EEENS1_36merge_oddeven_config_static_selectorELNS0_4arch9wavefront6targetE0EEEvSO_
		.amdhsa_group_segment_fixed_size 0
		.amdhsa_private_segment_fixed_size 0
		.amdhsa_kernarg_size 48
		.amdhsa_user_sgpr_count 2
		.amdhsa_user_sgpr_dispatch_ptr 0
		.amdhsa_user_sgpr_queue_ptr 0
		.amdhsa_user_sgpr_kernarg_segment_ptr 1
		.amdhsa_user_sgpr_dispatch_id 0
		.amdhsa_user_sgpr_private_segment_size 0
		.amdhsa_wavefront_size32 1
		.amdhsa_uses_dynamic_stack 0
		.amdhsa_enable_private_segment 0
		.amdhsa_system_sgpr_workgroup_id_x 1
		.amdhsa_system_sgpr_workgroup_id_y 0
		.amdhsa_system_sgpr_workgroup_id_z 0
		.amdhsa_system_sgpr_workgroup_info 0
		.amdhsa_system_vgpr_workitem_id 0
		.amdhsa_next_free_vgpr 11
		.amdhsa_next_free_sgpr 20
		.amdhsa_reserve_vcc 1
		.amdhsa_float_round_mode_32 0
		.amdhsa_float_round_mode_16_64 0
		.amdhsa_float_denorm_mode_32 3
		.amdhsa_float_denorm_mode_16_64 3
		.amdhsa_fp16_overflow 0
		.amdhsa_workgroup_processor_mode 1
		.amdhsa_memory_ordered 1
		.amdhsa_forward_progress 1
		.amdhsa_inst_pref_size 10
		.amdhsa_round_robin_scheduling 0
		.amdhsa_exception_fp_ieee_invalid_op 0
		.amdhsa_exception_fp_denorm_src 0
		.amdhsa_exception_fp_ieee_div_zero 0
		.amdhsa_exception_fp_ieee_overflow 0
		.amdhsa_exception_fp_ieee_underflow 0
		.amdhsa_exception_fp_ieee_inexact 0
		.amdhsa_exception_int_div_zero 0
	.end_amdhsa_kernel
	.section	.text._ZN7rocprim17ROCPRIM_400000_NS6detail17trampoline_kernelINS0_14default_configENS1_38merge_sort_block_merge_config_selectorIjN6thrust23THRUST_200600_302600_NS5tupleIffNS6_9null_typeES8_S8_S8_S8_S8_S8_S8_EEEEZZNS1_27merge_sort_block_merge_implIS3_NS6_6detail15normal_iteratorINS6_10device_ptrIjEEEENSD_INSE_IS9_EEEEjNS1_19radix_merge_compareILb0ELb1EjNS0_19identity_decomposerEEEEE10hipError_tT0_T1_T2_jT3_P12ihipStream_tbPNSt15iterator_traitsISN_E10value_typeEPNST_ISO_E10value_typeEPSP_NS1_7vsmem_tEENKUlT_SN_SO_SP_E_clIPjSG_PS9_SI_EESM_S12_SN_SO_SP_EUlS12_E1_NS1_11comp_targetILNS1_3genE10ELNS1_11target_archE1201ELNS1_3gpuE5ELNS1_3repE0EEENS1_36merge_oddeven_config_static_selectorELNS0_4arch9wavefront6targetE0EEEvSO_,"axG",@progbits,_ZN7rocprim17ROCPRIM_400000_NS6detail17trampoline_kernelINS0_14default_configENS1_38merge_sort_block_merge_config_selectorIjN6thrust23THRUST_200600_302600_NS5tupleIffNS6_9null_typeES8_S8_S8_S8_S8_S8_S8_EEEEZZNS1_27merge_sort_block_merge_implIS3_NS6_6detail15normal_iteratorINS6_10device_ptrIjEEEENSD_INSE_IS9_EEEEjNS1_19radix_merge_compareILb0ELb1EjNS0_19identity_decomposerEEEEE10hipError_tT0_T1_T2_jT3_P12ihipStream_tbPNSt15iterator_traitsISN_E10value_typeEPNST_ISO_E10value_typeEPSP_NS1_7vsmem_tEENKUlT_SN_SO_SP_E_clIPjSG_PS9_SI_EESM_S12_SN_SO_SP_EUlS12_E1_NS1_11comp_targetILNS1_3genE10ELNS1_11target_archE1201ELNS1_3gpuE5ELNS1_3repE0EEENS1_36merge_oddeven_config_static_selectorELNS0_4arch9wavefront6targetE0EEEvSO_,comdat
.Lfunc_end108:
	.size	_ZN7rocprim17ROCPRIM_400000_NS6detail17trampoline_kernelINS0_14default_configENS1_38merge_sort_block_merge_config_selectorIjN6thrust23THRUST_200600_302600_NS5tupleIffNS6_9null_typeES8_S8_S8_S8_S8_S8_S8_EEEEZZNS1_27merge_sort_block_merge_implIS3_NS6_6detail15normal_iteratorINS6_10device_ptrIjEEEENSD_INSE_IS9_EEEEjNS1_19radix_merge_compareILb0ELb1EjNS0_19identity_decomposerEEEEE10hipError_tT0_T1_T2_jT3_P12ihipStream_tbPNSt15iterator_traitsISN_E10value_typeEPNST_ISO_E10value_typeEPSP_NS1_7vsmem_tEENKUlT_SN_SO_SP_E_clIPjSG_PS9_SI_EESM_S12_SN_SO_SP_EUlS12_E1_NS1_11comp_targetILNS1_3genE10ELNS1_11target_archE1201ELNS1_3gpuE5ELNS1_3repE0EEENS1_36merge_oddeven_config_static_selectorELNS0_4arch9wavefront6targetE0EEEvSO_, .Lfunc_end108-_ZN7rocprim17ROCPRIM_400000_NS6detail17trampoline_kernelINS0_14default_configENS1_38merge_sort_block_merge_config_selectorIjN6thrust23THRUST_200600_302600_NS5tupleIffNS6_9null_typeES8_S8_S8_S8_S8_S8_S8_EEEEZZNS1_27merge_sort_block_merge_implIS3_NS6_6detail15normal_iteratorINS6_10device_ptrIjEEEENSD_INSE_IS9_EEEEjNS1_19radix_merge_compareILb0ELb1EjNS0_19identity_decomposerEEEEE10hipError_tT0_T1_T2_jT3_P12ihipStream_tbPNSt15iterator_traitsISN_E10value_typeEPNST_ISO_E10value_typeEPSP_NS1_7vsmem_tEENKUlT_SN_SO_SP_E_clIPjSG_PS9_SI_EESM_S12_SN_SO_SP_EUlS12_E1_NS1_11comp_targetILNS1_3genE10ELNS1_11target_archE1201ELNS1_3gpuE5ELNS1_3repE0EEENS1_36merge_oddeven_config_static_selectorELNS0_4arch9wavefront6targetE0EEEvSO_
                                        ; -- End function
	.set _ZN7rocprim17ROCPRIM_400000_NS6detail17trampoline_kernelINS0_14default_configENS1_38merge_sort_block_merge_config_selectorIjN6thrust23THRUST_200600_302600_NS5tupleIffNS6_9null_typeES8_S8_S8_S8_S8_S8_S8_EEEEZZNS1_27merge_sort_block_merge_implIS3_NS6_6detail15normal_iteratorINS6_10device_ptrIjEEEENSD_INSE_IS9_EEEEjNS1_19radix_merge_compareILb0ELb1EjNS0_19identity_decomposerEEEEE10hipError_tT0_T1_T2_jT3_P12ihipStream_tbPNSt15iterator_traitsISN_E10value_typeEPNST_ISO_E10value_typeEPSP_NS1_7vsmem_tEENKUlT_SN_SO_SP_E_clIPjSG_PS9_SI_EESM_S12_SN_SO_SP_EUlS12_E1_NS1_11comp_targetILNS1_3genE10ELNS1_11target_archE1201ELNS1_3gpuE5ELNS1_3repE0EEENS1_36merge_oddeven_config_static_selectorELNS0_4arch9wavefront6targetE0EEEvSO_.num_vgpr, 11
	.set _ZN7rocprim17ROCPRIM_400000_NS6detail17trampoline_kernelINS0_14default_configENS1_38merge_sort_block_merge_config_selectorIjN6thrust23THRUST_200600_302600_NS5tupleIffNS6_9null_typeES8_S8_S8_S8_S8_S8_S8_EEEEZZNS1_27merge_sort_block_merge_implIS3_NS6_6detail15normal_iteratorINS6_10device_ptrIjEEEENSD_INSE_IS9_EEEEjNS1_19radix_merge_compareILb0ELb1EjNS0_19identity_decomposerEEEEE10hipError_tT0_T1_T2_jT3_P12ihipStream_tbPNSt15iterator_traitsISN_E10value_typeEPNST_ISO_E10value_typeEPSP_NS1_7vsmem_tEENKUlT_SN_SO_SP_E_clIPjSG_PS9_SI_EESM_S12_SN_SO_SP_EUlS12_E1_NS1_11comp_targetILNS1_3genE10ELNS1_11target_archE1201ELNS1_3gpuE5ELNS1_3repE0EEENS1_36merge_oddeven_config_static_selectorELNS0_4arch9wavefront6targetE0EEEvSO_.num_agpr, 0
	.set _ZN7rocprim17ROCPRIM_400000_NS6detail17trampoline_kernelINS0_14default_configENS1_38merge_sort_block_merge_config_selectorIjN6thrust23THRUST_200600_302600_NS5tupleIffNS6_9null_typeES8_S8_S8_S8_S8_S8_S8_EEEEZZNS1_27merge_sort_block_merge_implIS3_NS6_6detail15normal_iteratorINS6_10device_ptrIjEEEENSD_INSE_IS9_EEEEjNS1_19radix_merge_compareILb0ELb1EjNS0_19identity_decomposerEEEEE10hipError_tT0_T1_T2_jT3_P12ihipStream_tbPNSt15iterator_traitsISN_E10value_typeEPNST_ISO_E10value_typeEPSP_NS1_7vsmem_tEENKUlT_SN_SO_SP_E_clIPjSG_PS9_SI_EESM_S12_SN_SO_SP_EUlS12_E1_NS1_11comp_targetILNS1_3genE10ELNS1_11target_archE1201ELNS1_3gpuE5ELNS1_3repE0EEENS1_36merge_oddeven_config_static_selectorELNS0_4arch9wavefront6targetE0EEEvSO_.numbered_sgpr, 20
	.set _ZN7rocprim17ROCPRIM_400000_NS6detail17trampoline_kernelINS0_14default_configENS1_38merge_sort_block_merge_config_selectorIjN6thrust23THRUST_200600_302600_NS5tupleIffNS6_9null_typeES8_S8_S8_S8_S8_S8_S8_EEEEZZNS1_27merge_sort_block_merge_implIS3_NS6_6detail15normal_iteratorINS6_10device_ptrIjEEEENSD_INSE_IS9_EEEEjNS1_19radix_merge_compareILb0ELb1EjNS0_19identity_decomposerEEEEE10hipError_tT0_T1_T2_jT3_P12ihipStream_tbPNSt15iterator_traitsISN_E10value_typeEPNST_ISO_E10value_typeEPSP_NS1_7vsmem_tEENKUlT_SN_SO_SP_E_clIPjSG_PS9_SI_EESM_S12_SN_SO_SP_EUlS12_E1_NS1_11comp_targetILNS1_3genE10ELNS1_11target_archE1201ELNS1_3gpuE5ELNS1_3repE0EEENS1_36merge_oddeven_config_static_selectorELNS0_4arch9wavefront6targetE0EEEvSO_.num_named_barrier, 0
	.set _ZN7rocprim17ROCPRIM_400000_NS6detail17trampoline_kernelINS0_14default_configENS1_38merge_sort_block_merge_config_selectorIjN6thrust23THRUST_200600_302600_NS5tupleIffNS6_9null_typeES8_S8_S8_S8_S8_S8_S8_EEEEZZNS1_27merge_sort_block_merge_implIS3_NS6_6detail15normal_iteratorINS6_10device_ptrIjEEEENSD_INSE_IS9_EEEEjNS1_19radix_merge_compareILb0ELb1EjNS0_19identity_decomposerEEEEE10hipError_tT0_T1_T2_jT3_P12ihipStream_tbPNSt15iterator_traitsISN_E10value_typeEPNST_ISO_E10value_typeEPSP_NS1_7vsmem_tEENKUlT_SN_SO_SP_E_clIPjSG_PS9_SI_EESM_S12_SN_SO_SP_EUlS12_E1_NS1_11comp_targetILNS1_3genE10ELNS1_11target_archE1201ELNS1_3gpuE5ELNS1_3repE0EEENS1_36merge_oddeven_config_static_selectorELNS0_4arch9wavefront6targetE0EEEvSO_.private_seg_size, 0
	.set _ZN7rocprim17ROCPRIM_400000_NS6detail17trampoline_kernelINS0_14default_configENS1_38merge_sort_block_merge_config_selectorIjN6thrust23THRUST_200600_302600_NS5tupleIffNS6_9null_typeES8_S8_S8_S8_S8_S8_S8_EEEEZZNS1_27merge_sort_block_merge_implIS3_NS6_6detail15normal_iteratorINS6_10device_ptrIjEEEENSD_INSE_IS9_EEEEjNS1_19radix_merge_compareILb0ELb1EjNS0_19identity_decomposerEEEEE10hipError_tT0_T1_T2_jT3_P12ihipStream_tbPNSt15iterator_traitsISN_E10value_typeEPNST_ISO_E10value_typeEPSP_NS1_7vsmem_tEENKUlT_SN_SO_SP_E_clIPjSG_PS9_SI_EESM_S12_SN_SO_SP_EUlS12_E1_NS1_11comp_targetILNS1_3genE10ELNS1_11target_archE1201ELNS1_3gpuE5ELNS1_3repE0EEENS1_36merge_oddeven_config_static_selectorELNS0_4arch9wavefront6targetE0EEEvSO_.uses_vcc, 1
	.set _ZN7rocprim17ROCPRIM_400000_NS6detail17trampoline_kernelINS0_14default_configENS1_38merge_sort_block_merge_config_selectorIjN6thrust23THRUST_200600_302600_NS5tupleIffNS6_9null_typeES8_S8_S8_S8_S8_S8_S8_EEEEZZNS1_27merge_sort_block_merge_implIS3_NS6_6detail15normal_iteratorINS6_10device_ptrIjEEEENSD_INSE_IS9_EEEEjNS1_19radix_merge_compareILb0ELb1EjNS0_19identity_decomposerEEEEE10hipError_tT0_T1_T2_jT3_P12ihipStream_tbPNSt15iterator_traitsISN_E10value_typeEPNST_ISO_E10value_typeEPSP_NS1_7vsmem_tEENKUlT_SN_SO_SP_E_clIPjSG_PS9_SI_EESM_S12_SN_SO_SP_EUlS12_E1_NS1_11comp_targetILNS1_3genE10ELNS1_11target_archE1201ELNS1_3gpuE5ELNS1_3repE0EEENS1_36merge_oddeven_config_static_selectorELNS0_4arch9wavefront6targetE0EEEvSO_.uses_flat_scratch, 0
	.set _ZN7rocprim17ROCPRIM_400000_NS6detail17trampoline_kernelINS0_14default_configENS1_38merge_sort_block_merge_config_selectorIjN6thrust23THRUST_200600_302600_NS5tupleIffNS6_9null_typeES8_S8_S8_S8_S8_S8_S8_EEEEZZNS1_27merge_sort_block_merge_implIS3_NS6_6detail15normal_iteratorINS6_10device_ptrIjEEEENSD_INSE_IS9_EEEEjNS1_19radix_merge_compareILb0ELb1EjNS0_19identity_decomposerEEEEE10hipError_tT0_T1_T2_jT3_P12ihipStream_tbPNSt15iterator_traitsISN_E10value_typeEPNST_ISO_E10value_typeEPSP_NS1_7vsmem_tEENKUlT_SN_SO_SP_E_clIPjSG_PS9_SI_EESM_S12_SN_SO_SP_EUlS12_E1_NS1_11comp_targetILNS1_3genE10ELNS1_11target_archE1201ELNS1_3gpuE5ELNS1_3repE0EEENS1_36merge_oddeven_config_static_selectorELNS0_4arch9wavefront6targetE0EEEvSO_.has_dyn_sized_stack, 0
	.set _ZN7rocprim17ROCPRIM_400000_NS6detail17trampoline_kernelINS0_14default_configENS1_38merge_sort_block_merge_config_selectorIjN6thrust23THRUST_200600_302600_NS5tupleIffNS6_9null_typeES8_S8_S8_S8_S8_S8_S8_EEEEZZNS1_27merge_sort_block_merge_implIS3_NS6_6detail15normal_iteratorINS6_10device_ptrIjEEEENSD_INSE_IS9_EEEEjNS1_19radix_merge_compareILb0ELb1EjNS0_19identity_decomposerEEEEE10hipError_tT0_T1_T2_jT3_P12ihipStream_tbPNSt15iterator_traitsISN_E10value_typeEPNST_ISO_E10value_typeEPSP_NS1_7vsmem_tEENKUlT_SN_SO_SP_E_clIPjSG_PS9_SI_EESM_S12_SN_SO_SP_EUlS12_E1_NS1_11comp_targetILNS1_3genE10ELNS1_11target_archE1201ELNS1_3gpuE5ELNS1_3repE0EEENS1_36merge_oddeven_config_static_selectorELNS0_4arch9wavefront6targetE0EEEvSO_.has_recursion, 0
	.set _ZN7rocprim17ROCPRIM_400000_NS6detail17trampoline_kernelINS0_14default_configENS1_38merge_sort_block_merge_config_selectorIjN6thrust23THRUST_200600_302600_NS5tupleIffNS6_9null_typeES8_S8_S8_S8_S8_S8_S8_EEEEZZNS1_27merge_sort_block_merge_implIS3_NS6_6detail15normal_iteratorINS6_10device_ptrIjEEEENSD_INSE_IS9_EEEEjNS1_19radix_merge_compareILb0ELb1EjNS0_19identity_decomposerEEEEE10hipError_tT0_T1_T2_jT3_P12ihipStream_tbPNSt15iterator_traitsISN_E10value_typeEPNST_ISO_E10value_typeEPSP_NS1_7vsmem_tEENKUlT_SN_SO_SP_E_clIPjSG_PS9_SI_EESM_S12_SN_SO_SP_EUlS12_E1_NS1_11comp_targetILNS1_3genE10ELNS1_11target_archE1201ELNS1_3gpuE5ELNS1_3repE0EEENS1_36merge_oddeven_config_static_selectorELNS0_4arch9wavefront6targetE0EEEvSO_.has_indirect_call, 0
	.section	.AMDGPU.csdata,"",@progbits
; Kernel info:
; codeLenInByte = 1168
; TotalNumSgprs: 22
; NumVgprs: 11
; ScratchSize: 0
; MemoryBound: 0
; FloatMode: 240
; IeeeMode: 1
; LDSByteSize: 0 bytes/workgroup (compile time only)
; SGPRBlocks: 0
; VGPRBlocks: 1
; NumSGPRsForWavesPerEU: 22
; NumVGPRsForWavesPerEU: 11
; Occupancy: 16
; WaveLimiterHint : 0
; COMPUTE_PGM_RSRC2:SCRATCH_EN: 0
; COMPUTE_PGM_RSRC2:USER_SGPR: 2
; COMPUTE_PGM_RSRC2:TRAP_HANDLER: 0
; COMPUTE_PGM_RSRC2:TGID_X_EN: 1
; COMPUTE_PGM_RSRC2:TGID_Y_EN: 0
; COMPUTE_PGM_RSRC2:TGID_Z_EN: 0
; COMPUTE_PGM_RSRC2:TIDIG_COMP_CNT: 0
	.section	.text._ZN7rocprim17ROCPRIM_400000_NS6detail17trampoline_kernelINS0_14default_configENS1_38merge_sort_block_merge_config_selectorIjN6thrust23THRUST_200600_302600_NS5tupleIffNS6_9null_typeES8_S8_S8_S8_S8_S8_S8_EEEEZZNS1_27merge_sort_block_merge_implIS3_NS6_6detail15normal_iteratorINS6_10device_ptrIjEEEENSD_INSE_IS9_EEEEjNS1_19radix_merge_compareILb0ELb1EjNS0_19identity_decomposerEEEEE10hipError_tT0_T1_T2_jT3_P12ihipStream_tbPNSt15iterator_traitsISN_E10value_typeEPNST_ISO_E10value_typeEPSP_NS1_7vsmem_tEENKUlT_SN_SO_SP_E_clIPjSG_PS9_SI_EESM_S12_SN_SO_SP_EUlS12_E1_NS1_11comp_targetILNS1_3genE5ELNS1_11target_archE942ELNS1_3gpuE9ELNS1_3repE0EEENS1_36merge_oddeven_config_static_selectorELNS0_4arch9wavefront6targetE0EEEvSO_,"axG",@progbits,_ZN7rocprim17ROCPRIM_400000_NS6detail17trampoline_kernelINS0_14default_configENS1_38merge_sort_block_merge_config_selectorIjN6thrust23THRUST_200600_302600_NS5tupleIffNS6_9null_typeES8_S8_S8_S8_S8_S8_S8_EEEEZZNS1_27merge_sort_block_merge_implIS3_NS6_6detail15normal_iteratorINS6_10device_ptrIjEEEENSD_INSE_IS9_EEEEjNS1_19radix_merge_compareILb0ELb1EjNS0_19identity_decomposerEEEEE10hipError_tT0_T1_T2_jT3_P12ihipStream_tbPNSt15iterator_traitsISN_E10value_typeEPNST_ISO_E10value_typeEPSP_NS1_7vsmem_tEENKUlT_SN_SO_SP_E_clIPjSG_PS9_SI_EESM_S12_SN_SO_SP_EUlS12_E1_NS1_11comp_targetILNS1_3genE5ELNS1_11target_archE942ELNS1_3gpuE9ELNS1_3repE0EEENS1_36merge_oddeven_config_static_selectorELNS0_4arch9wavefront6targetE0EEEvSO_,comdat
	.protected	_ZN7rocprim17ROCPRIM_400000_NS6detail17trampoline_kernelINS0_14default_configENS1_38merge_sort_block_merge_config_selectorIjN6thrust23THRUST_200600_302600_NS5tupleIffNS6_9null_typeES8_S8_S8_S8_S8_S8_S8_EEEEZZNS1_27merge_sort_block_merge_implIS3_NS6_6detail15normal_iteratorINS6_10device_ptrIjEEEENSD_INSE_IS9_EEEEjNS1_19radix_merge_compareILb0ELb1EjNS0_19identity_decomposerEEEEE10hipError_tT0_T1_T2_jT3_P12ihipStream_tbPNSt15iterator_traitsISN_E10value_typeEPNST_ISO_E10value_typeEPSP_NS1_7vsmem_tEENKUlT_SN_SO_SP_E_clIPjSG_PS9_SI_EESM_S12_SN_SO_SP_EUlS12_E1_NS1_11comp_targetILNS1_3genE5ELNS1_11target_archE942ELNS1_3gpuE9ELNS1_3repE0EEENS1_36merge_oddeven_config_static_selectorELNS0_4arch9wavefront6targetE0EEEvSO_ ; -- Begin function _ZN7rocprim17ROCPRIM_400000_NS6detail17trampoline_kernelINS0_14default_configENS1_38merge_sort_block_merge_config_selectorIjN6thrust23THRUST_200600_302600_NS5tupleIffNS6_9null_typeES8_S8_S8_S8_S8_S8_S8_EEEEZZNS1_27merge_sort_block_merge_implIS3_NS6_6detail15normal_iteratorINS6_10device_ptrIjEEEENSD_INSE_IS9_EEEEjNS1_19radix_merge_compareILb0ELb1EjNS0_19identity_decomposerEEEEE10hipError_tT0_T1_T2_jT3_P12ihipStream_tbPNSt15iterator_traitsISN_E10value_typeEPNST_ISO_E10value_typeEPSP_NS1_7vsmem_tEENKUlT_SN_SO_SP_E_clIPjSG_PS9_SI_EESM_S12_SN_SO_SP_EUlS12_E1_NS1_11comp_targetILNS1_3genE5ELNS1_11target_archE942ELNS1_3gpuE9ELNS1_3repE0EEENS1_36merge_oddeven_config_static_selectorELNS0_4arch9wavefront6targetE0EEEvSO_
	.globl	_ZN7rocprim17ROCPRIM_400000_NS6detail17trampoline_kernelINS0_14default_configENS1_38merge_sort_block_merge_config_selectorIjN6thrust23THRUST_200600_302600_NS5tupleIffNS6_9null_typeES8_S8_S8_S8_S8_S8_S8_EEEEZZNS1_27merge_sort_block_merge_implIS3_NS6_6detail15normal_iteratorINS6_10device_ptrIjEEEENSD_INSE_IS9_EEEEjNS1_19radix_merge_compareILb0ELb1EjNS0_19identity_decomposerEEEEE10hipError_tT0_T1_T2_jT3_P12ihipStream_tbPNSt15iterator_traitsISN_E10value_typeEPNST_ISO_E10value_typeEPSP_NS1_7vsmem_tEENKUlT_SN_SO_SP_E_clIPjSG_PS9_SI_EESM_S12_SN_SO_SP_EUlS12_E1_NS1_11comp_targetILNS1_3genE5ELNS1_11target_archE942ELNS1_3gpuE9ELNS1_3repE0EEENS1_36merge_oddeven_config_static_selectorELNS0_4arch9wavefront6targetE0EEEvSO_
	.p2align	8
	.type	_ZN7rocprim17ROCPRIM_400000_NS6detail17trampoline_kernelINS0_14default_configENS1_38merge_sort_block_merge_config_selectorIjN6thrust23THRUST_200600_302600_NS5tupleIffNS6_9null_typeES8_S8_S8_S8_S8_S8_S8_EEEEZZNS1_27merge_sort_block_merge_implIS3_NS6_6detail15normal_iteratorINS6_10device_ptrIjEEEENSD_INSE_IS9_EEEEjNS1_19radix_merge_compareILb0ELb1EjNS0_19identity_decomposerEEEEE10hipError_tT0_T1_T2_jT3_P12ihipStream_tbPNSt15iterator_traitsISN_E10value_typeEPNST_ISO_E10value_typeEPSP_NS1_7vsmem_tEENKUlT_SN_SO_SP_E_clIPjSG_PS9_SI_EESM_S12_SN_SO_SP_EUlS12_E1_NS1_11comp_targetILNS1_3genE5ELNS1_11target_archE942ELNS1_3gpuE9ELNS1_3repE0EEENS1_36merge_oddeven_config_static_selectorELNS0_4arch9wavefront6targetE0EEEvSO_,@function
_ZN7rocprim17ROCPRIM_400000_NS6detail17trampoline_kernelINS0_14default_configENS1_38merge_sort_block_merge_config_selectorIjN6thrust23THRUST_200600_302600_NS5tupleIffNS6_9null_typeES8_S8_S8_S8_S8_S8_S8_EEEEZZNS1_27merge_sort_block_merge_implIS3_NS6_6detail15normal_iteratorINS6_10device_ptrIjEEEENSD_INSE_IS9_EEEEjNS1_19radix_merge_compareILb0ELb1EjNS0_19identity_decomposerEEEEE10hipError_tT0_T1_T2_jT3_P12ihipStream_tbPNSt15iterator_traitsISN_E10value_typeEPNST_ISO_E10value_typeEPSP_NS1_7vsmem_tEENKUlT_SN_SO_SP_E_clIPjSG_PS9_SI_EESM_S12_SN_SO_SP_EUlS12_E1_NS1_11comp_targetILNS1_3genE5ELNS1_11target_archE942ELNS1_3gpuE9ELNS1_3repE0EEENS1_36merge_oddeven_config_static_selectorELNS0_4arch9wavefront6targetE0EEEvSO_: ; @_ZN7rocprim17ROCPRIM_400000_NS6detail17trampoline_kernelINS0_14default_configENS1_38merge_sort_block_merge_config_selectorIjN6thrust23THRUST_200600_302600_NS5tupleIffNS6_9null_typeES8_S8_S8_S8_S8_S8_S8_EEEEZZNS1_27merge_sort_block_merge_implIS3_NS6_6detail15normal_iteratorINS6_10device_ptrIjEEEENSD_INSE_IS9_EEEEjNS1_19radix_merge_compareILb0ELb1EjNS0_19identity_decomposerEEEEE10hipError_tT0_T1_T2_jT3_P12ihipStream_tbPNSt15iterator_traitsISN_E10value_typeEPNST_ISO_E10value_typeEPSP_NS1_7vsmem_tEENKUlT_SN_SO_SP_E_clIPjSG_PS9_SI_EESM_S12_SN_SO_SP_EUlS12_E1_NS1_11comp_targetILNS1_3genE5ELNS1_11target_archE942ELNS1_3gpuE9ELNS1_3repE0EEENS1_36merge_oddeven_config_static_selectorELNS0_4arch9wavefront6targetE0EEEvSO_
; %bb.0:
	.section	.rodata,"a",@progbits
	.p2align	6, 0x0
	.amdhsa_kernel _ZN7rocprim17ROCPRIM_400000_NS6detail17trampoline_kernelINS0_14default_configENS1_38merge_sort_block_merge_config_selectorIjN6thrust23THRUST_200600_302600_NS5tupleIffNS6_9null_typeES8_S8_S8_S8_S8_S8_S8_EEEEZZNS1_27merge_sort_block_merge_implIS3_NS6_6detail15normal_iteratorINS6_10device_ptrIjEEEENSD_INSE_IS9_EEEEjNS1_19radix_merge_compareILb0ELb1EjNS0_19identity_decomposerEEEEE10hipError_tT0_T1_T2_jT3_P12ihipStream_tbPNSt15iterator_traitsISN_E10value_typeEPNST_ISO_E10value_typeEPSP_NS1_7vsmem_tEENKUlT_SN_SO_SP_E_clIPjSG_PS9_SI_EESM_S12_SN_SO_SP_EUlS12_E1_NS1_11comp_targetILNS1_3genE5ELNS1_11target_archE942ELNS1_3gpuE9ELNS1_3repE0EEENS1_36merge_oddeven_config_static_selectorELNS0_4arch9wavefront6targetE0EEEvSO_
		.amdhsa_group_segment_fixed_size 0
		.amdhsa_private_segment_fixed_size 0
		.amdhsa_kernarg_size 48
		.amdhsa_user_sgpr_count 2
		.amdhsa_user_sgpr_dispatch_ptr 0
		.amdhsa_user_sgpr_queue_ptr 0
		.amdhsa_user_sgpr_kernarg_segment_ptr 1
		.amdhsa_user_sgpr_dispatch_id 0
		.amdhsa_user_sgpr_private_segment_size 0
		.amdhsa_wavefront_size32 1
		.amdhsa_uses_dynamic_stack 0
		.amdhsa_enable_private_segment 0
		.amdhsa_system_sgpr_workgroup_id_x 1
		.amdhsa_system_sgpr_workgroup_id_y 0
		.amdhsa_system_sgpr_workgroup_id_z 0
		.amdhsa_system_sgpr_workgroup_info 0
		.amdhsa_system_vgpr_workitem_id 0
		.amdhsa_next_free_vgpr 1
		.amdhsa_next_free_sgpr 1
		.amdhsa_reserve_vcc 0
		.amdhsa_float_round_mode_32 0
		.amdhsa_float_round_mode_16_64 0
		.amdhsa_float_denorm_mode_32 3
		.amdhsa_float_denorm_mode_16_64 3
		.amdhsa_fp16_overflow 0
		.amdhsa_workgroup_processor_mode 1
		.amdhsa_memory_ordered 1
		.amdhsa_forward_progress 1
		.amdhsa_inst_pref_size 0
		.amdhsa_round_robin_scheduling 0
		.amdhsa_exception_fp_ieee_invalid_op 0
		.amdhsa_exception_fp_denorm_src 0
		.amdhsa_exception_fp_ieee_div_zero 0
		.amdhsa_exception_fp_ieee_overflow 0
		.amdhsa_exception_fp_ieee_underflow 0
		.amdhsa_exception_fp_ieee_inexact 0
		.amdhsa_exception_int_div_zero 0
	.end_amdhsa_kernel
	.section	.text._ZN7rocprim17ROCPRIM_400000_NS6detail17trampoline_kernelINS0_14default_configENS1_38merge_sort_block_merge_config_selectorIjN6thrust23THRUST_200600_302600_NS5tupleIffNS6_9null_typeES8_S8_S8_S8_S8_S8_S8_EEEEZZNS1_27merge_sort_block_merge_implIS3_NS6_6detail15normal_iteratorINS6_10device_ptrIjEEEENSD_INSE_IS9_EEEEjNS1_19radix_merge_compareILb0ELb1EjNS0_19identity_decomposerEEEEE10hipError_tT0_T1_T2_jT3_P12ihipStream_tbPNSt15iterator_traitsISN_E10value_typeEPNST_ISO_E10value_typeEPSP_NS1_7vsmem_tEENKUlT_SN_SO_SP_E_clIPjSG_PS9_SI_EESM_S12_SN_SO_SP_EUlS12_E1_NS1_11comp_targetILNS1_3genE5ELNS1_11target_archE942ELNS1_3gpuE9ELNS1_3repE0EEENS1_36merge_oddeven_config_static_selectorELNS0_4arch9wavefront6targetE0EEEvSO_,"axG",@progbits,_ZN7rocprim17ROCPRIM_400000_NS6detail17trampoline_kernelINS0_14default_configENS1_38merge_sort_block_merge_config_selectorIjN6thrust23THRUST_200600_302600_NS5tupleIffNS6_9null_typeES8_S8_S8_S8_S8_S8_S8_EEEEZZNS1_27merge_sort_block_merge_implIS3_NS6_6detail15normal_iteratorINS6_10device_ptrIjEEEENSD_INSE_IS9_EEEEjNS1_19radix_merge_compareILb0ELb1EjNS0_19identity_decomposerEEEEE10hipError_tT0_T1_T2_jT3_P12ihipStream_tbPNSt15iterator_traitsISN_E10value_typeEPNST_ISO_E10value_typeEPSP_NS1_7vsmem_tEENKUlT_SN_SO_SP_E_clIPjSG_PS9_SI_EESM_S12_SN_SO_SP_EUlS12_E1_NS1_11comp_targetILNS1_3genE5ELNS1_11target_archE942ELNS1_3gpuE9ELNS1_3repE0EEENS1_36merge_oddeven_config_static_selectorELNS0_4arch9wavefront6targetE0EEEvSO_,comdat
.Lfunc_end109:
	.size	_ZN7rocprim17ROCPRIM_400000_NS6detail17trampoline_kernelINS0_14default_configENS1_38merge_sort_block_merge_config_selectorIjN6thrust23THRUST_200600_302600_NS5tupleIffNS6_9null_typeES8_S8_S8_S8_S8_S8_S8_EEEEZZNS1_27merge_sort_block_merge_implIS3_NS6_6detail15normal_iteratorINS6_10device_ptrIjEEEENSD_INSE_IS9_EEEEjNS1_19radix_merge_compareILb0ELb1EjNS0_19identity_decomposerEEEEE10hipError_tT0_T1_T2_jT3_P12ihipStream_tbPNSt15iterator_traitsISN_E10value_typeEPNST_ISO_E10value_typeEPSP_NS1_7vsmem_tEENKUlT_SN_SO_SP_E_clIPjSG_PS9_SI_EESM_S12_SN_SO_SP_EUlS12_E1_NS1_11comp_targetILNS1_3genE5ELNS1_11target_archE942ELNS1_3gpuE9ELNS1_3repE0EEENS1_36merge_oddeven_config_static_selectorELNS0_4arch9wavefront6targetE0EEEvSO_, .Lfunc_end109-_ZN7rocprim17ROCPRIM_400000_NS6detail17trampoline_kernelINS0_14default_configENS1_38merge_sort_block_merge_config_selectorIjN6thrust23THRUST_200600_302600_NS5tupleIffNS6_9null_typeES8_S8_S8_S8_S8_S8_S8_EEEEZZNS1_27merge_sort_block_merge_implIS3_NS6_6detail15normal_iteratorINS6_10device_ptrIjEEEENSD_INSE_IS9_EEEEjNS1_19radix_merge_compareILb0ELb1EjNS0_19identity_decomposerEEEEE10hipError_tT0_T1_T2_jT3_P12ihipStream_tbPNSt15iterator_traitsISN_E10value_typeEPNST_ISO_E10value_typeEPSP_NS1_7vsmem_tEENKUlT_SN_SO_SP_E_clIPjSG_PS9_SI_EESM_S12_SN_SO_SP_EUlS12_E1_NS1_11comp_targetILNS1_3genE5ELNS1_11target_archE942ELNS1_3gpuE9ELNS1_3repE0EEENS1_36merge_oddeven_config_static_selectorELNS0_4arch9wavefront6targetE0EEEvSO_
                                        ; -- End function
	.set _ZN7rocprim17ROCPRIM_400000_NS6detail17trampoline_kernelINS0_14default_configENS1_38merge_sort_block_merge_config_selectorIjN6thrust23THRUST_200600_302600_NS5tupleIffNS6_9null_typeES8_S8_S8_S8_S8_S8_S8_EEEEZZNS1_27merge_sort_block_merge_implIS3_NS6_6detail15normal_iteratorINS6_10device_ptrIjEEEENSD_INSE_IS9_EEEEjNS1_19radix_merge_compareILb0ELb1EjNS0_19identity_decomposerEEEEE10hipError_tT0_T1_T2_jT3_P12ihipStream_tbPNSt15iterator_traitsISN_E10value_typeEPNST_ISO_E10value_typeEPSP_NS1_7vsmem_tEENKUlT_SN_SO_SP_E_clIPjSG_PS9_SI_EESM_S12_SN_SO_SP_EUlS12_E1_NS1_11comp_targetILNS1_3genE5ELNS1_11target_archE942ELNS1_3gpuE9ELNS1_3repE0EEENS1_36merge_oddeven_config_static_selectorELNS0_4arch9wavefront6targetE0EEEvSO_.num_vgpr, 0
	.set _ZN7rocprim17ROCPRIM_400000_NS6detail17trampoline_kernelINS0_14default_configENS1_38merge_sort_block_merge_config_selectorIjN6thrust23THRUST_200600_302600_NS5tupleIffNS6_9null_typeES8_S8_S8_S8_S8_S8_S8_EEEEZZNS1_27merge_sort_block_merge_implIS3_NS6_6detail15normal_iteratorINS6_10device_ptrIjEEEENSD_INSE_IS9_EEEEjNS1_19radix_merge_compareILb0ELb1EjNS0_19identity_decomposerEEEEE10hipError_tT0_T1_T2_jT3_P12ihipStream_tbPNSt15iterator_traitsISN_E10value_typeEPNST_ISO_E10value_typeEPSP_NS1_7vsmem_tEENKUlT_SN_SO_SP_E_clIPjSG_PS9_SI_EESM_S12_SN_SO_SP_EUlS12_E1_NS1_11comp_targetILNS1_3genE5ELNS1_11target_archE942ELNS1_3gpuE9ELNS1_3repE0EEENS1_36merge_oddeven_config_static_selectorELNS0_4arch9wavefront6targetE0EEEvSO_.num_agpr, 0
	.set _ZN7rocprim17ROCPRIM_400000_NS6detail17trampoline_kernelINS0_14default_configENS1_38merge_sort_block_merge_config_selectorIjN6thrust23THRUST_200600_302600_NS5tupleIffNS6_9null_typeES8_S8_S8_S8_S8_S8_S8_EEEEZZNS1_27merge_sort_block_merge_implIS3_NS6_6detail15normal_iteratorINS6_10device_ptrIjEEEENSD_INSE_IS9_EEEEjNS1_19radix_merge_compareILb0ELb1EjNS0_19identity_decomposerEEEEE10hipError_tT0_T1_T2_jT3_P12ihipStream_tbPNSt15iterator_traitsISN_E10value_typeEPNST_ISO_E10value_typeEPSP_NS1_7vsmem_tEENKUlT_SN_SO_SP_E_clIPjSG_PS9_SI_EESM_S12_SN_SO_SP_EUlS12_E1_NS1_11comp_targetILNS1_3genE5ELNS1_11target_archE942ELNS1_3gpuE9ELNS1_3repE0EEENS1_36merge_oddeven_config_static_selectorELNS0_4arch9wavefront6targetE0EEEvSO_.numbered_sgpr, 0
	.set _ZN7rocprim17ROCPRIM_400000_NS6detail17trampoline_kernelINS0_14default_configENS1_38merge_sort_block_merge_config_selectorIjN6thrust23THRUST_200600_302600_NS5tupleIffNS6_9null_typeES8_S8_S8_S8_S8_S8_S8_EEEEZZNS1_27merge_sort_block_merge_implIS3_NS6_6detail15normal_iteratorINS6_10device_ptrIjEEEENSD_INSE_IS9_EEEEjNS1_19radix_merge_compareILb0ELb1EjNS0_19identity_decomposerEEEEE10hipError_tT0_T1_T2_jT3_P12ihipStream_tbPNSt15iterator_traitsISN_E10value_typeEPNST_ISO_E10value_typeEPSP_NS1_7vsmem_tEENKUlT_SN_SO_SP_E_clIPjSG_PS9_SI_EESM_S12_SN_SO_SP_EUlS12_E1_NS1_11comp_targetILNS1_3genE5ELNS1_11target_archE942ELNS1_3gpuE9ELNS1_3repE0EEENS1_36merge_oddeven_config_static_selectorELNS0_4arch9wavefront6targetE0EEEvSO_.num_named_barrier, 0
	.set _ZN7rocprim17ROCPRIM_400000_NS6detail17trampoline_kernelINS0_14default_configENS1_38merge_sort_block_merge_config_selectorIjN6thrust23THRUST_200600_302600_NS5tupleIffNS6_9null_typeES8_S8_S8_S8_S8_S8_S8_EEEEZZNS1_27merge_sort_block_merge_implIS3_NS6_6detail15normal_iteratorINS6_10device_ptrIjEEEENSD_INSE_IS9_EEEEjNS1_19radix_merge_compareILb0ELb1EjNS0_19identity_decomposerEEEEE10hipError_tT0_T1_T2_jT3_P12ihipStream_tbPNSt15iterator_traitsISN_E10value_typeEPNST_ISO_E10value_typeEPSP_NS1_7vsmem_tEENKUlT_SN_SO_SP_E_clIPjSG_PS9_SI_EESM_S12_SN_SO_SP_EUlS12_E1_NS1_11comp_targetILNS1_3genE5ELNS1_11target_archE942ELNS1_3gpuE9ELNS1_3repE0EEENS1_36merge_oddeven_config_static_selectorELNS0_4arch9wavefront6targetE0EEEvSO_.private_seg_size, 0
	.set _ZN7rocprim17ROCPRIM_400000_NS6detail17trampoline_kernelINS0_14default_configENS1_38merge_sort_block_merge_config_selectorIjN6thrust23THRUST_200600_302600_NS5tupleIffNS6_9null_typeES8_S8_S8_S8_S8_S8_S8_EEEEZZNS1_27merge_sort_block_merge_implIS3_NS6_6detail15normal_iteratorINS6_10device_ptrIjEEEENSD_INSE_IS9_EEEEjNS1_19radix_merge_compareILb0ELb1EjNS0_19identity_decomposerEEEEE10hipError_tT0_T1_T2_jT3_P12ihipStream_tbPNSt15iterator_traitsISN_E10value_typeEPNST_ISO_E10value_typeEPSP_NS1_7vsmem_tEENKUlT_SN_SO_SP_E_clIPjSG_PS9_SI_EESM_S12_SN_SO_SP_EUlS12_E1_NS1_11comp_targetILNS1_3genE5ELNS1_11target_archE942ELNS1_3gpuE9ELNS1_3repE0EEENS1_36merge_oddeven_config_static_selectorELNS0_4arch9wavefront6targetE0EEEvSO_.uses_vcc, 0
	.set _ZN7rocprim17ROCPRIM_400000_NS6detail17trampoline_kernelINS0_14default_configENS1_38merge_sort_block_merge_config_selectorIjN6thrust23THRUST_200600_302600_NS5tupleIffNS6_9null_typeES8_S8_S8_S8_S8_S8_S8_EEEEZZNS1_27merge_sort_block_merge_implIS3_NS6_6detail15normal_iteratorINS6_10device_ptrIjEEEENSD_INSE_IS9_EEEEjNS1_19radix_merge_compareILb0ELb1EjNS0_19identity_decomposerEEEEE10hipError_tT0_T1_T2_jT3_P12ihipStream_tbPNSt15iterator_traitsISN_E10value_typeEPNST_ISO_E10value_typeEPSP_NS1_7vsmem_tEENKUlT_SN_SO_SP_E_clIPjSG_PS9_SI_EESM_S12_SN_SO_SP_EUlS12_E1_NS1_11comp_targetILNS1_3genE5ELNS1_11target_archE942ELNS1_3gpuE9ELNS1_3repE0EEENS1_36merge_oddeven_config_static_selectorELNS0_4arch9wavefront6targetE0EEEvSO_.uses_flat_scratch, 0
	.set _ZN7rocprim17ROCPRIM_400000_NS6detail17trampoline_kernelINS0_14default_configENS1_38merge_sort_block_merge_config_selectorIjN6thrust23THRUST_200600_302600_NS5tupleIffNS6_9null_typeES8_S8_S8_S8_S8_S8_S8_EEEEZZNS1_27merge_sort_block_merge_implIS3_NS6_6detail15normal_iteratorINS6_10device_ptrIjEEEENSD_INSE_IS9_EEEEjNS1_19radix_merge_compareILb0ELb1EjNS0_19identity_decomposerEEEEE10hipError_tT0_T1_T2_jT3_P12ihipStream_tbPNSt15iterator_traitsISN_E10value_typeEPNST_ISO_E10value_typeEPSP_NS1_7vsmem_tEENKUlT_SN_SO_SP_E_clIPjSG_PS9_SI_EESM_S12_SN_SO_SP_EUlS12_E1_NS1_11comp_targetILNS1_3genE5ELNS1_11target_archE942ELNS1_3gpuE9ELNS1_3repE0EEENS1_36merge_oddeven_config_static_selectorELNS0_4arch9wavefront6targetE0EEEvSO_.has_dyn_sized_stack, 0
	.set _ZN7rocprim17ROCPRIM_400000_NS6detail17trampoline_kernelINS0_14default_configENS1_38merge_sort_block_merge_config_selectorIjN6thrust23THRUST_200600_302600_NS5tupleIffNS6_9null_typeES8_S8_S8_S8_S8_S8_S8_EEEEZZNS1_27merge_sort_block_merge_implIS3_NS6_6detail15normal_iteratorINS6_10device_ptrIjEEEENSD_INSE_IS9_EEEEjNS1_19radix_merge_compareILb0ELb1EjNS0_19identity_decomposerEEEEE10hipError_tT0_T1_T2_jT3_P12ihipStream_tbPNSt15iterator_traitsISN_E10value_typeEPNST_ISO_E10value_typeEPSP_NS1_7vsmem_tEENKUlT_SN_SO_SP_E_clIPjSG_PS9_SI_EESM_S12_SN_SO_SP_EUlS12_E1_NS1_11comp_targetILNS1_3genE5ELNS1_11target_archE942ELNS1_3gpuE9ELNS1_3repE0EEENS1_36merge_oddeven_config_static_selectorELNS0_4arch9wavefront6targetE0EEEvSO_.has_recursion, 0
	.set _ZN7rocprim17ROCPRIM_400000_NS6detail17trampoline_kernelINS0_14default_configENS1_38merge_sort_block_merge_config_selectorIjN6thrust23THRUST_200600_302600_NS5tupleIffNS6_9null_typeES8_S8_S8_S8_S8_S8_S8_EEEEZZNS1_27merge_sort_block_merge_implIS3_NS6_6detail15normal_iteratorINS6_10device_ptrIjEEEENSD_INSE_IS9_EEEEjNS1_19radix_merge_compareILb0ELb1EjNS0_19identity_decomposerEEEEE10hipError_tT0_T1_T2_jT3_P12ihipStream_tbPNSt15iterator_traitsISN_E10value_typeEPNST_ISO_E10value_typeEPSP_NS1_7vsmem_tEENKUlT_SN_SO_SP_E_clIPjSG_PS9_SI_EESM_S12_SN_SO_SP_EUlS12_E1_NS1_11comp_targetILNS1_3genE5ELNS1_11target_archE942ELNS1_3gpuE9ELNS1_3repE0EEENS1_36merge_oddeven_config_static_selectorELNS0_4arch9wavefront6targetE0EEEvSO_.has_indirect_call, 0
	.section	.AMDGPU.csdata,"",@progbits
; Kernel info:
; codeLenInByte = 0
; TotalNumSgprs: 0
; NumVgprs: 0
; ScratchSize: 0
; MemoryBound: 0
; FloatMode: 240
; IeeeMode: 1
; LDSByteSize: 0 bytes/workgroup (compile time only)
; SGPRBlocks: 0
; VGPRBlocks: 0
; NumSGPRsForWavesPerEU: 1
; NumVGPRsForWavesPerEU: 1
; Occupancy: 16
; WaveLimiterHint : 0
; COMPUTE_PGM_RSRC2:SCRATCH_EN: 0
; COMPUTE_PGM_RSRC2:USER_SGPR: 2
; COMPUTE_PGM_RSRC2:TRAP_HANDLER: 0
; COMPUTE_PGM_RSRC2:TGID_X_EN: 1
; COMPUTE_PGM_RSRC2:TGID_Y_EN: 0
; COMPUTE_PGM_RSRC2:TGID_Z_EN: 0
; COMPUTE_PGM_RSRC2:TIDIG_COMP_CNT: 0
	.section	.text._ZN7rocprim17ROCPRIM_400000_NS6detail17trampoline_kernelINS0_14default_configENS1_38merge_sort_block_merge_config_selectorIjN6thrust23THRUST_200600_302600_NS5tupleIffNS6_9null_typeES8_S8_S8_S8_S8_S8_S8_EEEEZZNS1_27merge_sort_block_merge_implIS3_NS6_6detail15normal_iteratorINS6_10device_ptrIjEEEENSD_INSE_IS9_EEEEjNS1_19radix_merge_compareILb0ELb1EjNS0_19identity_decomposerEEEEE10hipError_tT0_T1_T2_jT3_P12ihipStream_tbPNSt15iterator_traitsISN_E10value_typeEPNST_ISO_E10value_typeEPSP_NS1_7vsmem_tEENKUlT_SN_SO_SP_E_clIPjSG_PS9_SI_EESM_S12_SN_SO_SP_EUlS12_E1_NS1_11comp_targetILNS1_3genE4ELNS1_11target_archE910ELNS1_3gpuE8ELNS1_3repE0EEENS1_36merge_oddeven_config_static_selectorELNS0_4arch9wavefront6targetE0EEEvSO_,"axG",@progbits,_ZN7rocprim17ROCPRIM_400000_NS6detail17trampoline_kernelINS0_14default_configENS1_38merge_sort_block_merge_config_selectorIjN6thrust23THRUST_200600_302600_NS5tupleIffNS6_9null_typeES8_S8_S8_S8_S8_S8_S8_EEEEZZNS1_27merge_sort_block_merge_implIS3_NS6_6detail15normal_iteratorINS6_10device_ptrIjEEEENSD_INSE_IS9_EEEEjNS1_19radix_merge_compareILb0ELb1EjNS0_19identity_decomposerEEEEE10hipError_tT0_T1_T2_jT3_P12ihipStream_tbPNSt15iterator_traitsISN_E10value_typeEPNST_ISO_E10value_typeEPSP_NS1_7vsmem_tEENKUlT_SN_SO_SP_E_clIPjSG_PS9_SI_EESM_S12_SN_SO_SP_EUlS12_E1_NS1_11comp_targetILNS1_3genE4ELNS1_11target_archE910ELNS1_3gpuE8ELNS1_3repE0EEENS1_36merge_oddeven_config_static_selectorELNS0_4arch9wavefront6targetE0EEEvSO_,comdat
	.protected	_ZN7rocprim17ROCPRIM_400000_NS6detail17trampoline_kernelINS0_14default_configENS1_38merge_sort_block_merge_config_selectorIjN6thrust23THRUST_200600_302600_NS5tupleIffNS6_9null_typeES8_S8_S8_S8_S8_S8_S8_EEEEZZNS1_27merge_sort_block_merge_implIS3_NS6_6detail15normal_iteratorINS6_10device_ptrIjEEEENSD_INSE_IS9_EEEEjNS1_19radix_merge_compareILb0ELb1EjNS0_19identity_decomposerEEEEE10hipError_tT0_T1_T2_jT3_P12ihipStream_tbPNSt15iterator_traitsISN_E10value_typeEPNST_ISO_E10value_typeEPSP_NS1_7vsmem_tEENKUlT_SN_SO_SP_E_clIPjSG_PS9_SI_EESM_S12_SN_SO_SP_EUlS12_E1_NS1_11comp_targetILNS1_3genE4ELNS1_11target_archE910ELNS1_3gpuE8ELNS1_3repE0EEENS1_36merge_oddeven_config_static_selectorELNS0_4arch9wavefront6targetE0EEEvSO_ ; -- Begin function _ZN7rocprim17ROCPRIM_400000_NS6detail17trampoline_kernelINS0_14default_configENS1_38merge_sort_block_merge_config_selectorIjN6thrust23THRUST_200600_302600_NS5tupleIffNS6_9null_typeES8_S8_S8_S8_S8_S8_S8_EEEEZZNS1_27merge_sort_block_merge_implIS3_NS6_6detail15normal_iteratorINS6_10device_ptrIjEEEENSD_INSE_IS9_EEEEjNS1_19radix_merge_compareILb0ELb1EjNS0_19identity_decomposerEEEEE10hipError_tT0_T1_T2_jT3_P12ihipStream_tbPNSt15iterator_traitsISN_E10value_typeEPNST_ISO_E10value_typeEPSP_NS1_7vsmem_tEENKUlT_SN_SO_SP_E_clIPjSG_PS9_SI_EESM_S12_SN_SO_SP_EUlS12_E1_NS1_11comp_targetILNS1_3genE4ELNS1_11target_archE910ELNS1_3gpuE8ELNS1_3repE0EEENS1_36merge_oddeven_config_static_selectorELNS0_4arch9wavefront6targetE0EEEvSO_
	.globl	_ZN7rocprim17ROCPRIM_400000_NS6detail17trampoline_kernelINS0_14default_configENS1_38merge_sort_block_merge_config_selectorIjN6thrust23THRUST_200600_302600_NS5tupleIffNS6_9null_typeES8_S8_S8_S8_S8_S8_S8_EEEEZZNS1_27merge_sort_block_merge_implIS3_NS6_6detail15normal_iteratorINS6_10device_ptrIjEEEENSD_INSE_IS9_EEEEjNS1_19radix_merge_compareILb0ELb1EjNS0_19identity_decomposerEEEEE10hipError_tT0_T1_T2_jT3_P12ihipStream_tbPNSt15iterator_traitsISN_E10value_typeEPNST_ISO_E10value_typeEPSP_NS1_7vsmem_tEENKUlT_SN_SO_SP_E_clIPjSG_PS9_SI_EESM_S12_SN_SO_SP_EUlS12_E1_NS1_11comp_targetILNS1_3genE4ELNS1_11target_archE910ELNS1_3gpuE8ELNS1_3repE0EEENS1_36merge_oddeven_config_static_selectorELNS0_4arch9wavefront6targetE0EEEvSO_
	.p2align	8
	.type	_ZN7rocprim17ROCPRIM_400000_NS6detail17trampoline_kernelINS0_14default_configENS1_38merge_sort_block_merge_config_selectorIjN6thrust23THRUST_200600_302600_NS5tupleIffNS6_9null_typeES8_S8_S8_S8_S8_S8_S8_EEEEZZNS1_27merge_sort_block_merge_implIS3_NS6_6detail15normal_iteratorINS6_10device_ptrIjEEEENSD_INSE_IS9_EEEEjNS1_19radix_merge_compareILb0ELb1EjNS0_19identity_decomposerEEEEE10hipError_tT0_T1_T2_jT3_P12ihipStream_tbPNSt15iterator_traitsISN_E10value_typeEPNST_ISO_E10value_typeEPSP_NS1_7vsmem_tEENKUlT_SN_SO_SP_E_clIPjSG_PS9_SI_EESM_S12_SN_SO_SP_EUlS12_E1_NS1_11comp_targetILNS1_3genE4ELNS1_11target_archE910ELNS1_3gpuE8ELNS1_3repE0EEENS1_36merge_oddeven_config_static_selectorELNS0_4arch9wavefront6targetE0EEEvSO_,@function
_ZN7rocprim17ROCPRIM_400000_NS6detail17trampoline_kernelINS0_14default_configENS1_38merge_sort_block_merge_config_selectorIjN6thrust23THRUST_200600_302600_NS5tupleIffNS6_9null_typeES8_S8_S8_S8_S8_S8_S8_EEEEZZNS1_27merge_sort_block_merge_implIS3_NS6_6detail15normal_iteratorINS6_10device_ptrIjEEEENSD_INSE_IS9_EEEEjNS1_19radix_merge_compareILb0ELb1EjNS0_19identity_decomposerEEEEE10hipError_tT0_T1_T2_jT3_P12ihipStream_tbPNSt15iterator_traitsISN_E10value_typeEPNST_ISO_E10value_typeEPSP_NS1_7vsmem_tEENKUlT_SN_SO_SP_E_clIPjSG_PS9_SI_EESM_S12_SN_SO_SP_EUlS12_E1_NS1_11comp_targetILNS1_3genE4ELNS1_11target_archE910ELNS1_3gpuE8ELNS1_3repE0EEENS1_36merge_oddeven_config_static_selectorELNS0_4arch9wavefront6targetE0EEEvSO_: ; @_ZN7rocprim17ROCPRIM_400000_NS6detail17trampoline_kernelINS0_14default_configENS1_38merge_sort_block_merge_config_selectorIjN6thrust23THRUST_200600_302600_NS5tupleIffNS6_9null_typeES8_S8_S8_S8_S8_S8_S8_EEEEZZNS1_27merge_sort_block_merge_implIS3_NS6_6detail15normal_iteratorINS6_10device_ptrIjEEEENSD_INSE_IS9_EEEEjNS1_19radix_merge_compareILb0ELb1EjNS0_19identity_decomposerEEEEE10hipError_tT0_T1_T2_jT3_P12ihipStream_tbPNSt15iterator_traitsISN_E10value_typeEPNST_ISO_E10value_typeEPSP_NS1_7vsmem_tEENKUlT_SN_SO_SP_E_clIPjSG_PS9_SI_EESM_S12_SN_SO_SP_EUlS12_E1_NS1_11comp_targetILNS1_3genE4ELNS1_11target_archE910ELNS1_3gpuE8ELNS1_3repE0EEENS1_36merge_oddeven_config_static_selectorELNS0_4arch9wavefront6targetE0EEEvSO_
; %bb.0:
	.section	.rodata,"a",@progbits
	.p2align	6, 0x0
	.amdhsa_kernel _ZN7rocprim17ROCPRIM_400000_NS6detail17trampoline_kernelINS0_14default_configENS1_38merge_sort_block_merge_config_selectorIjN6thrust23THRUST_200600_302600_NS5tupleIffNS6_9null_typeES8_S8_S8_S8_S8_S8_S8_EEEEZZNS1_27merge_sort_block_merge_implIS3_NS6_6detail15normal_iteratorINS6_10device_ptrIjEEEENSD_INSE_IS9_EEEEjNS1_19radix_merge_compareILb0ELb1EjNS0_19identity_decomposerEEEEE10hipError_tT0_T1_T2_jT3_P12ihipStream_tbPNSt15iterator_traitsISN_E10value_typeEPNST_ISO_E10value_typeEPSP_NS1_7vsmem_tEENKUlT_SN_SO_SP_E_clIPjSG_PS9_SI_EESM_S12_SN_SO_SP_EUlS12_E1_NS1_11comp_targetILNS1_3genE4ELNS1_11target_archE910ELNS1_3gpuE8ELNS1_3repE0EEENS1_36merge_oddeven_config_static_selectorELNS0_4arch9wavefront6targetE0EEEvSO_
		.amdhsa_group_segment_fixed_size 0
		.amdhsa_private_segment_fixed_size 0
		.amdhsa_kernarg_size 48
		.amdhsa_user_sgpr_count 2
		.amdhsa_user_sgpr_dispatch_ptr 0
		.amdhsa_user_sgpr_queue_ptr 0
		.amdhsa_user_sgpr_kernarg_segment_ptr 1
		.amdhsa_user_sgpr_dispatch_id 0
		.amdhsa_user_sgpr_private_segment_size 0
		.amdhsa_wavefront_size32 1
		.amdhsa_uses_dynamic_stack 0
		.amdhsa_enable_private_segment 0
		.amdhsa_system_sgpr_workgroup_id_x 1
		.amdhsa_system_sgpr_workgroup_id_y 0
		.amdhsa_system_sgpr_workgroup_id_z 0
		.amdhsa_system_sgpr_workgroup_info 0
		.amdhsa_system_vgpr_workitem_id 0
		.amdhsa_next_free_vgpr 1
		.amdhsa_next_free_sgpr 1
		.amdhsa_reserve_vcc 0
		.amdhsa_float_round_mode_32 0
		.amdhsa_float_round_mode_16_64 0
		.amdhsa_float_denorm_mode_32 3
		.amdhsa_float_denorm_mode_16_64 3
		.amdhsa_fp16_overflow 0
		.amdhsa_workgroup_processor_mode 1
		.amdhsa_memory_ordered 1
		.amdhsa_forward_progress 1
		.amdhsa_inst_pref_size 0
		.amdhsa_round_robin_scheduling 0
		.amdhsa_exception_fp_ieee_invalid_op 0
		.amdhsa_exception_fp_denorm_src 0
		.amdhsa_exception_fp_ieee_div_zero 0
		.amdhsa_exception_fp_ieee_overflow 0
		.amdhsa_exception_fp_ieee_underflow 0
		.amdhsa_exception_fp_ieee_inexact 0
		.amdhsa_exception_int_div_zero 0
	.end_amdhsa_kernel
	.section	.text._ZN7rocprim17ROCPRIM_400000_NS6detail17trampoline_kernelINS0_14default_configENS1_38merge_sort_block_merge_config_selectorIjN6thrust23THRUST_200600_302600_NS5tupleIffNS6_9null_typeES8_S8_S8_S8_S8_S8_S8_EEEEZZNS1_27merge_sort_block_merge_implIS3_NS6_6detail15normal_iteratorINS6_10device_ptrIjEEEENSD_INSE_IS9_EEEEjNS1_19radix_merge_compareILb0ELb1EjNS0_19identity_decomposerEEEEE10hipError_tT0_T1_T2_jT3_P12ihipStream_tbPNSt15iterator_traitsISN_E10value_typeEPNST_ISO_E10value_typeEPSP_NS1_7vsmem_tEENKUlT_SN_SO_SP_E_clIPjSG_PS9_SI_EESM_S12_SN_SO_SP_EUlS12_E1_NS1_11comp_targetILNS1_3genE4ELNS1_11target_archE910ELNS1_3gpuE8ELNS1_3repE0EEENS1_36merge_oddeven_config_static_selectorELNS0_4arch9wavefront6targetE0EEEvSO_,"axG",@progbits,_ZN7rocprim17ROCPRIM_400000_NS6detail17trampoline_kernelINS0_14default_configENS1_38merge_sort_block_merge_config_selectorIjN6thrust23THRUST_200600_302600_NS5tupleIffNS6_9null_typeES8_S8_S8_S8_S8_S8_S8_EEEEZZNS1_27merge_sort_block_merge_implIS3_NS6_6detail15normal_iteratorINS6_10device_ptrIjEEEENSD_INSE_IS9_EEEEjNS1_19radix_merge_compareILb0ELb1EjNS0_19identity_decomposerEEEEE10hipError_tT0_T1_T2_jT3_P12ihipStream_tbPNSt15iterator_traitsISN_E10value_typeEPNST_ISO_E10value_typeEPSP_NS1_7vsmem_tEENKUlT_SN_SO_SP_E_clIPjSG_PS9_SI_EESM_S12_SN_SO_SP_EUlS12_E1_NS1_11comp_targetILNS1_3genE4ELNS1_11target_archE910ELNS1_3gpuE8ELNS1_3repE0EEENS1_36merge_oddeven_config_static_selectorELNS0_4arch9wavefront6targetE0EEEvSO_,comdat
.Lfunc_end110:
	.size	_ZN7rocprim17ROCPRIM_400000_NS6detail17trampoline_kernelINS0_14default_configENS1_38merge_sort_block_merge_config_selectorIjN6thrust23THRUST_200600_302600_NS5tupleIffNS6_9null_typeES8_S8_S8_S8_S8_S8_S8_EEEEZZNS1_27merge_sort_block_merge_implIS3_NS6_6detail15normal_iteratorINS6_10device_ptrIjEEEENSD_INSE_IS9_EEEEjNS1_19radix_merge_compareILb0ELb1EjNS0_19identity_decomposerEEEEE10hipError_tT0_T1_T2_jT3_P12ihipStream_tbPNSt15iterator_traitsISN_E10value_typeEPNST_ISO_E10value_typeEPSP_NS1_7vsmem_tEENKUlT_SN_SO_SP_E_clIPjSG_PS9_SI_EESM_S12_SN_SO_SP_EUlS12_E1_NS1_11comp_targetILNS1_3genE4ELNS1_11target_archE910ELNS1_3gpuE8ELNS1_3repE0EEENS1_36merge_oddeven_config_static_selectorELNS0_4arch9wavefront6targetE0EEEvSO_, .Lfunc_end110-_ZN7rocprim17ROCPRIM_400000_NS6detail17trampoline_kernelINS0_14default_configENS1_38merge_sort_block_merge_config_selectorIjN6thrust23THRUST_200600_302600_NS5tupleIffNS6_9null_typeES8_S8_S8_S8_S8_S8_S8_EEEEZZNS1_27merge_sort_block_merge_implIS3_NS6_6detail15normal_iteratorINS6_10device_ptrIjEEEENSD_INSE_IS9_EEEEjNS1_19radix_merge_compareILb0ELb1EjNS0_19identity_decomposerEEEEE10hipError_tT0_T1_T2_jT3_P12ihipStream_tbPNSt15iterator_traitsISN_E10value_typeEPNST_ISO_E10value_typeEPSP_NS1_7vsmem_tEENKUlT_SN_SO_SP_E_clIPjSG_PS9_SI_EESM_S12_SN_SO_SP_EUlS12_E1_NS1_11comp_targetILNS1_3genE4ELNS1_11target_archE910ELNS1_3gpuE8ELNS1_3repE0EEENS1_36merge_oddeven_config_static_selectorELNS0_4arch9wavefront6targetE0EEEvSO_
                                        ; -- End function
	.set _ZN7rocprim17ROCPRIM_400000_NS6detail17trampoline_kernelINS0_14default_configENS1_38merge_sort_block_merge_config_selectorIjN6thrust23THRUST_200600_302600_NS5tupleIffNS6_9null_typeES8_S8_S8_S8_S8_S8_S8_EEEEZZNS1_27merge_sort_block_merge_implIS3_NS6_6detail15normal_iteratorINS6_10device_ptrIjEEEENSD_INSE_IS9_EEEEjNS1_19radix_merge_compareILb0ELb1EjNS0_19identity_decomposerEEEEE10hipError_tT0_T1_T2_jT3_P12ihipStream_tbPNSt15iterator_traitsISN_E10value_typeEPNST_ISO_E10value_typeEPSP_NS1_7vsmem_tEENKUlT_SN_SO_SP_E_clIPjSG_PS9_SI_EESM_S12_SN_SO_SP_EUlS12_E1_NS1_11comp_targetILNS1_3genE4ELNS1_11target_archE910ELNS1_3gpuE8ELNS1_3repE0EEENS1_36merge_oddeven_config_static_selectorELNS0_4arch9wavefront6targetE0EEEvSO_.num_vgpr, 0
	.set _ZN7rocprim17ROCPRIM_400000_NS6detail17trampoline_kernelINS0_14default_configENS1_38merge_sort_block_merge_config_selectorIjN6thrust23THRUST_200600_302600_NS5tupleIffNS6_9null_typeES8_S8_S8_S8_S8_S8_S8_EEEEZZNS1_27merge_sort_block_merge_implIS3_NS6_6detail15normal_iteratorINS6_10device_ptrIjEEEENSD_INSE_IS9_EEEEjNS1_19radix_merge_compareILb0ELb1EjNS0_19identity_decomposerEEEEE10hipError_tT0_T1_T2_jT3_P12ihipStream_tbPNSt15iterator_traitsISN_E10value_typeEPNST_ISO_E10value_typeEPSP_NS1_7vsmem_tEENKUlT_SN_SO_SP_E_clIPjSG_PS9_SI_EESM_S12_SN_SO_SP_EUlS12_E1_NS1_11comp_targetILNS1_3genE4ELNS1_11target_archE910ELNS1_3gpuE8ELNS1_3repE0EEENS1_36merge_oddeven_config_static_selectorELNS0_4arch9wavefront6targetE0EEEvSO_.num_agpr, 0
	.set _ZN7rocprim17ROCPRIM_400000_NS6detail17trampoline_kernelINS0_14default_configENS1_38merge_sort_block_merge_config_selectorIjN6thrust23THRUST_200600_302600_NS5tupleIffNS6_9null_typeES8_S8_S8_S8_S8_S8_S8_EEEEZZNS1_27merge_sort_block_merge_implIS3_NS6_6detail15normal_iteratorINS6_10device_ptrIjEEEENSD_INSE_IS9_EEEEjNS1_19radix_merge_compareILb0ELb1EjNS0_19identity_decomposerEEEEE10hipError_tT0_T1_T2_jT3_P12ihipStream_tbPNSt15iterator_traitsISN_E10value_typeEPNST_ISO_E10value_typeEPSP_NS1_7vsmem_tEENKUlT_SN_SO_SP_E_clIPjSG_PS9_SI_EESM_S12_SN_SO_SP_EUlS12_E1_NS1_11comp_targetILNS1_3genE4ELNS1_11target_archE910ELNS1_3gpuE8ELNS1_3repE0EEENS1_36merge_oddeven_config_static_selectorELNS0_4arch9wavefront6targetE0EEEvSO_.numbered_sgpr, 0
	.set _ZN7rocprim17ROCPRIM_400000_NS6detail17trampoline_kernelINS0_14default_configENS1_38merge_sort_block_merge_config_selectorIjN6thrust23THRUST_200600_302600_NS5tupleIffNS6_9null_typeES8_S8_S8_S8_S8_S8_S8_EEEEZZNS1_27merge_sort_block_merge_implIS3_NS6_6detail15normal_iteratorINS6_10device_ptrIjEEEENSD_INSE_IS9_EEEEjNS1_19radix_merge_compareILb0ELb1EjNS0_19identity_decomposerEEEEE10hipError_tT0_T1_T2_jT3_P12ihipStream_tbPNSt15iterator_traitsISN_E10value_typeEPNST_ISO_E10value_typeEPSP_NS1_7vsmem_tEENKUlT_SN_SO_SP_E_clIPjSG_PS9_SI_EESM_S12_SN_SO_SP_EUlS12_E1_NS1_11comp_targetILNS1_3genE4ELNS1_11target_archE910ELNS1_3gpuE8ELNS1_3repE0EEENS1_36merge_oddeven_config_static_selectorELNS0_4arch9wavefront6targetE0EEEvSO_.num_named_barrier, 0
	.set _ZN7rocprim17ROCPRIM_400000_NS6detail17trampoline_kernelINS0_14default_configENS1_38merge_sort_block_merge_config_selectorIjN6thrust23THRUST_200600_302600_NS5tupleIffNS6_9null_typeES8_S8_S8_S8_S8_S8_S8_EEEEZZNS1_27merge_sort_block_merge_implIS3_NS6_6detail15normal_iteratorINS6_10device_ptrIjEEEENSD_INSE_IS9_EEEEjNS1_19radix_merge_compareILb0ELb1EjNS0_19identity_decomposerEEEEE10hipError_tT0_T1_T2_jT3_P12ihipStream_tbPNSt15iterator_traitsISN_E10value_typeEPNST_ISO_E10value_typeEPSP_NS1_7vsmem_tEENKUlT_SN_SO_SP_E_clIPjSG_PS9_SI_EESM_S12_SN_SO_SP_EUlS12_E1_NS1_11comp_targetILNS1_3genE4ELNS1_11target_archE910ELNS1_3gpuE8ELNS1_3repE0EEENS1_36merge_oddeven_config_static_selectorELNS0_4arch9wavefront6targetE0EEEvSO_.private_seg_size, 0
	.set _ZN7rocprim17ROCPRIM_400000_NS6detail17trampoline_kernelINS0_14default_configENS1_38merge_sort_block_merge_config_selectorIjN6thrust23THRUST_200600_302600_NS5tupleIffNS6_9null_typeES8_S8_S8_S8_S8_S8_S8_EEEEZZNS1_27merge_sort_block_merge_implIS3_NS6_6detail15normal_iteratorINS6_10device_ptrIjEEEENSD_INSE_IS9_EEEEjNS1_19radix_merge_compareILb0ELb1EjNS0_19identity_decomposerEEEEE10hipError_tT0_T1_T2_jT3_P12ihipStream_tbPNSt15iterator_traitsISN_E10value_typeEPNST_ISO_E10value_typeEPSP_NS1_7vsmem_tEENKUlT_SN_SO_SP_E_clIPjSG_PS9_SI_EESM_S12_SN_SO_SP_EUlS12_E1_NS1_11comp_targetILNS1_3genE4ELNS1_11target_archE910ELNS1_3gpuE8ELNS1_3repE0EEENS1_36merge_oddeven_config_static_selectorELNS0_4arch9wavefront6targetE0EEEvSO_.uses_vcc, 0
	.set _ZN7rocprim17ROCPRIM_400000_NS6detail17trampoline_kernelINS0_14default_configENS1_38merge_sort_block_merge_config_selectorIjN6thrust23THRUST_200600_302600_NS5tupleIffNS6_9null_typeES8_S8_S8_S8_S8_S8_S8_EEEEZZNS1_27merge_sort_block_merge_implIS3_NS6_6detail15normal_iteratorINS6_10device_ptrIjEEEENSD_INSE_IS9_EEEEjNS1_19radix_merge_compareILb0ELb1EjNS0_19identity_decomposerEEEEE10hipError_tT0_T1_T2_jT3_P12ihipStream_tbPNSt15iterator_traitsISN_E10value_typeEPNST_ISO_E10value_typeEPSP_NS1_7vsmem_tEENKUlT_SN_SO_SP_E_clIPjSG_PS9_SI_EESM_S12_SN_SO_SP_EUlS12_E1_NS1_11comp_targetILNS1_3genE4ELNS1_11target_archE910ELNS1_3gpuE8ELNS1_3repE0EEENS1_36merge_oddeven_config_static_selectorELNS0_4arch9wavefront6targetE0EEEvSO_.uses_flat_scratch, 0
	.set _ZN7rocprim17ROCPRIM_400000_NS6detail17trampoline_kernelINS0_14default_configENS1_38merge_sort_block_merge_config_selectorIjN6thrust23THRUST_200600_302600_NS5tupleIffNS6_9null_typeES8_S8_S8_S8_S8_S8_S8_EEEEZZNS1_27merge_sort_block_merge_implIS3_NS6_6detail15normal_iteratorINS6_10device_ptrIjEEEENSD_INSE_IS9_EEEEjNS1_19radix_merge_compareILb0ELb1EjNS0_19identity_decomposerEEEEE10hipError_tT0_T1_T2_jT3_P12ihipStream_tbPNSt15iterator_traitsISN_E10value_typeEPNST_ISO_E10value_typeEPSP_NS1_7vsmem_tEENKUlT_SN_SO_SP_E_clIPjSG_PS9_SI_EESM_S12_SN_SO_SP_EUlS12_E1_NS1_11comp_targetILNS1_3genE4ELNS1_11target_archE910ELNS1_3gpuE8ELNS1_3repE0EEENS1_36merge_oddeven_config_static_selectorELNS0_4arch9wavefront6targetE0EEEvSO_.has_dyn_sized_stack, 0
	.set _ZN7rocprim17ROCPRIM_400000_NS6detail17trampoline_kernelINS0_14default_configENS1_38merge_sort_block_merge_config_selectorIjN6thrust23THRUST_200600_302600_NS5tupleIffNS6_9null_typeES8_S8_S8_S8_S8_S8_S8_EEEEZZNS1_27merge_sort_block_merge_implIS3_NS6_6detail15normal_iteratorINS6_10device_ptrIjEEEENSD_INSE_IS9_EEEEjNS1_19radix_merge_compareILb0ELb1EjNS0_19identity_decomposerEEEEE10hipError_tT0_T1_T2_jT3_P12ihipStream_tbPNSt15iterator_traitsISN_E10value_typeEPNST_ISO_E10value_typeEPSP_NS1_7vsmem_tEENKUlT_SN_SO_SP_E_clIPjSG_PS9_SI_EESM_S12_SN_SO_SP_EUlS12_E1_NS1_11comp_targetILNS1_3genE4ELNS1_11target_archE910ELNS1_3gpuE8ELNS1_3repE0EEENS1_36merge_oddeven_config_static_selectorELNS0_4arch9wavefront6targetE0EEEvSO_.has_recursion, 0
	.set _ZN7rocprim17ROCPRIM_400000_NS6detail17trampoline_kernelINS0_14default_configENS1_38merge_sort_block_merge_config_selectorIjN6thrust23THRUST_200600_302600_NS5tupleIffNS6_9null_typeES8_S8_S8_S8_S8_S8_S8_EEEEZZNS1_27merge_sort_block_merge_implIS3_NS6_6detail15normal_iteratorINS6_10device_ptrIjEEEENSD_INSE_IS9_EEEEjNS1_19radix_merge_compareILb0ELb1EjNS0_19identity_decomposerEEEEE10hipError_tT0_T1_T2_jT3_P12ihipStream_tbPNSt15iterator_traitsISN_E10value_typeEPNST_ISO_E10value_typeEPSP_NS1_7vsmem_tEENKUlT_SN_SO_SP_E_clIPjSG_PS9_SI_EESM_S12_SN_SO_SP_EUlS12_E1_NS1_11comp_targetILNS1_3genE4ELNS1_11target_archE910ELNS1_3gpuE8ELNS1_3repE0EEENS1_36merge_oddeven_config_static_selectorELNS0_4arch9wavefront6targetE0EEEvSO_.has_indirect_call, 0
	.section	.AMDGPU.csdata,"",@progbits
; Kernel info:
; codeLenInByte = 0
; TotalNumSgprs: 0
; NumVgprs: 0
; ScratchSize: 0
; MemoryBound: 0
; FloatMode: 240
; IeeeMode: 1
; LDSByteSize: 0 bytes/workgroup (compile time only)
; SGPRBlocks: 0
; VGPRBlocks: 0
; NumSGPRsForWavesPerEU: 1
; NumVGPRsForWavesPerEU: 1
; Occupancy: 16
; WaveLimiterHint : 0
; COMPUTE_PGM_RSRC2:SCRATCH_EN: 0
; COMPUTE_PGM_RSRC2:USER_SGPR: 2
; COMPUTE_PGM_RSRC2:TRAP_HANDLER: 0
; COMPUTE_PGM_RSRC2:TGID_X_EN: 1
; COMPUTE_PGM_RSRC2:TGID_Y_EN: 0
; COMPUTE_PGM_RSRC2:TGID_Z_EN: 0
; COMPUTE_PGM_RSRC2:TIDIG_COMP_CNT: 0
	.section	.text._ZN7rocprim17ROCPRIM_400000_NS6detail17trampoline_kernelINS0_14default_configENS1_38merge_sort_block_merge_config_selectorIjN6thrust23THRUST_200600_302600_NS5tupleIffNS6_9null_typeES8_S8_S8_S8_S8_S8_S8_EEEEZZNS1_27merge_sort_block_merge_implIS3_NS6_6detail15normal_iteratorINS6_10device_ptrIjEEEENSD_INSE_IS9_EEEEjNS1_19radix_merge_compareILb0ELb1EjNS0_19identity_decomposerEEEEE10hipError_tT0_T1_T2_jT3_P12ihipStream_tbPNSt15iterator_traitsISN_E10value_typeEPNST_ISO_E10value_typeEPSP_NS1_7vsmem_tEENKUlT_SN_SO_SP_E_clIPjSG_PS9_SI_EESM_S12_SN_SO_SP_EUlS12_E1_NS1_11comp_targetILNS1_3genE3ELNS1_11target_archE908ELNS1_3gpuE7ELNS1_3repE0EEENS1_36merge_oddeven_config_static_selectorELNS0_4arch9wavefront6targetE0EEEvSO_,"axG",@progbits,_ZN7rocprim17ROCPRIM_400000_NS6detail17trampoline_kernelINS0_14default_configENS1_38merge_sort_block_merge_config_selectorIjN6thrust23THRUST_200600_302600_NS5tupleIffNS6_9null_typeES8_S8_S8_S8_S8_S8_S8_EEEEZZNS1_27merge_sort_block_merge_implIS3_NS6_6detail15normal_iteratorINS6_10device_ptrIjEEEENSD_INSE_IS9_EEEEjNS1_19radix_merge_compareILb0ELb1EjNS0_19identity_decomposerEEEEE10hipError_tT0_T1_T2_jT3_P12ihipStream_tbPNSt15iterator_traitsISN_E10value_typeEPNST_ISO_E10value_typeEPSP_NS1_7vsmem_tEENKUlT_SN_SO_SP_E_clIPjSG_PS9_SI_EESM_S12_SN_SO_SP_EUlS12_E1_NS1_11comp_targetILNS1_3genE3ELNS1_11target_archE908ELNS1_3gpuE7ELNS1_3repE0EEENS1_36merge_oddeven_config_static_selectorELNS0_4arch9wavefront6targetE0EEEvSO_,comdat
	.protected	_ZN7rocprim17ROCPRIM_400000_NS6detail17trampoline_kernelINS0_14default_configENS1_38merge_sort_block_merge_config_selectorIjN6thrust23THRUST_200600_302600_NS5tupleIffNS6_9null_typeES8_S8_S8_S8_S8_S8_S8_EEEEZZNS1_27merge_sort_block_merge_implIS3_NS6_6detail15normal_iteratorINS6_10device_ptrIjEEEENSD_INSE_IS9_EEEEjNS1_19radix_merge_compareILb0ELb1EjNS0_19identity_decomposerEEEEE10hipError_tT0_T1_T2_jT3_P12ihipStream_tbPNSt15iterator_traitsISN_E10value_typeEPNST_ISO_E10value_typeEPSP_NS1_7vsmem_tEENKUlT_SN_SO_SP_E_clIPjSG_PS9_SI_EESM_S12_SN_SO_SP_EUlS12_E1_NS1_11comp_targetILNS1_3genE3ELNS1_11target_archE908ELNS1_3gpuE7ELNS1_3repE0EEENS1_36merge_oddeven_config_static_selectorELNS0_4arch9wavefront6targetE0EEEvSO_ ; -- Begin function _ZN7rocprim17ROCPRIM_400000_NS6detail17trampoline_kernelINS0_14default_configENS1_38merge_sort_block_merge_config_selectorIjN6thrust23THRUST_200600_302600_NS5tupleIffNS6_9null_typeES8_S8_S8_S8_S8_S8_S8_EEEEZZNS1_27merge_sort_block_merge_implIS3_NS6_6detail15normal_iteratorINS6_10device_ptrIjEEEENSD_INSE_IS9_EEEEjNS1_19radix_merge_compareILb0ELb1EjNS0_19identity_decomposerEEEEE10hipError_tT0_T1_T2_jT3_P12ihipStream_tbPNSt15iterator_traitsISN_E10value_typeEPNST_ISO_E10value_typeEPSP_NS1_7vsmem_tEENKUlT_SN_SO_SP_E_clIPjSG_PS9_SI_EESM_S12_SN_SO_SP_EUlS12_E1_NS1_11comp_targetILNS1_3genE3ELNS1_11target_archE908ELNS1_3gpuE7ELNS1_3repE0EEENS1_36merge_oddeven_config_static_selectorELNS0_4arch9wavefront6targetE0EEEvSO_
	.globl	_ZN7rocprim17ROCPRIM_400000_NS6detail17trampoline_kernelINS0_14default_configENS1_38merge_sort_block_merge_config_selectorIjN6thrust23THRUST_200600_302600_NS5tupleIffNS6_9null_typeES8_S8_S8_S8_S8_S8_S8_EEEEZZNS1_27merge_sort_block_merge_implIS3_NS6_6detail15normal_iteratorINS6_10device_ptrIjEEEENSD_INSE_IS9_EEEEjNS1_19radix_merge_compareILb0ELb1EjNS0_19identity_decomposerEEEEE10hipError_tT0_T1_T2_jT3_P12ihipStream_tbPNSt15iterator_traitsISN_E10value_typeEPNST_ISO_E10value_typeEPSP_NS1_7vsmem_tEENKUlT_SN_SO_SP_E_clIPjSG_PS9_SI_EESM_S12_SN_SO_SP_EUlS12_E1_NS1_11comp_targetILNS1_3genE3ELNS1_11target_archE908ELNS1_3gpuE7ELNS1_3repE0EEENS1_36merge_oddeven_config_static_selectorELNS0_4arch9wavefront6targetE0EEEvSO_
	.p2align	8
	.type	_ZN7rocprim17ROCPRIM_400000_NS6detail17trampoline_kernelINS0_14default_configENS1_38merge_sort_block_merge_config_selectorIjN6thrust23THRUST_200600_302600_NS5tupleIffNS6_9null_typeES8_S8_S8_S8_S8_S8_S8_EEEEZZNS1_27merge_sort_block_merge_implIS3_NS6_6detail15normal_iteratorINS6_10device_ptrIjEEEENSD_INSE_IS9_EEEEjNS1_19radix_merge_compareILb0ELb1EjNS0_19identity_decomposerEEEEE10hipError_tT0_T1_T2_jT3_P12ihipStream_tbPNSt15iterator_traitsISN_E10value_typeEPNST_ISO_E10value_typeEPSP_NS1_7vsmem_tEENKUlT_SN_SO_SP_E_clIPjSG_PS9_SI_EESM_S12_SN_SO_SP_EUlS12_E1_NS1_11comp_targetILNS1_3genE3ELNS1_11target_archE908ELNS1_3gpuE7ELNS1_3repE0EEENS1_36merge_oddeven_config_static_selectorELNS0_4arch9wavefront6targetE0EEEvSO_,@function
_ZN7rocprim17ROCPRIM_400000_NS6detail17trampoline_kernelINS0_14default_configENS1_38merge_sort_block_merge_config_selectorIjN6thrust23THRUST_200600_302600_NS5tupleIffNS6_9null_typeES8_S8_S8_S8_S8_S8_S8_EEEEZZNS1_27merge_sort_block_merge_implIS3_NS6_6detail15normal_iteratorINS6_10device_ptrIjEEEENSD_INSE_IS9_EEEEjNS1_19radix_merge_compareILb0ELb1EjNS0_19identity_decomposerEEEEE10hipError_tT0_T1_T2_jT3_P12ihipStream_tbPNSt15iterator_traitsISN_E10value_typeEPNST_ISO_E10value_typeEPSP_NS1_7vsmem_tEENKUlT_SN_SO_SP_E_clIPjSG_PS9_SI_EESM_S12_SN_SO_SP_EUlS12_E1_NS1_11comp_targetILNS1_3genE3ELNS1_11target_archE908ELNS1_3gpuE7ELNS1_3repE0EEENS1_36merge_oddeven_config_static_selectorELNS0_4arch9wavefront6targetE0EEEvSO_: ; @_ZN7rocprim17ROCPRIM_400000_NS6detail17trampoline_kernelINS0_14default_configENS1_38merge_sort_block_merge_config_selectorIjN6thrust23THRUST_200600_302600_NS5tupleIffNS6_9null_typeES8_S8_S8_S8_S8_S8_S8_EEEEZZNS1_27merge_sort_block_merge_implIS3_NS6_6detail15normal_iteratorINS6_10device_ptrIjEEEENSD_INSE_IS9_EEEEjNS1_19radix_merge_compareILb0ELb1EjNS0_19identity_decomposerEEEEE10hipError_tT0_T1_T2_jT3_P12ihipStream_tbPNSt15iterator_traitsISN_E10value_typeEPNST_ISO_E10value_typeEPSP_NS1_7vsmem_tEENKUlT_SN_SO_SP_E_clIPjSG_PS9_SI_EESM_S12_SN_SO_SP_EUlS12_E1_NS1_11comp_targetILNS1_3genE3ELNS1_11target_archE908ELNS1_3gpuE7ELNS1_3repE0EEENS1_36merge_oddeven_config_static_selectorELNS0_4arch9wavefront6targetE0EEEvSO_
; %bb.0:
	.section	.rodata,"a",@progbits
	.p2align	6, 0x0
	.amdhsa_kernel _ZN7rocprim17ROCPRIM_400000_NS6detail17trampoline_kernelINS0_14default_configENS1_38merge_sort_block_merge_config_selectorIjN6thrust23THRUST_200600_302600_NS5tupleIffNS6_9null_typeES8_S8_S8_S8_S8_S8_S8_EEEEZZNS1_27merge_sort_block_merge_implIS3_NS6_6detail15normal_iteratorINS6_10device_ptrIjEEEENSD_INSE_IS9_EEEEjNS1_19radix_merge_compareILb0ELb1EjNS0_19identity_decomposerEEEEE10hipError_tT0_T1_T2_jT3_P12ihipStream_tbPNSt15iterator_traitsISN_E10value_typeEPNST_ISO_E10value_typeEPSP_NS1_7vsmem_tEENKUlT_SN_SO_SP_E_clIPjSG_PS9_SI_EESM_S12_SN_SO_SP_EUlS12_E1_NS1_11comp_targetILNS1_3genE3ELNS1_11target_archE908ELNS1_3gpuE7ELNS1_3repE0EEENS1_36merge_oddeven_config_static_selectorELNS0_4arch9wavefront6targetE0EEEvSO_
		.amdhsa_group_segment_fixed_size 0
		.amdhsa_private_segment_fixed_size 0
		.amdhsa_kernarg_size 48
		.amdhsa_user_sgpr_count 2
		.amdhsa_user_sgpr_dispatch_ptr 0
		.amdhsa_user_sgpr_queue_ptr 0
		.amdhsa_user_sgpr_kernarg_segment_ptr 1
		.amdhsa_user_sgpr_dispatch_id 0
		.amdhsa_user_sgpr_private_segment_size 0
		.amdhsa_wavefront_size32 1
		.amdhsa_uses_dynamic_stack 0
		.amdhsa_enable_private_segment 0
		.amdhsa_system_sgpr_workgroup_id_x 1
		.amdhsa_system_sgpr_workgroup_id_y 0
		.amdhsa_system_sgpr_workgroup_id_z 0
		.amdhsa_system_sgpr_workgroup_info 0
		.amdhsa_system_vgpr_workitem_id 0
		.amdhsa_next_free_vgpr 1
		.amdhsa_next_free_sgpr 1
		.amdhsa_reserve_vcc 0
		.amdhsa_float_round_mode_32 0
		.amdhsa_float_round_mode_16_64 0
		.amdhsa_float_denorm_mode_32 3
		.amdhsa_float_denorm_mode_16_64 3
		.amdhsa_fp16_overflow 0
		.amdhsa_workgroup_processor_mode 1
		.amdhsa_memory_ordered 1
		.amdhsa_forward_progress 1
		.amdhsa_inst_pref_size 0
		.amdhsa_round_robin_scheduling 0
		.amdhsa_exception_fp_ieee_invalid_op 0
		.amdhsa_exception_fp_denorm_src 0
		.amdhsa_exception_fp_ieee_div_zero 0
		.amdhsa_exception_fp_ieee_overflow 0
		.amdhsa_exception_fp_ieee_underflow 0
		.amdhsa_exception_fp_ieee_inexact 0
		.amdhsa_exception_int_div_zero 0
	.end_amdhsa_kernel
	.section	.text._ZN7rocprim17ROCPRIM_400000_NS6detail17trampoline_kernelINS0_14default_configENS1_38merge_sort_block_merge_config_selectorIjN6thrust23THRUST_200600_302600_NS5tupleIffNS6_9null_typeES8_S8_S8_S8_S8_S8_S8_EEEEZZNS1_27merge_sort_block_merge_implIS3_NS6_6detail15normal_iteratorINS6_10device_ptrIjEEEENSD_INSE_IS9_EEEEjNS1_19radix_merge_compareILb0ELb1EjNS0_19identity_decomposerEEEEE10hipError_tT0_T1_T2_jT3_P12ihipStream_tbPNSt15iterator_traitsISN_E10value_typeEPNST_ISO_E10value_typeEPSP_NS1_7vsmem_tEENKUlT_SN_SO_SP_E_clIPjSG_PS9_SI_EESM_S12_SN_SO_SP_EUlS12_E1_NS1_11comp_targetILNS1_3genE3ELNS1_11target_archE908ELNS1_3gpuE7ELNS1_3repE0EEENS1_36merge_oddeven_config_static_selectorELNS0_4arch9wavefront6targetE0EEEvSO_,"axG",@progbits,_ZN7rocprim17ROCPRIM_400000_NS6detail17trampoline_kernelINS0_14default_configENS1_38merge_sort_block_merge_config_selectorIjN6thrust23THRUST_200600_302600_NS5tupleIffNS6_9null_typeES8_S8_S8_S8_S8_S8_S8_EEEEZZNS1_27merge_sort_block_merge_implIS3_NS6_6detail15normal_iteratorINS6_10device_ptrIjEEEENSD_INSE_IS9_EEEEjNS1_19radix_merge_compareILb0ELb1EjNS0_19identity_decomposerEEEEE10hipError_tT0_T1_T2_jT3_P12ihipStream_tbPNSt15iterator_traitsISN_E10value_typeEPNST_ISO_E10value_typeEPSP_NS1_7vsmem_tEENKUlT_SN_SO_SP_E_clIPjSG_PS9_SI_EESM_S12_SN_SO_SP_EUlS12_E1_NS1_11comp_targetILNS1_3genE3ELNS1_11target_archE908ELNS1_3gpuE7ELNS1_3repE0EEENS1_36merge_oddeven_config_static_selectorELNS0_4arch9wavefront6targetE0EEEvSO_,comdat
.Lfunc_end111:
	.size	_ZN7rocprim17ROCPRIM_400000_NS6detail17trampoline_kernelINS0_14default_configENS1_38merge_sort_block_merge_config_selectorIjN6thrust23THRUST_200600_302600_NS5tupleIffNS6_9null_typeES8_S8_S8_S8_S8_S8_S8_EEEEZZNS1_27merge_sort_block_merge_implIS3_NS6_6detail15normal_iteratorINS6_10device_ptrIjEEEENSD_INSE_IS9_EEEEjNS1_19radix_merge_compareILb0ELb1EjNS0_19identity_decomposerEEEEE10hipError_tT0_T1_T2_jT3_P12ihipStream_tbPNSt15iterator_traitsISN_E10value_typeEPNST_ISO_E10value_typeEPSP_NS1_7vsmem_tEENKUlT_SN_SO_SP_E_clIPjSG_PS9_SI_EESM_S12_SN_SO_SP_EUlS12_E1_NS1_11comp_targetILNS1_3genE3ELNS1_11target_archE908ELNS1_3gpuE7ELNS1_3repE0EEENS1_36merge_oddeven_config_static_selectorELNS0_4arch9wavefront6targetE0EEEvSO_, .Lfunc_end111-_ZN7rocprim17ROCPRIM_400000_NS6detail17trampoline_kernelINS0_14default_configENS1_38merge_sort_block_merge_config_selectorIjN6thrust23THRUST_200600_302600_NS5tupleIffNS6_9null_typeES8_S8_S8_S8_S8_S8_S8_EEEEZZNS1_27merge_sort_block_merge_implIS3_NS6_6detail15normal_iteratorINS6_10device_ptrIjEEEENSD_INSE_IS9_EEEEjNS1_19radix_merge_compareILb0ELb1EjNS0_19identity_decomposerEEEEE10hipError_tT0_T1_T2_jT3_P12ihipStream_tbPNSt15iterator_traitsISN_E10value_typeEPNST_ISO_E10value_typeEPSP_NS1_7vsmem_tEENKUlT_SN_SO_SP_E_clIPjSG_PS9_SI_EESM_S12_SN_SO_SP_EUlS12_E1_NS1_11comp_targetILNS1_3genE3ELNS1_11target_archE908ELNS1_3gpuE7ELNS1_3repE0EEENS1_36merge_oddeven_config_static_selectorELNS0_4arch9wavefront6targetE0EEEvSO_
                                        ; -- End function
	.set _ZN7rocprim17ROCPRIM_400000_NS6detail17trampoline_kernelINS0_14default_configENS1_38merge_sort_block_merge_config_selectorIjN6thrust23THRUST_200600_302600_NS5tupleIffNS6_9null_typeES8_S8_S8_S8_S8_S8_S8_EEEEZZNS1_27merge_sort_block_merge_implIS3_NS6_6detail15normal_iteratorINS6_10device_ptrIjEEEENSD_INSE_IS9_EEEEjNS1_19radix_merge_compareILb0ELb1EjNS0_19identity_decomposerEEEEE10hipError_tT0_T1_T2_jT3_P12ihipStream_tbPNSt15iterator_traitsISN_E10value_typeEPNST_ISO_E10value_typeEPSP_NS1_7vsmem_tEENKUlT_SN_SO_SP_E_clIPjSG_PS9_SI_EESM_S12_SN_SO_SP_EUlS12_E1_NS1_11comp_targetILNS1_3genE3ELNS1_11target_archE908ELNS1_3gpuE7ELNS1_3repE0EEENS1_36merge_oddeven_config_static_selectorELNS0_4arch9wavefront6targetE0EEEvSO_.num_vgpr, 0
	.set _ZN7rocprim17ROCPRIM_400000_NS6detail17trampoline_kernelINS0_14default_configENS1_38merge_sort_block_merge_config_selectorIjN6thrust23THRUST_200600_302600_NS5tupleIffNS6_9null_typeES8_S8_S8_S8_S8_S8_S8_EEEEZZNS1_27merge_sort_block_merge_implIS3_NS6_6detail15normal_iteratorINS6_10device_ptrIjEEEENSD_INSE_IS9_EEEEjNS1_19radix_merge_compareILb0ELb1EjNS0_19identity_decomposerEEEEE10hipError_tT0_T1_T2_jT3_P12ihipStream_tbPNSt15iterator_traitsISN_E10value_typeEPNST_ISO_E10value_typeEPSP_NS1_7vsmem_tEENKUlT_SN_SO_SP_E_clIPjSG_PS9_SI_EESM_S12_SN_SO_SP_EUlS12_E1_NS1_11comp_targetILNS1_3genE3ELNS1_11target_archE908ELNS1_3gpuE7ELNS1_3repE0EEENS1_36merge_oddeven_config_static_selectorELNS0_4arch9wavefront6targetE0EEEvSO_.num_agpr, 0
	.set _ZN7rocprim17ROCPRIM_400000_NS6detail17trampoline_kernelINS0_14default_configENS1_38merge_sort_block_merge_config_selectorIjN6thrust23THRUST_200600_302600_NS5tupleIffNS6_9null_typeES8_S8_S8_S8_S8_S8_S8_EEEEZZNS1_27merge_sort_block_merge_implIS3_NS6_6detail15normal_iteratorINS6_10device_ptrIjEEEENSD_INSE_IS9_EEEEjNS1_19radix_merge_compareILb0ELb1EjNS0_19identity_decomposerEEEEE10hipError_tT0_T1_T2_jT3_P12ihipStream_tbPNSt15iterator_traitsISN_E10value_typeEPNST_ISO_E10value_typeEPSP_NS1_7vsmem_tEENKUlT_SN_SO_SP_E_clIPjSG_PS9_SI_EESM_S12_SN_SO_SP_EUlS12_E1_NS1_11comp_targetILNS1_3genE3ELNS1_11target_archE908ELNS1_3gpuE7ELNS1_3repE0EEENS1_36merge_oddeven_config_static_selectorELNS0_4arch9wavefront6targetE0EEEvSO_.numbered_sgpr, 0
	.set _ZN7rocprim17ROCPRIM_400000_NS6detail17trampoline_kernelINS0_14default_configENS1_38merge_sort_block_merge_config_selectorIjN6thrust23THRUST_200600_302600_NS5tupleIffNS6_9null_typeES8_S8_S8_S8_S8_S8_S8_EEEEZZNS1_27merge_sort_block_merge_implIS3_NS6_6detail15normal_iteratorINS6_10device_ptrIjEEEENSD_INSE_IS9_EEEEjNS1_19radix_merge_compareILb0ELb1EjNS0_19identity_decomposerEEEEE10hipError_tT0_T1_T2_jT3_P12ihipStream_tbPNSt15iterator_traitsISN_E10value_typeEPNST_ISO_E10value_typeEPSP_NS1_7vsmem_tEENKUlT_SN_SO_SP_E_clIPjSG_PS9_SI_EESM_S12_SN_SO_SP_EUlS12_E1_NS1_11comp_targetILNS1_3genE3ELNS1_11target_archE908ELNS1_3gpuE7ELNS1_3repE0EEENS1_36merge_oddeven_config_static_selectorELNS0_4arch9wavefront6targetE0EEEvSO_.num_named_barrier, 0
	.set _ZN7rocprim17ROCPRIM_400000_NS6detail17trampoline_kernelINS0_14default_configENS1_38merge_sort_block_merge_config_selectorIjN6thrust23THRUST_200600_302600_NS5tupleIffNS6_9null_typeES8_S8_S8_S8_S8_S8_S8_EEEEZZNS1_27merge_sort_block_merge_implIS3_NS6_6detail15normal_iteratorINS6_10device_ptrIjEEEENSD_INSE_IS9_EEEEjNS1_19radix_merge_compareILb0ELb1EjNS0_19identity_decomposerEEEEE10hipError_tT0_T1_T2_jT3_P12ihipStream_tbPNSt15iterator_traitsISN_E10value_typeEPNST_ISO_E10value_typeEPSP_NS1_7vsmem_tEENKUlT_SN_SO_SP_E_clIPjSG_PS9_SI_EESM_S12_SN_SO_SP_EUlS12_E1_NS1_11comp_targetILNS1_3genE3ELNS1_11target_archE908ELNS1_3gpuE7ELNS1_3repE0EEENS1_36merge_oddeven_config_static_selectorELNS0_4arch9wavefront6targetE0EEEvSO_.private_seg_size, 0
	.set _ZN7rocprim17ROCPRIM_400000_NS6detail17trampoline_kernelINS0_14default_configENS1_38merge_sort_block_merge_config_selectorIjN6thrust23THRUST_200600_302600_NS5tupleIffNS6_9null_typeES8_S8_S8_S8_S8_S8_S8_EEEEZZNS1_27merge_sort_block_merge_implIS3_NS6_6detail15normal_iteratorINS6_10device_ptrIjEEEENSD_INSE_IS9_EEEEjNS1_19radix_merge_compareILb0ELb1EjNS0_19identity_decomposerEEEEE10hipError_tT0_T1_T2_jT3_P12ihipStream_tbPNSt15iterator_traitsISN_E10value_typeEPNST_ISO_E10value_typeEPSP_NS1_7vsmem_tEENKUlT_SN_SO_SP_E_clIPjSG_PS9_SI_EESM_S12_SN_SO_SP_EUlS12_E1_NS1_11comp_targetILNS1_3genE3ELNS1_11target_archE908ELNS1_3gpuE7ELNS1_3repE0EEENS1_36merge_oddeven_config_static_selectorELNS0_4arch9wavefront6targetE0EEEvSO_.uses_vcc, 0
	.set _ZN7rocprim17ROCPRIM_400000_NS6detail17trampoline_kernelINS0_14default_configENS1_38merge_sort_block_merge_config_selectorIjN6thrust23THRUST_200600_302600_NS5tupleIffNS6_9null_typeES8_S8_S8_S8_S8_S8_S8_EEEEZZNS1_27merge_sort_block_merge_implIS3_NS6_6detail15normal_iteratorINS6_10device_ptrIjEEEENSD_INSE_IS9_EEEEjNS1_19radix_merge_compareILb0ELb1EjNS0_19identity_decomposerEEEEE10hipError_tT0_T1_T2_jT3_P12ihipStream_tbPNSt15iterator_traitsISN_E10value_typeEPNST_ISO_E10value_typeEPSP_NS1_7vsmem_tEENKUlT_SN_SO_SP_E_clIPjSG_PS9_SI_EESM_S12_SN_SO_SP_EUlS12_E1_NS1_11comp_targetILNS1_3genE3ELNS1_11target_archE908ELNS1_3gpuE7ELNS1_3repE0EEENS1_36merge_oddeven_config_static_selectorELNS0_4arch9wavefront6targetE0EEEvSO_.uses_flat_scratch, 0
	.set _ZN7rocprim17ROCPRIM_400000_NS6detail17trampoline_kernelINS0_14default_configENS1_38merge_sort_block_merge_config_selectorIjN6thrust23THRUST_200600_302600_NS5tupleIffNS6_9null_typeES8_S8_S8_S8_S8_S8_S8_EEEEZZNS1_27merge_sort_block_merge_implIS3_NS6_6detail15normal_iteratorINS6_10device_ptrIjEEEENSD_INSE_IS9_EEEEjNS1_19radix_merge_compareILb0ELb1EjNS0_19identity_decomposerEEEEE10hipError_tT0_T1_T2_jT3_P12ihipStream_tbPNSt15iterator_traitsISN_E10value_typeEPNST_ISO_E10value_typeEPSP_NS1_7vsmem_tEENKUlT_SN_SO_SP_E_clIPjSG_PS9_SI_EESM_S12_SN_SO_SP_EUlS12_E1_NS1_11comp_targetILNS1_3genE3ELNS1_11target_archE908ELNS1_3gpuE7ELNS1_3repE0EEENS1_36merge_oddeven_config_static_selectorELNS0_4arch9wavefront6targetE0EEEvSO_.has_dyn_sized_stack, 0
	.set _ZN7rocprim17ROCPRIM_400000_NS6detail17trampoline_kernelINS0_14default_configENS1_38merge_sort_block_merge_config_selectorIjN6thrust23THRUST_200600_302600_NS5tupleIffNS6_9null_typeES8_S8_S8_S8_S8_S8_S8_EEEEZZNS1_27merge_sort_block_merge_implIS3_NS6_6detail15normal_iteratorINS6_10device_ptrIjEEEENSD_INSE_IS9_EEEEjNS1_19radix_merge_compareILb0ELb1EjNS0_19identity_decomposerEEEEE10hipError_tT0_T1_T2_jT3_P12ihipStream_tbPNSt15iterator_traitsISN_E10value_typeEPNST_ISO_E10value_typeEPSP_NS1_7vsmem_tEENKUlT_SN_SO_SP_E_clIPjSG_PS9_SI_EESM_S12_SN_SO_SP_EUlS12_E1_NS1_11comp_targetILNS1_3genE3ELNS1_11target_archE908ELNS1_3gpuE7ELNS1_3repE0EEENS1_36merge_oddeven_config_static_selectorELNS0_4arch9wavefront6targetE0EEEvSO_.has_recursion, 0
	.set _ZN7rocprim17ROCPRIM_400000_NS6detail17trampoline_kernelINS0_14default_configENS1_38merge_sort_block_merge_config_selectorIjN6thrust23THRUST_200600_302600_NS5tupleIffNS6_9null_typeES8_S8_S8_S8_S8_S8_S8_EEEEZZNS1_27merge_sort_block_merge_implIS3_NS6_6detail15normal_iteratorINS6_10device_ptrIjEEEENSD_INSE_IS9_EEEEjNS1_19radix_merge_compareILb0ELb1EjNS0_19identity_decomposerEEEEE10hipError_tT0_T1_T2_jT3_P12ihipStream_tbPNSt15iterator_traitsISN_E10value_typeEPNST_ISO_E10value_typeEPSP_NS1_7vsmem_tEENKUlT_SN_SO_SP_E_clIPjSG_PS9_SI_EESM_S12_SN_SO_SP_EUlS12_E1_NS1_11comp_targetILNS1_3genE3ELNS1_11target_archE908ELNS1_3gpuE7ELNS1_3repE0EEENS1_36merge_oddeven_config_static_selectorELNS0_4arch9wavefront6targetE0EEEvSO_.has_indirect_call, 0
	.section	.AMDGPU.csdata,"",@progbits
; Kernel info:
; codeLenInByte = 0
; TotalNumSgprs: 0
; NumVgprs: 0
; ScratchSize: 0
; MemoryBound: 0
; FloatMode: 240
; IeeeMode: 1
; LDSByteSize: 0 bytes/workgroup (compile time only)
; SGPRBlocks: 0
; VGPRBlocks: 0
; NumSGPRsForWavesPerEU: 1
; NumVGPRsForWavesPerEU: 1
; Occupancy: 16
; WaveLimiterHint : 0
; COMPUTE_PGM_RSRC2:SCRATCH_EN: 0
; COMPUTE_PGM_RSRC2:USER_SGPR: 2
; COMPUTE_PGM_RSRC2:TRAP_HANDLER: 0
; COMPUTE_PGM_RSRC2:TGID_X_EN: 1
; COMPUTE_PGM_RSRC2:TGID_Y_EN: 0
; COMPUTE_PGM_RSRC2:TGID_Z_EN: 0
; COMPUTE_PGM_RSRC2:TIDIG_COMP_CNT: 0
	.section	.text._ZN7rocprim17ROCPRIM_400000_NS6detail17trampoline_kernelINS0_14default_configENS1_38merge_sort_block_merge_config_selectorIjN6thrust23THRUST_200600_302600_NS5tupleIffNS6_9null_typeES8_S8_S8_S8_S8_S8_S8_EEEEZZNS1_27merge_sort_block_merge_implIS3_NS6_6detail15normal_iteratorINS6_10device_ptrIjEEEENSD_INSE_IS9_EEEEjNS1_19radix_merge_compareILb0ELb1EjNS0_19identity_decomposerEEEEE10hipError_tT0_T1_T2_jT3_P12ihipStream_tbPNSt15iterator_traitsISN_E10value_typeEPNST_ISO_E10value_typeEPSP_NS1_7vsmem_tEENKUlT_SN_SO_SP_E_clIPjSG_PS9_SI_EESM_S12_SN_SO_SP_EUlS12_E1_NS1_11comp_targetILNS1_3genE2ELNS1_11target_archE906ELNS1_3gpuE6ELNS1_3repE0EEENS1_36merge_oddeven_config_static_selectorELNS0_4arch9wavefront6targetE0EEEvSO_,"axG",@progbits,_ZN7rocprim17ROCPRIM_400000_NS6detail17trampoline_kernelINS0_14default_configENS1_38merge_sort_block_merge_config_selectorIjN6thrust23THRUST_200600_302600_NS5tupleIffNS6_9null_typeES8_S8_S8_S8_S8_S8_S8_EEEEZZNS1_27merge_sort_block_merge_implIS3_NS6_6detail15normal_iteratorINS6_10device_ptrIjEEEENSD_INSE_IS9_EEEEjNS1_19radix_merge_compareILb0ELb1EjNS0_19identity_decomposerEEEEE10hipError_tT0_T1_T2_jT3_P12ihipStream_tbPNSt15iterator_traitsISN_E10value_typeEPNST_ISO_E10value_typeEPSP_NS1_7vsmem_tEENKUlT_SN_SO_SP_E_clIPjSG_PS9_SI_EESM_S12_SN_SO_SP_EUlS12_E1_NS1_11comp_targetILNS1_3genE2ELNS1_11target_archE906ELNS1_3gpuE6ELNS1_3repE0EEENS1_36merge_oddeven_config_static_selectorELNS0_4arch9wavefront6targetE0EEEvSO_,comdat
	.protected	_ZN7rocprim17ROCPRIM_400000_NS6detail17trampoline_kernelINS0_14default_configENS1_38merge_sort_block_merge_config_selectorIjN6thrust23THRUST_200600_302600_NS5tupleIffNS6_9null_typeES8_S8_S8_S8_S8_S8_S8_EEEEZZNS1_27merge_sort_block_merge_implIS3_NS6_6detail15normal_iteratorINS6_10device_ptrIjEEEENSD_INSE_IS9_EEEEjNS1_19radix_merge_compareILb0ELb1EjNS0_19identity_decomposerEEEEE10hipError_tT0_T1_T2_jT3_P12ihipStream_tbPNSt15iterator_traitsISN_E10value_typeEPNST_ISO_E10value_typeEPSP_NS1_7vsmem_tEENKUlT_SN_SO_SP_E_clIPjSG_PS9_SI_EESM_S12_SN_SO_SP_EUlS12_E1_NS1_11comp_targetILNS1_3genE2ELNS1_11target_archE906ELNS1_3gpuE6ELNS1_3repE0EEENS1_36merge_oddeven_config_static_selectorELNS0_4arch9wavefront6targetE0EEEvSO_ ; -- Begin function _ZN7rocprim17ROCPRIM_400000_NS6detail17trampoline_kernelINS0_14default_configENS1_38merge_sort_block_merge_config_selectorIjN6thrust23THRUST_200600_302600_NS5tupleIffNS6_9null_typeES8_S8_S8_S8_S8_S8_S8_EEEEZZNS1_27merge_sort_block_merge_implIS3_NS6_6detail15normal_iteratorINS6_10device_ptrIjEEEENSD_INSE_IS9_EEEEjNS1_19radix_merge_compareILb0ELb1EjNS0_19identity_decomposerEEEEE10hipError_tT0_T1_T2_jT3_P12ihipStream_tbPNSt15iterator_traitsISN_E10value_typeEPNST_ISO_E10value_typeEPSP_NS1_7vsmem_tEENKUlT_SN_SO_SP_E_clIPjSG_PS9_SI_EESM_S12_SN_SO_SP_EUlS12_E1_NS1_11comp_targetILNS1_3genE2ELNS1_11target_archE906ELNS1_3gpuE6ELNS1_3repE0EEENS1_36merge_oddeven_config_static_selectorELNS0_4arch9wavefront6targetE0EEEvSO_
	.globl	_ZN7rocprim17ROCPRIM_400000_NS6detail17trampoline_kernelINS0_14default_configENS1_38merge_sort_block_merge_config_selectorIjN6thrust23THRUST_200600_302600_NS5tupleIffNS6_9null_typeES8_S8_S8_S8_S8_S8_S8_EEEEZZNS1_27merge_sort_block_merge_implIS3_NS6_6detail15normal_iteratorINS6_10device_ptrIjEEEENSD_INSE_IS9_EEEEjNS1_19radix_merge_compareILb0ELb1EjNS0_19identity_decomposerEEEEE10hipError_tT0_T1_T2_jT3_P12ihipStream_tbPNSt15iterator_traitsISN_E10value_typeEPNST_ISO_E10value_typeEPSP_NS1_7vsmem_tEENKUlT_SN_SO_SP_E_clIPjSG_PS9_SI_EESM_S12_SN_SO_SP_EUlS12_E1_NS1_11comp_targetILNS1_3genE2ELNS1_11target_archE906ELNS1_3gpuE6ELNS1_3repE0EEENS1_36merge_oddeven_config_static_selectorELNS0_4arch9wavefront6targetE0EEEvSO_
	.p2align	8
	.type	_ZN7rocprim17ROCPRIM_400000_NS6detail17trampoline_kernelINS0_14default_configENS1_38merge_sort_block_merge_config_selectorIjN6thrust23THRUST_200600_302600_NS5tupleIffNS6_9null_typeES8_S8_S8_S8_S8_S8_S8_EEEEZZNS1_27merge_sort_block_merge_implIS3_NS6_6detail15normal_iteratorINS6_10device_ptrIjEEEENSD_INSE_IS9_EEEEjNS1_19radix_merge_compareILb0ELb1EjNS0_19identity_decomposerEEEEE10hipError_tT0_T1_T2_jT3_P12ihipStream_tbPNSt15iterator_traitsISN_E10value_typeEPNST_ISO_E10value_typeEPSP_NS1_7vsmem_tEENKUlT_SN_SO_SP_E_clIPjSG_PS9_SI_EESM_S12_SN_SO_SP_EUlS12_E1_NS1_11comp_targetILNS1_3genE2ELNS1_11target_archE906ELNS1_3gpuE6ELNS1_3repE0EEENS1_36merge_oddeven_config_static_selectorELNS0_4arch9wavefront6targetE0EEEvSO_,@function
_ZN7rocprim17ROCPRIM_400000_NS6detail17trampoline_kernelINS0_14default_configENS1_38merge_sort_block_merge_config_selectorIjN6thrust23THRUST_200600_302600_NS5tupleIffNS6_9null_typeES8_S8_S8_S8_S8_S8_S8_EEEEZZNS1_27merge_sort_block_merge_implIS3_NS6_6detail15normal_iteratorINS6_10device_ptrIjEEEENSD_INSE_IS9_EEEEjNS1_19radix_merge_compareILb0ELb1EjNS0_19identity_decomposerEEEEE10hipError_tT0_T1_T2_jT3_P12ihipStream_tbPNSt15iterator_traitsISN_E10value_typeEPNST_ISO_E10value_typeEPSP_NS1_7vsmem_tEENKUlT_SN_SO_SP_E_clIPjSG_PS9_SI_EESM_S12_SN_SO_SP_EUlS12_E1_NS1_11comp_targetILNS1_3genE2ELNS1_11target_archE906ELNS1_3gpuE6ELNS1_3repE0EEENS1_36merge_oddeven_config_static_selectorELNS0_4arch9wavefront6targetE0EEEvSO_: ; @_ZN7rocprim17ROCPRIM_400000_NS6detail17trampoline_kernelINS0_14default_configENS1_38merge_sort_block_merge_config_selectorIjN6thrust23THRUST_200600_302600_NS5tupleIffNS6_9null_typeES8_S8_S8_S8_S8_S8_S8_EEEEZZNS1_27merge_sort_block_merge_implIS3_NS6_6detail15normal_iteratorINS6_10device_ptrIjEEEENSD_INSE_IS9_EEEEjNS1_19radix_merge_compareILb0ELb1EjNS0_19identity_decomposerEEEEE10hipError_tT0_T1_T2_jT3_P12ihipStream_tbPNSt15iterator_traitsISN_E10value_typeEPNST_ISO_E10value_typeEPSP_NS1_7vsmem_tEENKUlT_SN_SO_SP_E_clIPjSG_PS9_SI_EESM_S12_SN_SO_SP_EUlS12_E1_NS1_11comp_targetILNS1_3genE2ELNS1_11target_archE906ELNS1_3gpuE6ELNS1_3repE0EEENS1_36merge_oddeven_config_static_selectorELNS0_4arch9wavefront6targetE0EEEvSO_
; %bb.0:
	.section	.rodata,"a",@progbits
	.p2align	6, 0x0
	.amdhsa_kernel _ZN7rocprim17ROCPRIM_400000_NS6detail17trampoline_kernelINS0_14default_configENS1_38merge_sort_block_merge_config_selectorIjN6thrust23THRUST_200600_302600_NS5tupleIffNS6_9null_typeES8_S8_S8_S8_S8_S8_S8_EEEEZZNS1_27merge_sort_block_merge_implIS3_NS6_6detail15normal_iteratorINS6_10device_ptrIjEEEENSD_INSE_IS9_EEEEjNS1_19radix_merge_compareILb0ELb1EjNS0_19identity_decomposerEEEEE10hipError_tT0_T1_T2_jT3_P12ihipStream_tbPNSt15iterator_traitsISN_E10value_typeEPNST_ISO_E10value_typeEPSP_NS1_7vsmem_tEENKUlT_SN_SO_SP_E_clIPjSG_PS9_SI_EESM_S12_SN_SO_SP_EUlS12_E1_NS1_11comp_targetILNS1_3genE2ELNS1_11target_archE906ELNS1_3gpuE6ELNS1_3repE0EEENS1_36merge_oddeven_config_static_selectorELNS0_4arch9wavefront6targetE0EEEvSO_
		.amdhsa_group_segment_fixed_size 0
		.amdhsa_private_segment_fixed_size 0
		.amdhsa_kernarg_size 48
		.amdhsa_user_sgpr_count 2
		.amdhsa_user_sgpr_dispatch_ptr 0
		.amdhsa_user_sgpr_queue_ptr 0
		.amdhsa_user_sgpr_kernarg_segment_ptr 1
		.amdhsa_user_sgpr_dispatch_id 0
		.amdhsa_user_sgpr_private_segment_size 0
		.amdhsa_wavefront_size32 1
		.amdhsa_uses_dynamic_stack 0
		.amdhsa_enable_private_segment 0
		.amdhsa_system_sgpr_workgroup_id_x 1
		.amdhsa_system_sgpr_workgroup_id_y 0
		.amdhsa_system_sgpr_workgroup_id_z 0
		.amdhsa_system_sgpr_workgroup_info 0
		.amdhsa_system_vgpr_workitem_id 0
		.amdhsa_next_free_vgpr 1
		.amdhsa_next_free_sgpr 1
		.amdhsa_reserve_vcc 0
		.amdhsa_float_round_mode_32 0
		.amdhsa_float_round_mode_16_64 0
		.amdhsa_float_denorm_mode_32 3
		.amdhsa_float_denorm_mode_16_64 3
		.amdhsa_fp16_overflow 0
		.amdhsa_workgroup_processor_mode 1
		.amdhsa_memory_ordered 1
		.amdhsa_forward_progress 1
		.amdhsa_inst_pref_size 0
		.amdhsa_round_robin_scheduling 0
		.amdhsa_exception_fp_ieee_invalid_op 0
		.amdhsa_exception_fp_denorm_src 0
		.amdhsa_exception_fp_ieee_div_zero 0
		.amdhsa_exception_fp_ieee_overflow 0
		.amdhsa_exception_fp_ieee_underflow 0
		.amdhsa_exception_fp_ieee_inexact 0
		.amdhsa_exception_int_div_zero 0
	.end_amdhsa_kernel
	.section	.text._ZN7rocprim17ROCPRIM_400000_NS6detail17trampoline_kernelINS0_14default_configENS1_38merge_sort_block_merge_config_selectorIjN6thrust23THRUST_200600_302600_NS5tupleIffNS6_9null_typeES8_S8_S8_S8_S8_S8_S8_EEEEZZNS1_27merge_sort_block_merge_implIS3_NS6_6detail15normal_iteratorINS6_10device_ptrIjEEEENSD_INSE_IS9_EEEEjNS1_19radix_merge_compareILb0ELb1EjNS0_19identity_decomposerEEEEE10hipError_tT0_T1_T2_jT3_P12ihipStream_tbPNSt15iterator_traitsISN_E10value_typeEPNST_ISO_E10value_typeEPSP_NS1_7vsmem_tEENKUlT_SN_SO_SP_E_clIPjSG_PS9_SI_EESM_S12_SN_SO_SP_EUlS12_E1_NS1_11comp_targetILNS1_3genE2ELNS1_11target_archE906ELNS1_3gpuE6ELNS1_3repE0EEENS1_36merge_oddeven_config_static_selectorELNS0_4arch9wavefront6targetE0EEEvSO_,"axG",@progbits,_ZN7rocprim17ROCPRIM_400000_NS6detail17trampoline_kernelINS0_14default_configENS1_38merge_sort_block_merge_config_selectorIjN6thrust23THRUST_200600_302600_NS5tupleIffNS6_9null_typeES8_S8_S8_S8_S8_S8_S8_EEEEZZNS1_27merge_sort_block_merge_implIS3_NS6_6detail15normal_iteratorINS6_10device_ptrIjEEEENSD_INSE_IS9_EEEEjNS1_19radix_merge_compareILb0ELb1EjNS0_19identity_decomposerEEEEE10hipError_tT0_T1_T2_jT3_P12ihipStream_tbPNSt15iterator_traitsISN_E10value_typeEPNST_ISO_E10value_typeEPSP_NS1_7vsmem_tEENKUlT_SN_SO_SP_E_clIPjSG_PS9_SI_EESM_S12_SN_SO_SP_EUlS12_E1_NS1_11comp_targetILNS1_3genE2ELNS1_11target_archE906ELNS1_3gpuE6ELNS1_3repE0EEENS1_36merge_oddeven_config_static_selectorELNS0_4arch9wavefront6targetE0EEEvSO_,comdat
.Lfunc_end112:
	.size	_ZN7rocprim17ROCPRIM_400000_NS6detail17trampoline_kernelINS0_14default_configENS1_38merge_sort_block_merge_config_selectorIjN6thrust23THRUST_200600_302600_NS5tupleIffNS6_9null_typeES8_S8_S8_S8_S8_S8_S8_EEEEZZNS1_27merge_sort_block_merge_implIS3_NS6_6detail15normal_iteratorINS6_10device_ptrIjEEEENSD_INSE_IS9_EEEEjNS1_19radix_merge_compareILb0ELb1EjNS0_19identity_decomposerEEEEE10hipError_tT0_T1_T2_jT3_P12ihipStream_tbPNSt15iterator_traitsISN_E10value_typeEPNST_ISO_E10value_typeEPSP_NS1_7vsmem_tEENKUlT_SN_SO_SP_E_clIPjSG_PS9_SI_EESM_S12_SN_SO_SP_EUlS12_E1_NS1_11comp_targetILNS1_3genE2ELNS1_11target_archE906ELNS1_3gpuE6ELNS1_3repE0EEENS1_36merge_oddeven_config_static_selectorELNS0_4arch9wavefront6targetE0EEEvSO_, .Lfunc_end112-_ZN7rocprim17ROCPRIM_400000_NS6detail17trampoline_kernelINS0_14default_configENS1_38merge_sort_block_merge_config_selectorIjN6thrust23THRUST_200600_302600_NS5tupleIffNS6_9null_typeES8_S8_S8_S8_S8_S8_S8_EEEEZZNS1_27merge_sort_block_merge_implIS3_NS6_6detail15normal_iteratorINS6_10device_ptrIjEEEENSD_INSE_IS9_EEEEjNS1_19radix_merge_compareILb0ELb1EjNS0_19identity_decomposerEEEEE10hipError_tT0_T1_T2_jT3_P12ihipStream_tbPNSt15iterator_traitsISN_E10value_typeEPNST_ISO_E10value_typeEPSP_NS1_7vsmem_tEENKUlT_SN_SO_SP_E_clIPjSG_PS9_SI_EESM_S12_SN_SO_SP_EUlS12_E1_NS1_11comp_targetILNS1_3genE2ELNS1_11target_archE906ELNS1_3gpuE6ELNS1_3repE0EEENS1_36merge_oddeven_config_static_selectorELNS0_4arch9wavefront6targetE0EEEvSO_
                                        ; -- End function
	.set _ZN7rocprim17ROCPRIM_400000_NS6detail17trampoline_kernelINS0_14default_configENS1_38merge_sort_block_merge_config_selectorIjN6thrust23THRUST_200600_302600_NS5tupleIffNS6_9null_typeES8_S8_S8_S8_S8_S8_S8_EEEEZZNS1_27merge_sort_block_merge_implIS3_NS6_6detail15normal_iteratorINS6_10device_ptrIjEEEENSD_INSE_IS9_EEEEjNS1_19radix_merge_compareILb0ELb1EjNS0_19identity_decomposerEEEEE10hipError_tT0_T1_T2_jT3_P12ihipStream_tbPNSt15iterator_traitsISN_E10value_typeEPNST_ISO_E10value_typeEPSP_NS1_7vsmem_tEENKUlT_SN_SO_SP_E_clIPjSG_PS9_SI_EESM_S12_SN_SO_SP_EUlS12_E1_NS1_11comp_targetILNS1_3genE2ELNS1_11target_archE906ELNS1_3gpuE6ELNS1_3repE0EEENS1_36merge_oddeven_config_static_selectorELNS0_4arch9wavefront6targetE0EEEvSO_.num_vgpr, 0
	.set _ZN7rocprim17ROCPRIM_400000_NS6detail17trampoline_kernelINS0_14default_configENS1_38merge_sort_block_merge_config_selectorIjN6thrust23THRUST_200600_302600_NS5tupleIffNS6_9null_typeES8_S8_S8_S8_S8_S8_S8_EEEEZZNS1_27merge_sort_block_merge_implIS3_NS6_6detail15normal_iteratorINS6_10device_ptrIjEEEENSD_INSE_IS9_EEEEjNS1_19radix_merge_compareILb0ELb1EjNS0_19identity_decomposerEEEEE10hipError_tT0_T1_T2_jT3_P12ihipStream_tbPNSt15iterator_traitsISN_E10value_typeEPNST_ISO_E10value_typeEPSP_NS1_7vsmem_tEENKUlT_SN_SO_SP_E_clIPjSG_PS9_SI_EESM_S12_SN_SO_SP_EUlS12_E1_NS1_11comp_targetILNS1_3genE2ELNS1_11target_archE906ELNS1_3gpuE6ELNS1_3repE0EEENS1_36merge_oddeven_config_static_selectorELNS0_4arch9wavefront6targetE0EEEvSO_.num_agpr, 0
	.set _ZN7rocprim17ROCPRIM_400000_NS6detail17trampoline_kernelINS0_14default_configENS1_38merge_sort_block_merge_config_selectorIjN6thrust23THRUST_200600_302600_NS5tupleIffNS6_9null_typeES8_S8_S8_S8_S8_S8_S8_EEEEZZNS1_27merge_sort_block_merge_implIS3_NS6_6detail15normal_iteratorINS6_10device_ptrIjEEEENSD_INSE_IS9_EEEEjNS1_19radix_merge_compareILb0ELb1EjNS0_19identity_decomposerEEEEE10hipError_tT0_T1_T2_jT3_P12ihipStream_tbPNSt15iterator_traitsISN_E10value_typeEPNST_ISO_E10value_typeEPSP_NS1_7vsmem_tEENKUlT_SN_SO_SP_E_clIPjSG_PS9_SI_EESM_S12_SN_SO_SP_EUlS12_E1_NS1_11comp_targetILNS1_3genE2ELNS1_11target_archE906ELNS1_3gpuE6ELNS1_3repE0EEENS1_36merge_oddeven_config_static_selectorELNS0_4arch9wavefront6targetE0EEEvSO_.numbered_sgpr, 0
	.set _ZN7rocprim17ROCPRIM_400000_NS6detail17trampoline_kernelINS0_14default_configENS1_38merge_sort_block_merge_config_selectorIjN6thrust23THRUST_200600_302600_NS5tupleIffNS6_9null_typeES8_S8_S8_S8_S8_S8_S8_EEEEZZNS1_27merge_sort_block_merge_implIS3_NS6_6detail15normal_iteratorINS6_10device_ptrIjEEEENSD_INSE_IS9_EEEEjNS1_19radix_merge_compareILb0ELb1EjNS0_19identity_decomposerEEEEE10hipError_tT0_T1_T2_jT3_P12ihipStream_tbPNSt15iterator_traitsISN_E10value_typeEPNST_ISO_E10value_typeEPSP_NS1_7vsmem_tEENKUlT_SN_SO_SP_E_clIPjSG_PS9_SI_EESM_S12_SN_SO_SP_EUlS12_E1_NS1_11comp_targetILNS1_3genE2ELNS1_11target_archE906ELNS1_3gpuE6ELNS1_3repE0EEENS1_36merge_oddeven_config_static_selectorELNS0_4arch9wavefront6targetE0EEEvSO_.num_named_barrier, 0
	.set _ZN7rocprim17ROCPRIM_400000_NS6detail17trampoline_kernelINS0_14default_configENS1_38merge_sort_block_merge_config_selectorIjN6thrust23THRUST_200600_302600_NS5tupleIffNS6_9null_typeES8_S8_S8_S8_S8_S8_S8_EEEEZZNS1_27merge_sort_block_merge_implIS3_NS6_6detail15normal_iteratorINS6_10device_ptrIjEEEENSD_INSE_IS9_EEEEjNS1_19radix_merge_compareILb0ELb1EjNS0_19identity_decomposerEEEEE10hipError_tT0_T1_T2_jT3_P12ihipStream_tbPNSt15iterator_traitsISN_E10value_typeEPNST_ISO_E10value_typeEPSP_NS1_7vsmem_tEENKUlT_SN_SO_SP_E_clIPjSG_PS9_SI_EESM_S12_SN_SO_SP_EUlS12_E1_NS1_11comp_targetILNS1_3genE2ELNS1_11target_archE906ELNS1_3gpuE6ELNS1_3repE0EEENS1_36merge_oddeven_config_static_selectorELNS0_4arch9wavefront6targetE0EEEvSO_.private_seg_size, 0
	.set _ZN7rocprim17ROCPRIM_400000_NS6detail17trampoline_kernelINS0_14default_configENS1_38merge_sort_block_merge_config_selectorIjN6thrust23THRUST_200600_302600_NS5tupleIffNS6_9null_typeES8_S8_S8_S8_S8_S8_S8_EEEEZZNS1_27merge_sort_block_merge_implIS3_NS6_6detail15normal_iteratorINS6_10device_ptrIjEEEENSD_INSE_IS9_EEEEjNS1_19radix_merge_compareILb0ELb1EjNS0_19identity_decomposerEEEEE10hipError_tT0_T1_T2_jT3_P12ihipStream_tbPNSt15iterator_traitsISN_E10value_typeEPNST_ISO_E10value_typeEPSP_NS1_7vsmem_tEENKUlT_SN_SO_SP_E_clIPjSG_PS9_SI_EESM_S12_SN_SO_SP_EUlS12_E1_NS1_11comp_targetILNS1_3genE2ELNS1_11target_archE906ELNS1_3gpuE6ELNS1_3repE0EEENS1_36merge_oddeven_config_static_selectorELNS0_4arch9wavefront6targetE0EEEvSO_.uses_vcc, 0
	.set _ZN7rocprim17ROCPRIM_400000_NS6detail17trampoline_kernelINS0_14default_configENS1_38merge_sort_block_merge_config_selectorIjN6thrust23THRUST_200600_302600_NS5tupleIffNS6_9null_typeES8_S8_S8_S8_S8_S8_S8_EEEEZZNS1_27merge_sort_block_merge_implIS3_NS6_6detail15normal_iteratorINS6_10device_ptrIjEEEENSD_INSE_IS9_EEEEjNS1_19radix_merge_compareILb0ELb1EjNS0_19identity_decomposerEEEEE10hipError_tT0_T1_T2_jT3_P12ihipStream_tbPNSt15iterator_traitsISN_E10value_typeEPNST_ISO_E10value_typeEPSP_NS1_7vsmem_tEENKUlT_SN_SO_SP_E_clIPjSG_PS9_SI_EESM_S12_SN_SO_SP_EUlS12_E1_NS1_11comp_targetILNS1_3genE2ELNS1_11target_archE906ELNS1_3gpuE6ELNS1_3repE0EEENS1_36merge_oddeven_config_static_selectorELNS0_4arch9wavefront6targetE0EEEvSO_.uses_flat_scratch, 0
	.set _ZN7rocprim17ROCPRIM_400000_NS6detail17trampoline_kernelINS0_14default_configENS1_38merge_sort_block_merge_config_selectorIjN6thrust23THRUST_200600_302600_NS5tupleIffNS6_9null_typeES8_S8_S8_S8_S8_S8_S8_EEEEZZNS1_27merge_sort_block_merge_implIS3_NS6_6detail15normal_iteratorINS6_10device_ptrIjEEEENSD_INSE_IS9_EEEEjNS1_19radix_merge_compareILb0ELb1EjNS0_19identity_decomposerEEEEE10hipError_tT0_T1_T2_jT3_P12ihipStream_tbPNSt15iterator_traitsISN_E10value_typeEPNST_ISO_E10value_typeEPSP_NS1_7vsmem_tEENKUlT_SN_SO_SP_E_clIPjSG_PS9_SI_EESM_S12_SN_SO_SP_EUlS12_E1_NS1_11comp_targetILNS1_3genE2ELNS1_11target_archE906ELNS1_3gpuE6ELNS1_3repE0EEENS1_36merge_oddeven_config_static_selectorELNS0_4arch9wavefront6targetE0EEEvSO_.has_dyn_sized_stack, 0
	.set _ZN7rocprim17ROCPRIM_400000_NS6detail17trampoline_kernelINS0_14default_configENS1_38merge_sort_block_merge_config_selectorIjN6thrust23THRUST_200600_302600_NS5tupleIffNS6_9null_typeES8_S8_S8_S8_S8_S8_S8_EEEEZZNS1_27merge_sort_block_merge_implIS3_NS6_6detail15normal_iteratorINS6_10device_ptrIjEEEENSD_INSE_IS9_EEEEjNS1_19radix_merge_compareILb0ELb1EjNS0_19identity_decomposerEEEEE10hipError_tT0_T1_T2_jT3_P12ihipStream_tbPNSt15iterator_traitsISN_E10value_typeEPNST_ISO_E10value_typeEPSP_NS1_7vsmem_tEENKUlT_SN_SO_SP_E_clIPjSG_PS9_SI_EESM_S12_SN_SO_SP_EUlS12_E1_NS1_11comp_targetILNS1_3genE2ELNS1_11target_archE906ELNS1_3gpuE6ELNS1_3repE0EEENS1_36merge_oddeven_config_static_selectorELNS0_4arch9wavefront6targetE0EEEvSO_.has_recursion, 0
	.set _ZN7rocprim17ROCPRIM_400000_NS6detail17trampoline_kernelINS0_14default_configENS1_38merge_sort_block_merge_config_selectorIjN6thrust23THRUST_200600_302600_NS5tupleIffNS6_9null_typeES8_S8_S8_S8_S8_S8_S8_EEEEZZNS1_27merge_sort_block_merge_implIS3_NS6_6detail15normal_iteratorINS6_10device_ptrIjEEEENSD_INSE_IS9_EEEEjNS1_19radix_merge_compareILb0ELb1EjNS0_19identity_decomposerEEEEE10hipError_tT0_T1_T2_jT3_P12ihipStream_tbPNSt15iterator_traitsISN_E10value_typeEPNST_ISO_E10value_typeEPSP_NS1_7vsmem_tEENKUlT_SN_SO_SP_E_clIPjSG_PS9_SI_EESM_S12_SN_SO_SP_EUlS12_E1_NS1_11comp_targetILNS1_3genE2ELNS1_11target_archE906ELNS1_3gpuE6ELNS1_3repE0EEENS1_36merge_oddeven_config_static_selectorELNS0_4arch9wavefront6targetE0EEEvSO_.has_indirect_call, 0
	.section	.AMDGPU.csdata,"",@progbits
; Kernel info:
; codeLenInByte = 0
; TotalNumSgprs: 0
; NumVgprs: 0
; ScratchSize: 0
; MemoryBound: 0
; FloatMode: 240
; IeeeMode: 1
; LDSByteSize: 0 bytes/workgroup (compile time only)
; SGPRBlocks: 0
; VGPRBlocks: 0
; NumSGPRsForWavesPerEU: 1
; NumVGPRsForWavesPerEU: 1
; Occupancy: 16
; WaveLimiterHint : 0
; COMPUTE_PGM_RSRC2:SCRATCH_EN: 0
; COMPUTE_PGM_RSRC2:USER_SGPR: 2
; COMPUTE_PGM_RSRC2:TRAP_HANDLER: 0
; COMPUTE_PGM_RSRC2:TGID_X_EN: 1
; COMPUTE_PGM_RSRC2:TGID_Y_EN: 0
; COMPUTE_PGM_RSRC2:TGID_Z_EN: 0
; COMPUTE_PGM_RSRC2:TIDIG_COMP_CNT: 0
	.section	.text._ZN7rocprim17ROCPRIM_400000_NS6detail17trampoline_kernelINS0_14default_configENS1_38merge_sort_block_merge_config_selectorIjN6thrust23THRUST_200600_302600_NS5tupleIffNS6_9null_typeES8_S8_S8_S8_S8_S8_S8_EEEEZZNS1_27merge_sort_block_merge_implIS3_NS6_6detail15normal_iteratorINS6_10device_ptrIjEEEENSD_INSE_IS9_EEEEjNS1_19radix_merge_compareILb0ELb1EjNS0_19identity_decomposerEEEEE10hipError_tT0_T1_T2_jT3_P12ihipStream_tbPNSt15iterator_traitsISN_E10value_typeEPNST_ISO_E10value_typeEPSP_NS1_7vsmem_tEENKUlT_SN_SO_SP_E_clIPjSG_PS9_SI_EESM_S12_SN_SO_SP_EUlS12_E1_NS1_11comp_targetILNS1_3genE9ELNS1_11target_archE1100ELNS1_3gpuE3ELNS1_3repE0EEENS1_36merge_oddeven_config_static_selectorELNS0_4arch9wavefront6targetE0EEEvSO_,"axG",@progbits,_ZN7rocprim17ROCPRIM_400000_NS6detail17trampoline_kernelINS0_14default_configENS1_38merge_sort_block_merge_config_selectorIjN6thrust23THRUST_200600_302600_NS5tupleIffNS6_9null_typeES8_S8_S8_S8_S8_S8_S8_EEEEZZNS1_27merge_sort_block_merge_implIS3_NS6_6detail15normal_iteratorINS6_10device_ptrIjEEEENSD_INSE_IS9_EEEEjNS1_19radix_merge_compareILb0ELb1EjNS0_19identity_decomposerEEEEE10hipError_tT0_T1_T2_jT3_P12ihipStream_tbPNSt15iterator_traitsISN_E10value_typeEPNST_ISO_E10value_typeEPSP_NS1_7vsmem_tEENKUlT_SN_SO_SP_E_clIPjSG_PS9_SI_EESM_S12_SN_SO_SP_EUlS12_E1_NS1_11comp_targetILNS1_3genE9ELNS1_11target_archE1100ELNS1_3gpuE3ELNS1_3repE0EEENS1_36merge_oddeven_config_static_selectorELNS0_4arch9wavefront6targetE0EEEvSO_,comdat
	.protected	_ZN7rocprim17ROCPRIM_400000_NS6detail17trampoline_kernelINS0_14default_configENS1_38merge_sort_block_merge_config_selectorIjN6thrust23THRUST_200600_302600_NS5tupleIffNS6_9null_typeES8_S8_S8_S8_S8_S8_S8_EEEEZZNS1_27merge_sort_block_merge_implIS3_NS6_6detail15normal_iteratorINS6_10device_ptrIjEEEENSD_INSE_IS9_EEEEjNS1_19radix_merge_compareILb0ELb1EjNS0_19identity_decomposerEEEEE10hipError_tT0_T1_T2_jT3_P12ihipStream_tbPNSt15iterator_traitsISN_E10value_typeEPNST_ISO_E10value_typeEPSP_NS1_7vsmem_tEENKUlT_SN_SO_SP_E_clIPjSG_PS9_SI_EESM_S12_SN_SO_SP_EUlS12_E1_NS1_11comp_targetILNS1_3genE9ELNS1_11target_archE1100ELNS1_3gpuE3ELNS1_3repE0EEENS1_36merge_oddeven_config_static_selectorELNS0_4arch9wavefront6targetE0EEEvSO_ ; -- Begin function _ZN7rocprim17ROCPRIM_400000_NS6detail17trampoline_kernelINS0_14default_configENS1_38merge_sort_block_merge_config_selectorIjN6thrust23THRUST_200600_302600_NS5tupleIffNS6_9null_typeES8_S8_S8_S8_S8_S8_S8_EEEEZZNS1_27merge_sort_block_merge_implIS3_NS6_6detail15normal_iteratorINS6_10device_ptrIjEEEENSD_INSE_IS9_EEEEjNS1_19radix_merge_compareILb0ELb1EjNS0_19identity_decomposerEEEEE10hipError_tT0_T1_T2_jT3_P12ihipStream_tbPNSt15iterator_traitsISN_E10value_typeEPNST_ISO_E10value_typeEPSP_NS1_7vsmem_tEENKUlT_SN_SO_SP_E_clIPjSG_PS9_SI_EESM_S12_SN_SO_SP_EUlS12_E1_NS1_11comp_targetILNS1_3genE9ELNS1_11target_archE1100ELNS1_3gpuE3ELNS1_3repE0EEENS1_36merge_oddeven_config_static_selectorELNS0_4arch9wavefront6targetE0EEEvSO_
	.globl	_ZN7rocprim17ROCPRIM_400000_NS6detail17trampoline_kernelINS0_14default_configENS1_38merge_sort_block_merge_config_selectorIjN6thrust23THRUST_200600_302600_NS5tupleIffNS6_9null_typeES8_S8_S8_S8_S8_S8_S8_EEEEZZNS1_27merge_sort_block_merge_implIS3_NS6_6detail15normal_iteratorINS6_10device_ptrIjEEEENSD_INSE_IS9_EEEEjNS1_19radix_merge_compareILb0ELb1EjNS0_19identity_decomposerEEEEE10hipError_tT0_T1_T2_jT3_P12ihipStream_tbPNSt15iterator_traitsISN_E10value_typeEPNST_ISO_E10value_typeEPSP_NS1_7vsmem_tEENKUlT_SN_SO_SP_E_clIPjSG_PS9_SI_EESM_S12_SN_SO_SP_EUlS12_E1_NS1_11comp_targetILNS1_3genE9ELNS1_11target_archE1100ELNS1_3gpuE3ELNS1_3repE0EEENS1_36merge_oddeven_config_static_selectorELNS0_4arch9wavefront6targetE0EEEvSO_
	.p2align	8
	.type	_ZN7rocprim17ROCPRIM_400000_NS6detail17trampoline_kernelINS0_14default_configENS1_38merge_sort_block_merge_config_selectorIjN6thrust23THRUST_200600_302600_NS5tupleIffNS6_9null_typeES8_S8_S8_S8_S8_S8_S8_EEEEZZNS1_27merge_sort_block_merge_implIS3_NS6_6detail15normal_iteratorINS6_10device_ptrIjEEEENSD_INSE_IS9_EEEEjNS1_19radix_merge_compareILb0ELb1EjNS0_19identity_decomposerEEEEE10hipError_tT0_T1_T2_jT3_P12ihipStream_tbPNSt15iterator_traitsISN_E10value_typeEPNST_ISO_E10value_typeEPSP_NS1_7vsmem_tEENKUlT_SN_SO_SP_E_clIPjSG_PS9_SI_EESM_S12_SN_SO_SP_EUlS12_E1_NS1_11comp_targetILNS1_3genE9ELNS1_11target_archE1100ELNS1_3gpuE3ELNS1_3repE0EEENS1_36merge_oddeven_config_static_selectorELNS0_4arch9wavefront6targetE0EEEvSO_,@function
_ZN7rocprim17ROCPRIM_400000_NS6detail17trampoline_kernelINS0_14default_configENS1_38merge_sort_block_merge_config_selectorIjN6thrust23THRUST_200600_302600_NS5tupleIffNS6_9null_typeES8_S8_S8_S8_S8_S8_S8_EEEEZZNS1_27merge_sort_block_merge_implIS3_NS6_6detail15normal_iteratorINS6_10device_ptrIjEEEENSD_INSE_IS9_EEEEjNS1_19radix_merge_compareILb0ELb1EjNS0_19identity_decomposerEEEEE10hipError_tT0_T1_T2_jT3_P12ihipStream_tbPNSt15iterator_traitsISN_E10value_typeEPNST_ISO_E10value_typeEPSP_NS1_7vsmem_tEENKUlT_SN_SO_SP_E_clIPjSG_PS9_SI_EESM_S12_SN_SO_SP_EUlS12_E1_NS1_11comp_targetILNS1_3genE9ELNS1_11target_archE1100ELNS1_3gpuE3ELNS1_3repE0EEENS1_36merge_oddeven_config_static_selectorELNS0_4arch9wavefront6targetE0EEEvSO_: ; @_ZN7rocprim17ROCPRIM_400000_NS6detail17trampoline_kernelINS0_14default_configENS1_38merge_sort_block_merge_config_selectorIjN6thrust23THRUST_200600_302600_NS5tupleIffNS6_9null_typeES8_S8_S8_S8_S8_S8_S8_EEEEZZNS1_27merge_sort_block_merge_implIS3_NS6_6detail15normal_iteratorINS6_10device_ptrIjEEEENSD_INSE_IS9_EEEEjNS1_19radix_merge_compareILb0ELb1EjNS0_19identity_decomposerEEEEE10hipError_tT0_T1_T2_jT3_P12ihipStream_tbPNSt15iterator_traitsISN_E10value_typeEPNST_ISO_E10value_typeEPSP_NS1_7vsmem_tEENKUlT_SN_SO_SP_E_clIPjSG_PS9_SI_EESM_S12_SN_SO_SP_EUlS12_E1_NS1_11comp_targetILNS1_3genE9ELNS1_11target_archE1100ELNS1_3gpuE3ELNS1_3repE0EEENS1_36merge_oddeven_config_static_selectorELNS0_4arch9wavefront6targetE0EEEvSO_
; %bb.0:
	.section	.rodata,"a",@progbits
	.p2align	6, 0x0
	.amdhsa_kernel _ZN7rocprim17ROCPRIM_400000_NS6detail17trampoline_kernelINS0_14default_configENS1_38merge_sort_block_merge_config_selectorIjN6thrust23THRUST_200600_302600_NS5tupleIffNS6_9null_typeES8_S8_S8_S8_S8_S8_S8_EEEEZZNS1_27merge_sort_block_merge_implIS3_NS6_6detail15normal_iteratorINS6_10device_ptrIjEEEENSD_INSE_IS9_EEEEjNS1_19radix_merge_compareILb0ELb1EjNS0_19identity_decomposerEEEEE10hipError_tT0_T1_T2_jT3_P12ihipStream_tbPNSt15iterator_traitsISN_E10value_typeEPNST_ISO_E10value_typeEPSP_NS1_7vsmem_tEENKUlT_SN_SO_SP_E_clIPjSG_PS9_SI_EESM_S12_SN_SO_SP_EUlS12_E1_NS1_11comp_targetILNS1_3genE9ELNS1_11target_archE1100ELNS1_3gpuE3ELNS1_3repE0EEENS1_36merge_oddeven_config_static_selectorELNS0_4arch9wavefront6targetE0EEEvSO_
		.amdhsa_group_segment_fixed_size 0
		.amdhsa_private_segment_fixed_size 0
		.amdhsa_kernarg_size 48
		.amdhsa_user_sgpr_count 2
		.amdhsa_user_sgpr_dispatch_ptr 0
		.amdhsa_user_sgpr_queue_ptr 0
		.amdhsa_user_sgpr_kernarg_segment_ptr 1
		.amdhsa_user_sgpr_dispatch_id 0
		.amdhsa_user_sgpr_private_segment_size 0
		.amdhsa_wavefront_size32 1
		.amdhsa_uses_dynamic_stack 0
		.amdhsa_enable_private_segment 0
		.amdhsa_system_sgpr_workgroup_id_x 1
		.amdhsa_system_sgpr_workgroup_id_y 0
		.amdhsa_system_sgpr_workgroup_id_z 0
		.amdhsa_system_sgpr_workgroup_info 0
		.amdhsa_system_vgpr_workitem_id 0
		.amdhsa_next_free_vgpr 1
		.amdhsa_next_free_sgpr 1
		.amdhsa_reserve_vcc 0
		.amdhsa_float_round_mode_32 0
		.amdhsa_float_round_mode_16_64 0
		.amdhsa_float_denorm_mode_32 3
		.amdhsa_float_denorm_mode_16_64 3
		.amdhsa_fp16_overflow 0
		.amdhsa_workgroup_processor_mode 1
		.amdhsa_memory_ordered 1
		.amdhsa_forward_progress 1
		.amdhsa_inst_pref_size 0
		.amdhsa_round_robin_scheduling 0
		.amdhsa_exception_fp_ieee_invalid_op 0
		.amdhsa_exception_fp_denorm_src 0
		.amdhsa_exception_fp_ieee_div_zero 0
		.amdhsa_exception_fp_ieee_overflow 0
		.amdhsa_exception_fp_ieee_underflow 0
		.amdhsa_exception_fp_ieee_inexact 0
		.amdhsa_exception_int_div_zero 0
	.end_amdhsa_kernel
	.section	.text._ZN7rocprim17ROCPRIM_400000_NS6detail17trampoline_kernelINS0_14default_configENS1_38merge_sort_block_merge_config_selectorIjN6thrust23THRUST_200600_302600_NS5tupleIffNS6_9null_typeES8_S8_S8_S8_S8_S8_S8_EEEEZZNS1_27merge_sort_block_merge_implIS3_NS6_6detail15normal_iteratorINS6_10device_ptrIjEEEENSD_INSE_IS9_EEEEjNS1_19radix_merge_compareILb0ELb1EjNS0_19identity_decomposerEEEEE10hipError_tT0_T1_T2_jT3_P12ihipStream_tbPNSt15iterator_traitsISN_E10value_typeEPNST_ISO_E10value_typeEPSP_NS1_7vsmem_tEENKUlT_SN_SO_SP_E_clIPjSG_PS9_SI_EESM_S12_SN_SO_SP_EUlS12_E1_NS1_11comp_targetILNS1_3genE9ELNS1_11target_archE1100ELNS1_3gpuE3ELNS1_3repE0EEENS1_36merge_oddeven_config_static_selectorELNS0_4arch9wavefront6targetE0EEEvSO_,"axG",@progbits,_ZN7rocprim17ROCPRIM_400000_NS6detail17trampoline_kernelINS0_14default_configENS1_38merge_sort_block_merge_config_selectorIjN6thrust23THRUST_200600_302600_NS5tupleIffNS6_9null_typeES8_S8_S8_S8_S8_S8_S8_EEEEZZNS1_27merge_sort_block_merge_implIS3_NS6_6detail15normal_iteratorINS6_10device_ptrIjEEEENSD_INSE_IS9_EEEEjNS1_19radix_merge_compareILb0ELb1EjNS0_19identity_decomposerEEEEE10hipError_tT0_T1_T2_jT3_P12ihipStream_tbPNSt15iterator_traitsISN_E10value_typeEPNST_ISO_E10value_typeEPSP_NS1_7vsmem_tEENKUlT_SN_SO_SP_E_clIPjSG_PS9_SI_EESM_S12_SN_SO_SP_EUlS12_E1_NS1_11comp_targetILNS1_3genE9ELNS1_11target_archE1100ELNS1_3gpuE3ELNS1_3repE0EEENS1_36merge_oddeven_config_static_selectorELNS0_4arch9wavefront6targetE0EEEvSO_,comdat
.Lfunc_end113:
	.size	_ZN7rocprim17ROCPRIM_400000_NS6detail17trampoline_kernelINS0_14default_configENS1_38merge_sort_block_merge_config_selectorIjN6thrust23THRUST_200600_302600_NS5tupleIffNS6_9null_typeES8_S8_S8_S8_S8_S8_S8_EEEEZZNS1_27merge_sort_block_merge_implIS3_NS6_6detail15normal_iteratorINS6_10device_ptrIjEEEENSD_INSE_IS9_EEEEjNS1_19radix_merge_compareILb0ELb1EjNS0_19identity_decomposerEEEEE10hipError_tT0_T1_T2_jT3_P12ihipStream_tbPNSt15iterator_traitsISN_E10value_typeEPNST_ISO_E10value_typeEPSP_NS1_7vsmem_tEENKUlT_SN_SO_SP_E_clIPjSG_PS9_SI_EESM_S12_SN_SO_SP_EUlS12_E1_NS1_11comp_targetILNS1_3genE9ELNS1_11target_archE1100ELNS1_3gpuE3ELNS1_3repE0EEENS1_36merge_oddeven_config_static_selectorELNS0_4arch9wavefront6targetE0EEEvSO_, .Lfunc_end113-_ZN7rocprim17ROCPRIM_400000_NS6detail17trampoline_kernelINS0_14default_configENS1_38merge_sort_block_merge_config_selectorIjN6thrust23THRUST_200600_302600_NS5tupleIffNS6_9null_typeES8_S8_S8_S8_S8_S8_S8_EEEEZZNS1_27merge_sort_block_merge_implIS3_NS6_6detail15normal_iteratorINS6_10device_ptrIjEEEENSD_INSE_IS9_EEEEjNS1_19radix_merge_compareILb0ELb1EjNS0_19identity_decomposerEEEEE10hipError_tT0_T1_T2_jT3_P12ihipStream_tbPNSt15iterator_traitsISN_E10value_typeEPNST_ISO_E10value_typeEPSP_NS1_7vsmem_tEENKUlT_SN_SO_SP_E_clIPjSG_PS9_SI_EESM_S12_SN_SO_SP_EUlS12_E1_NS1_11comp_targetILNS1_3genE9ELNS1_11target_archE1100ELNS1_3gpuE3ELNS1_3repE0EEENS1_36merge_oddeven_config_static_selectorELNS0_4arch9wavefront6targetE0EEEvSO_
                                        ; -- End function
	.set _ZN7rocprim17ROCPRIM_400000_NS6detail17trampoline_kernelINS0_14default_configENS1_38merge_sort_block_merge_config_selectorIjN6thrust23THRUST_200600_302600_NS5tupleIffNS6_9null_typeES8_S8_S8_S8_S8_S8_S8_EEEEZZNS1_27merge_sort_block_merge_implIS3_NS6_6detail15normal_iteratorINS6_10device_ptrIjEEEENSD_INSE_IS9_EEEEjNS1_19radix_merge_compareILb0ELb1EjNS0_19identity_decomposerEEEEE10hipError_tT0_T1_T2_jT3_P12ihipStream_tbPNSt15iterator_traitsISN_E10value_typeEPNST_ISO_E10value_typeEPSP_NS1_7vsmem_tEENKUlT_SN_SO_SP_E_clIPjSG_PS9_SI_EESM_S12_SN_SO_SP_EUlS12_E1_NS1_11comp_targetILNS1_3genE9ELNS1_11target_archE1100ELNS1_3gpuE3ELNS1_3repE0EEENS1_36merge_oddeven_config_static_selectorELNS0_4arch9wavefront6targetE0EEEvSO_.num_vgpr, 0
	.set _ZN7rocprim17ROCPRIM_400000_NS6detail17trampoline_kernelINS0_14default_configENS1_38merge_sort_block_merge_config_selectorIjN6thrust23THRUST_200600_302600_NS5tupleIffNS6_9null_typeES8_S8_S8_S8_S8_S8_S8_EEEEZZNS1_27merge_sort_block_merge_implIS3_NS6_6detail15normal_iteratorINS6_10device_ptrIjEEEENSD_INSE_IS9_EEEEjNS1_19radix_merge_compareILb0ELb1EjNS0_19identity_decomposerEEEEE10hipError_tT0_T1_T2_jT3_P12ihipStream_tbPNSt15iterator_traitsISN_E10value_typeEPNST_ISO_E10value_typeEPSP_NS1_7vsmem_tEENKUlT_SN_SO_SP_E_clIPjSG_PS9_SI_EESM_S12_SN_SO_SP_EUlS12_E1_NS1_11comp_targetILNS1_3genE9ELNS1_11target_archE1100ELNS1_3gpuE3ELNS1_3repE0EEENS1_36merge_oddeven_config_static_selectorELNS0_4arch9wavefront6targetE0EEEvSO_.num_agpr, 0
	.set _ZN7rocprim17ROCPRIM_400000_NS6detail17trampoline_kernelINS0_14default_configENS1_38merge_sort_block_merge_config_selectorIjN6thrust23THRUST_200600_302600_NS5tupleIffNS6_9null_typeES8_S8_S8_S8_S8_S8_S8_EEEEZZNS1_27merge_sort_block_merge_implIS3_NS6_6detail15normal_iteratorINS6_10device_ptrIjEEEENSD_INSE_IS9_EEEEjNS1_19radix_merge_compareILb0ELb1EjNS0_19identity_decomposerEEEEE10hipError_tT0_T1_T2_jT3_P12ihipStream_tbPNSt15iterator_traitsISN_E10value_typeEPNST_ISO_E10value_typeEPSP_NS1_7vsmem_tEENKUlT_SN_SO_SP_E_clIPjSG_PS9_SI_EESM_S12_SN_SO_SP_EUlS12_E1_NS1_11comp_targetILNS1_3genE9ELNS1_11target_archE1100ELNS1_3gpuE3ELNS1_3repE0EEENS1_36merge_oddeven_config_static_selectorELNS0_4arch9wavefront6targetE0EEEvSO_.numbered_sgpr, 0
	.set _ZN7rocprim17ROCPRIM_400000_NS6detail17trampoline_kernelINS0_14default_configENS1_38merge_sort_block_merge_config_selectorIjN6thrust23THRUST_200600_302600_NS5tupleIffNS6_9null_typeES8_S8_S8_S8_S8_S8_S8_EEEEZZNS1_27merge_sort_block_merge_implIS3_NS6_6detail15normal_iteratorINS6_10device_ptrIjEEEENSD_INSE_IS9_EEEEjNS1_19radix_merge_compareILb0ELb1EjNS0_19identity_decomposerEEEEE10hipError_tT0_T1_T2_jT3_P12ihipStream_tbPNSt15iterator_traitsISN_E10value_typeEPNST_ISO_E10value_typeEPSP_NS1_7vsmem_tEENKUlT_SN_SO_SP_E_clIPjSG_PS9_SI_EESM_S12_SN_SO_SP_EUlS12_E1_NS1_11comp_targetILNS1_3genE9ELNS1_11target_archE1100ELNS1_3gpuE3ELNS1_3repE0EEENS1_36merge_oddeven_config_static_selectorELNS0_4arch9wavefront6targetE0EEEvSO_.num_named_barrier, 0
	.set _ZN7rocprim17ROCPRIM_400000_NS6detail17trampoline_kernelINS0_14default_configENS1_38merge_sort_block_merge_config_selectorIjN6thrust23THRUST_200600_302600_NS5tupleIffNS6_9null_typeES8_S8_S8_S8_S8_S8_S8_EEEEZZNS1_27merge_sort_block_merge_implIS3_NS6_6detail15normal_iteratorINS6_10device_ptrIjEEEENSD_INSE_IS9_EEEEjNS1_19radix_merge_compareILb0ELb1EjNS0_19identity_decomposerEEEEE10hipError_tT0_T1_T2_jT3_P12ihipStream_tbPNSt15iterator_traitsISN_E10value_typeEPNST_ISO_E10value_typeEPSP_NS1_7vsmem_tEENKUlT_SN_SO_SP_E_clIPjSG_PS9_SI_EESM_S12_SN_SO_SP_EUlS12_E1_NS1_11comp_targetILNS1_3genE9ELNS1_11target_archE1100ELNS1_3gpuE3ELNS1_3repE0EEENS1_36merge_oddeven_config_static_selectorELNS0_4arch9wavefront6targetE0EEEvSO_.private_seg_size, 0
	.set _ZN7rocprim17ROCPRIM_400000_NS6detail17trampoline_kernelINS0_14default_configENS1_38merge_sort_block_merge_config_selectorIjN6thrust23THRUST_200600_302600_NS5tupleIffNS6_9null_typeES8_S8_S8_S8_S8_S8_S8_EEEEZZNS1_27merge_sort_block_merge_implIS3_NS6_6detail15normal_iteratorINS6_10device_ptrIjEEEENSD_INSE_IS9_EEEEjNS1_19radix_merge_compareILb0ELb1EjNS0_19identity_decomposerEEEEE10hipError_tT0_T1_T2_jT3_P12ihipStream_tbPNSt15iterator_traitsISN_E10value_typeEPNST_ISO_E10value_typeEPSP_NS1_7vsmem_tEENKUlT_SN_SO_SP_E_clIPjSG_PS9_SI_EESM_S12_SN_SO_SP_EUlS12_E1_NS1_11comp_targetILNS1_3genE9ELNS1_11target_archE1100ELNS1_3gpuE3ELNS1_3repE0EEENS1_36merge_oddeven_config_static_selectorELNS0_4arch9wavefront6targetE0EEEvSO_.uses_vcc, 0
	.set _ZN7rocprim17ROCPRIM_400000_NS6detail17trampoline_kernelINS0_14default_configENS1_38merge_sort_block_merge_config_selectorIjN6thrust23THRUST_200600_302600_NS5tupleIffNS6_9null_typeES8_S8_S8_S8_S8_S8_S8_EEEEZZNS1_27merge_sort_block_merge_implIS3_NS6_6detail15normal_iteratorINS6_10device_ptrIjEEEENSD_INSE_IS9_EEEEjNS1_19radix_merge_compareILb0ELb1EjNS0_19identity_decomposerEEEEE10hipError_tT0_T1_T2_jT3_P12ihipStream_tbPNSt15iterator_traitsISN_E10value_typeEPNST_ISO_E10value_typeEPSP_NS1_7vsmem_tEENKUlT_SN_SO_SP_E_clIPjSG_PS9_SI_EESM_S12_SN_SO_SP_EUlS12_E1_NS1_11comp_targetILNS1_3genE9ELNS1_11target_archE1100ELNS1_3gpuE3ELNS1_3repE0EEENS1_36merge_oddeven_config_static_selectorELNS0_4arch9wavefront6targetE0EEEvSO_.uses_flat_scratch, 0
	.set _ZN7rocprim17ROCPRIM_400000_NS6detail17trampoline_kernelINS0_14default_configENS1_38merge_sort_block_merge_config_selectorIjN6thrust23THRUST_200600_302600_NS5tupleIffNS6_9null_typeES8_S8_S8_S8_S8_S8_S8_EEEEZZNS1_27merge_sort_block_merge_implIS3_NS6_6detail15normal_iteratorINS6_10device_ptrIjEEEENSD_INSE_IS9_EEEEjNS1_19radix_merge_compareILb0ELb1EjNS0_19identity_decomposerEEEEE10hipError_tT0_T1_T2_jT3_P12ihipStream_tbPNSt15iterator_traitsISN_E10value_typeEPNST_ISO_E10value_typeEPSP_NS1_7vsmem_tEENKUlT_SN_SO_SP_E_clIPjSG_PS9_SI_EESM_S12_SN_SO_SP_EUlS12_E1_NS1_11comp_targetILNS1_3genE9ELNS1_11target_archE1100ELNS1_3gpuE3ELNS1_3repE0EEENS1_36merge_oddeven_config_static_selectorELNS0_4arch9wavefront6targetE0EEEvSO_.has_dyn_sized_stack, 0
	.set _ZN7rocprim17ROCPRIM_400000_NS6detail17trampoline_kernelINS0_14default_configENS1_38merge_sort_block_merge_config_selectorIjN6thrust23THRUST_200600_302600_NS5tupleIffNS6_9null_typeES8_S8_S8_S8_S8_S8_S8_EEEEZZNS1_27merge_sort_block_merge_implIS3_NS6_6detail15normal_iteratorINS6_10device_ptrIjEEEENSD_INSE_IS9_EEEEjNS1_19radix_merge_compareILb0ELb1EjNS0_19identity_decomposerEEEEE10hipError_tT0_T1_T2_jT3_P12ihipStream_tbPNSt15iterator_traitsISN_E10value_typeEPNST_ISO_E10value_typeEPSP_NS1_7vsmem_tEENKUlT_SN_SO_SP_E_clIPjSG_PS9_SI_EESM_S12_SN_SO_SP_EUlS12_E1_NS1_11comp_targetILNS1_3genE9ELNS1_11target_archE1100ELNS1_3gpuE3ELNS1_3repE0EEENS1_36merge_oddeven_config_static_selectorELNS0_4arch9wavefront6targetE0EEEvSO_.has_recursion, 0
	.set _ZN7rocprim17ROCPRIM_400000_NS6detail17trampoline_kernelINS0_14default_configENS1_38merge_sort_block_merge_config_selectorIjN6thrust23THRUST_200600_302600_NS5tupleIffNS6_9null_typeES8_S8_S8_S8_S8_S8_S8_EEEEZZNS1_27merge_sort_block_merge_implIS3_NS6_6detail15normal_iteratorINS6_10device_ptrIjEEEENSD_INSE_IS9_EEEEjNS1_19radix_merge_compareILb0ELb1EjNS0_19identity_decomposerEEEEE10hipError_tT0_T1_T2_jT3_P12ihipStream_tbPNSt15iterator_traitsISN_E10value_typeEPNST_ISO_E10value_typeEPSP_NS1_7vsmem_tEENKUlT_SN_SO_SP_E_clIPjSG_PS9_SI_EESM_S12_SN_SO_SP_EUlS12_E1_NS1_11comp_targetILNS1_3genE9ELNS1_11target_archE1100ELNS1_3gpuE3ELNS1_3repE0EEENS1_36merge_oddeven_config_static_selectorELNS0_4arch9wavefront6targetE0EEEvSO_.has_indirect_call, 0
	.section	.AMDGPU.csdata,"",@progbits
; Kernel info:
; codeLenInByte = 0
; TotalNumSgprs: 0
; NumVgprs: 0
; ScratchSize: 0
; MemoryBound: 0
; FloatMode: 240
; IeeeMode: 1
; LDSByteSize: 0 bytes/workgroup (compile time only)
; SGPRBlocks: 0
; VGPRBlocks: 0
; NumSGPRsForWavesPerEU: 1
; NumVGPRsForWavesPerEU: 1
; Occupancy: 16
; WaveLimiterHint : 0
; COMPUTE_PGM_RSRC2:SCRATCH_EN: 0
; COMPUTE_PGM_RSRC2:USER_SGPR: 2
; COMPUTE_PGM_RSRC2:TRAP_HANDLER: 0
; COMPUTE_PGM_RSRC2:TGID_X_EN: 1
; COMPUTE_PGM_RSRC2:TGID_Y_EN: 0
; COMPUTE_PGM_RSRC2:TGID_Z_EN: 0
; COMPUTE_PGM_RSRC2:TIDIG_COMP_CNT: 0
	.section	.text._ZN7rocprim17ROCPRIM_400000_NS6detail17trampoline_kernelINS0_14default_configENS1_38merge_sort_block_merge_config_selectorIjN6thrust23THRUST_200600_302600_NS5tupleIffNS6_9null_typeES8_S8_S8_S8_S8_S8_S8_EEEEZZNS1_27merge_sort_block_merge_implIS3_NS6_6detail15normal_iteratorINS6_10device_ptrIjEEEENSD_INSE_IS9_EEEEjNS1_19radix_merge_compareILb0ELb1EjNS0_19identity_decomposerEEEEE10hipError_tT0_T1_T2_jT3_P12ihipStream_tbPNSt15iterator_traitsISN_E10value_typeEPNST_ISO_E10value_typeEPSP_NS1_7vsmem_tEENKUlT_SN_SO_SP_E_clIPjSG_PS9_SI_EESM_S12_SN_SO_SP_EUlS12_E1_NS1_11comp_targetILNS1_3genE8ELNS1_11target_archE1030ELNS1_3gpuE2ELNS1_3repE0EEENS1_36merge_oddeven_config_static_selectorELNS0_4arch9wavefront6targetE0EEEvSO_,"axG",@progbits,_ZN7rocprim17ROCPRIM_400000_NS6detail17trampoline_kernelINS0_14default_configENS1_38merge_sort_block_merge_config_selectorIjN6thrust23THRUST_200600_302600_NS5tupleIffNS6_9null_typeES8_S8_S8_S8_S8_S8_S8_EEEEZZNS1_27merge_sort_block_merge_implIS3_NS6_6detail15normal_iteratorINS6_10device_ptrIjEEEENSD_INSE_IS9_EEEEjNS1_19radix_merge_compareILb0ELb1EjNS0_19identity_decomposerEEEEE10hipError_tT0_T1_T2_jT3_P12ihipStream_tbPNSt15iterator_traitsISN_E10value_typeEPNST_ISO_E10value_typeEPSP_NS1_7vsmem_tEENKUlT_SN_SO_SP_E_clIPjSG_PS9_SI_EESM_S12_SN_SO_SP_EUlS12_E1_NS1_11comp_targetILNS1_3genE8ELNS1_11target_archE1030ELNS1_3gpuE2ELNS1_3repE0EEENS1_36merge_oddeven_config_static_selectorELNS0_4arch9wavefront6targetE0EEEvSO_,comdat
	.protected	_ZN7rocprim17ROCPRIM_400000_NS6detail17trampoline_kernelINS0_14default_configENS1_38merge_sort_block_merge_config_selectorIjN6thrust23THRUST_200600_302600_NS5tupleIffNS6_9null_typeES8_S8_S8_S8_S8_S8_S8_EEEEZZNS1_27merge_sort_block_merge_implIS3_NS6_6detail15normal_iteratorINS6_10device_ptrIjEEEENSD_INSE_IS9_EEEEjNS1_19radix_merge_compareILb0ELb1EjNS0_19identity_decomposerEEEEE10hipError_tT0_T1_T2_jT3_P12ihipStream_tbPNSt15iterator_traitsISN_E10value_typeEPNST_ISO_E10value_typeEPSP_NS1_7vsmem_tEENKUlT_SN_SO_SP_E_clIPjSG_PS9_SI_EESM_S12_SN_SO_SP_EUlS12_E1_NS1_11comp_targetILNS1_3genE8ELNS1_11target_archE1030ELNS1_3gpuE2ELNS1_3repE0EEENS1_36merge_oddeven_config_static_selectorELNS0_4arch9wavefront6targetE0EEEvSO_ ; -- Begin function _ZN7rocprim17ROCPRIM_400000_NS6detail17trampoline_kernelINS0_14default_configENS1_38merge_sort_block_merge_config_selectorIjN6thrust23THRUST_200600_302600_NS5tupleIffNS6_9null_typeES8_S8_S8_S8_S8_S8_S8_EEEEZZNS1_27merge_sort_block_merge_implIS3_NS6_6detail15normal_iteratorINS6_10device_ptrIjEEEENSD_INSE_IS9_EEEEjNS1_19radix_merge_compareILb0ELb1EjNS0_19identity_decomposerEEEEE10hipError_tT0_T1_T2_jT3_P12ihipStream_tbPNSt15iterator_traitsISN_E10value_typeEPNST_ISO_E10value_typeEPSP_NS1_7vsmem_tEENKUlT_SN_SO_SP_E_clIPjSG_PS9_SI_EESM_S12_SN_SO_SP_EUlS12_E1_NS1_11comp_targetILNS1_3genE8ELNS1_11target_archE1030ELNS1_3gpuE2ELNS1_3repE0EEENS1_36merge_oddeven_config_static_selectorELNS0_4arch9wavefront6targetE0EEEvSO_
	.globl	_ZN7rocprim17ROCPRIM_400000_NS6detail17trampoline_kernelINS0_14default_configENS1_38merge_sort_block_merge_config_selectorIjN6thrust23THRUST_200600_302600_NS5tupleIffNS6_9null_typeES8_S8_S8_S8_S8_S8_S8_EEEEZZNS1_27merge_sort_block_merge_implIS3_NS6_6detail15normal_iteratorINS6_10device_ptrIjEEEENSD_INSE_IS9_EEEEjNS1_19radix_merge_compareILb0ELb1EjNS0_19identity_decomposerEEEEE10hipError_tT0_T1_T2_jT3_P12ihipStream_tbPNSt15iterator_traitsISN_E10value_typeEPNST_ISO_E10value_typeEPSP_NS1_7vsmem_tEENKUlT_SN_SO_SP_E_clIPjSG_PS9_SI_EESM_S12_SN_SO_SP_EUlS12_E1_NS1_11comp_targetILNS1_3genE8ELNS1_11target_archE1030ELNS1_3gpuE2ELNS1_3repE0EEENS1_36merge_oddeven_config_static_selectorELNS0_4arch9wavefront6targetE0EEEvSO_
	.p2align	8
	.type	_ZN7rocprim17ROCPRIM_400000_NS6detail17trampoline_kernelINS0_14default_configENS1_38merge_sort_block_merge_config_selectorIjN6thrust23THRUST_200600_302600_NS5tupleIffNS6_9null_typeES8_S8_S8_S8_S8_S8_S8_EEEEZZNS1_27merge_sort_block_merge_implIS3_NS6_6detail15normal_iteratorINS6_10device_ptrIjEEEENSD_INSE_IS9_EEEEjNS1_19radix_merge_compareILb0ELb1EjNS0_19identity_decomposerEEEEE10hipError_tT0_T1_T2_jT3_P12ihipStream_tbPNSt15iterator_traitsISN_E10value_typeEPNST_ISO_E10value_typeEPSP_NS1_7vsmem_tEENKUlT_SN_SO_SP_E_clIPjSG_PS9_SI_EESM_S12_SN_SO_SP_EUlS12_E1_NS1_11comp_targetILNS1_3genE8ELNS1_11target_archE1030ELNS1_3gpuE2ELNS1_3repE0EEENS1_36merge_oddeven_config_static_selectorELNS0_4arch9wavefront6targetE0EEEvSO_,@function
_ZN7rocprim17ROCPRIM_400000_NS6detail17trampoline_kernelINS0_14default_configENS1_38merge_sort_block_merge_config_selectorIjN6thrust23THRUST_200600_302600_NS5tupleIffNS6_9null_typeES8_S8_S8_S8_S8_S8_S8_EEEEZZNS1_27merge_sort_block_merge_implIS3_NS6_6detail15normal_iteratorINS6_10device_ptrIjEEEENSD_INSE_IS9_EEEEjNS1_19radix_merge_compareILb0ELb1EjNS0_19identity_decomposerEEEEE10hipError_tT0_T1_T2_jT3_P12ihipStream_tbPNSt15iterator_traitsISN_E10value_typeEPNST_ISO_E10value_typeEPSP_NS1_7vsmem_tEENKUlT_SN_SO_SP_E_clIPjSG_PS9_SI_EESM_S12_SN_SO_SP_EUlS12_E1_NS1_11comp_targetILNS1_3genE8ELNS1_11target_archE1030ELNS1_3gpuE2ELNS1_3repE0EEENS1_36merge_oddeven_config_static_selectorELNS0_4arch9wavefront6targetE0EEEvSO_: ; @_ZN7rocprim17ROCPRIM_400000_NS6detail17trampoline_kernelINS0_14default_configENS1_38merge_sort_block_merge_config_selectorIjN6thrust23THRUST_200600_302600_NS5tupleIffNS6_9null_typeES8_S8_S8_S8_S8_S8_S8_EEEEZZNS1_27merge_sort_block_merge_implIS3_NS6_6detail15normal_iteratorINS6_10device_ptrIjEEEENSD_INSE_IS9_EEEEjNS1_19radix_merge_compareILb0ELb1EjNS0_19identity_decomposerEEEEE10hipError_tT0_T1_T2_jT3_P12ihipStream_tbPNSt15iterator_traitsISN_E10value_typeEPNST_ISO_E10value_typeEPSP_NS1_7vsmem_tEENKUlT_SN_SO_SP_E_clIPjSG_PS9_SI_EESM_S12_SN_SO_SP_EUlS12_E1_NS1_11comp_targetILNS1_3genE8ELNS1_11target_archE1030ELNS1_3gpuE2ELNS1_3repE0EEENS1_36merge_oddeven_config_static_selectorELNS0_4arch9wavefront6targetE0EEEvSO_
; %bb.0:
	.section	.rodata,"a",@progbits
	.p2align	6, 0x0
	.amdhsa_kernel _ZN7rocprim17ROCPRIM_400000_NS6detail17trampoline_kernelINS0_14default_configENS1_38merge_sort_block_merge_config_selectorIjN6thrust23THRUST_200600_302600_NS5tupleIffNS6_9null_typeES8_S8_S8_S8_S8_S8_S8_EEEEZZNS1_27merge_sort_block_merge_implIS3_NS6_6detail15normal_iteratorINS6_10device_ptrIjEEEENSD_INSE_IS9_EEEEjNS1_19radix_merge_compareILb0ELb1EjNS0_19identity_decomposerEEEEE10hipError_tT0_T1_T2_jT3_P12ihipStream_tbPNSt15iterator_traitsISN_E10value_typeEPNST_ISO_E10value_typeEPSP_NS1_7vsmem_tEENKUlT_SN_SO_SP_E_clIPjSG_PS9_SI_EESM_S12_SN_SO_SP_EUlS12_E1_NS1_11comp_targetILNS1_3genE8ELNS1_11target_archE1030ELNS1_3gpuE2ELNS1_3repE0EEENS1_36merge_oddeven_config_static_selectorELNS0_4arch9wavefront6targetE0EEEvSO_
		.amdhsa_group_segment_fixed_size 0
		.amdhsa_private_segment_fixed_size 0
		.amdhsa_kernarg_size 48
		.amdhsa_user_sgpr_count 2
		.amdhsa_user_sgpr_dispatch_ptr 0
		.amdhsa_user_sgpr_queue_ptr 0
		.amdhsa_user_sgpr_kernarg_segment_ptr 1
		.amdhsa_user_sgpr_dispatch_id 0
		.amdhsa_user_sgpr_private_segment_size 0
		.amdhsa_wavefront_size32 1
		.amdhsa_uses_dynamic_stack 0
		.amdhsa_enable_private_segment 0
		.amdhsa_system_sgpr_workgroup_id_x 1
		.amdhsa_system_sgpr_workgroup_id_y 0
		.amdhsa_system_sgpr_workgroup_id_z 0
		.amdhsa_system_sgpr_workgroup_info 0
		.amdhsa_system_vgpr_workitem_id 0
		.amdhsa_next_free_vgpr 1
		.amdhsa_next_free_sgpr 1
		.amdhsa_reserve_vcc 0
		.amdhsa_float_round_mode_32 0
		.amdhsa_float_round_mode_16_64 0
		.amdhsa_float_denorm_mode_32 3
		.amdhsa_float_denorm_mode_16_64 3
		.amdhsa_fp16_overflow 0
		.amdhsa_workgroup_processor_mode 1
		.amdhsa_memory_ordered 1
		.amdhsa_forward_progress 1
		.amdhsa_inst_pref_size 0
		.amdhsa_round_robin_scheduling 0
		.amdhsa_exception_fp_ieee_invalid_op 0
		.amdhsa_exception_fp_denorm_src 0
		.amdhsa_exception_fp_ieee_div_zero 0
		.amdhsa_exception_fp_ieee_overflow 0
		.amdhsa_exception_fp_ieee_underflow 0
		.amdhsa_exception_fp_ieee_inexact 0
		.amdhsa_exception_int_div_zero 0
	.end_amdhsa_kernel
	.section	.text._ZN7rocprim17ROCPRIM_400000_NS6detail17trampoline_kernelINS0_14default_configENS1_38merge_sort_block_merge_config_selectorIjN6thrust23THRUST_200600_302600_NS5tupleIffNS6_9null_typeES8_S8_S8_S8_S8_S8_S8_EEEEZZNS1_27merge_sort_block_merge_implIS3_NS6_6detail15normal_iteratorINS6_10device_ptrIjEEEENSD_INSE_IS9_EEEEjNS1_19radix_merge_compareILb0ELb1EjNS0_19identity_decomposerEEEEE10hipError_tT0_T1_T2_jT3_P12ihipStream_tbPNSt15iterator_traitsISN_E10value_typeEPNST_ISO_E10value_typeEPSP_NS1_7vsmem_tEENKUlT_SN_SO_SP_E_clIPjSG_PS9_SI_EESM_S12_SN_SO_SP_EUlS12_E1_NS1_11comp_targetILNS1_3genE8ELNS1_11target_archE1030ELNS1_3gpuE2ELNS1_3repE0EEENS1_36merge_oddeven_config_static_selectorELNS0_4arch9wavefront6targetE0EEEvSO_,"axG",@progbits,_ZN7rocprim17ROCPRIM_400000_NS6detail17trampoline_kernelINS0_14default_configENS1_38merge_sort_block_merge_config_selectorIjN6thrust23THRUST_200600_302600_NS5tupleIffNS6_9null_typeES8_S8_S8_S8_S8_S8_S8_EEEEZZNS1_27merge_sort_block_merge_implIS3_NS6_6detail15normal_iteratorINS6_10device_ptrIjEEEENSD_INSE_IS9_EEEEjNS1_19radix_merge_compareILb0ELb1EjNS0_19identity_decomposerEEEEE10hipError_tT0_T1_T2_jT3_P12ihipStream_tbPNSt15iterator_traitsISN_E10value_typeEPNST_ISO_E10value_typeEPSP_NS1_7vsmem_tEENKUlT_SN_SO_SP_E_clIPjSG_PS9_SI_EESM_S12_SN_SO_SP_EUlS12_E1_NS1_11comp_targetILNS1_3genE8ELNS1_11target_archE1030ELNS1_3gpuE2ELNS1_3repE0EEENS1_36merge_oddeven_config_static_selectorELNS0_4arch9wavefront6targetE0EEEvSO_,comdat
.Lfunc_end114:
	.size	_ZN7rocprim17ROCPRIM_400000_NS6detail17trampoline_kernelINS0_14default_configENS1_38merge_sort_block_merge_config_selectorIjN6thrust23THRUST_200600_302600_NS5tupleIffNS6_9null_typeES8_S8_S8_S8_S8_S8_S8_EEEEZZNS1_27merge_sort_block_merge_implIS3_NS6_6detail15normal_iteratorINS6_10device_ptrIjEEEENSD_INSE_IS9_EEEEjNS1_19radix_merge_compareILb0ELb1EjNS0_19identity_decomposerEEEEE10hipError_tT0_T1_T2_jT3_P12ihipStream_tbPNSt15iterator_traitsISN_E10value_typeEPNST_ISO_E10value_typeEPSP_NS1_7vsmem_tEENKUlT_SN_SO_SP_E_clIPjSG_PS9_SI_EESM_S12_SN_SO_SP_EUlS12_E1_NS1_11comp_targetILNS1_3genE8ELNS1_11target_archE1030ELNS1_3gpuE2ELNS1_3repE0EEENS1_36merge_oddeven_config_static_selectorELNS0_4arch9wavefront6targetE0EEEvSO_, .Lfunc_end114-_ZN7rocprim17ROCPRIM_400000_NS6detail17trampoline_kernelINS0_14default_configENS1_38merge_sort_block_merge_config_selectorIjN6thrust23THRUST_200600_302600_NS5tupleIffNS6_9null_typeES8_S8_S8_S8_S8_S8_S8_EEEEZZNS1_27merge_sort_block_merge_implIS3_NS6_6detail15normal_iteratorINS6_10device_ptrIjEEEENSD_INSE_IS9_EEEEjNS1_19radix_merge_compareILb0ELb1EjNS0_19identity_decomposerEEEEE10hipError_tT0_T1_T2_jT3_P12ihipStream_tbPNSt15iterator_traitsISN_E10value_typeEPNST_ISO_E10value_typeEPSP_NS1_7vsmem_tEENKUlT_SN_SO_SP_E_clIPjSG_PS9_SI_EESM_S12_SN_SO_SP_EUlS12_E1_NS1_11comp_targetILNS1_3genE8ELNS1_11target_archE1030ELNS1_3gpuE2ELNS1_3repE0EEENS1_36merge_oddeven_config_static_selectorELNS0_4arch9wavefront6targetE0EEEvSO_
                                        ; -- End function
	.set _ZN7rocprim17ROCPRIM_400000_NS6detail17trampoline_kernelINS0_14default_configENS1_38merge_sort_block_merge_config_selectorIjN6thrust23THRUST_200600_302600_NS5tupleIffNS6_9null_typeES8_S8_S8_S8_S8_S8_S8_EEEEZZNS1_27merge_sort_block_merge_implIS3_NS6_6detail15normal_iteratorINS6_10device_ptrIjEEEENSD_INSE_IS9_EEEEjNS1_19radix_merge_compareILb0ELb1EjNS0_19identity_decomposerEEEEE10hipError_tT0_T1_T2_jT3_P12ihipStream_tbPNSt15iterator_traitsISN_E10value_typeEPNST_ISO_E10value_typeEPSP_NS1_7vsmem_tEENKUlT_SN_SO_SP_E_clIPjSG_PS9_SI_EESM_S12_SN_SO_SP_EUlS12_E1_NS1_11comp_targetILNS1_3genE8ELNS1_11target_archE1030ELNS1_3gpuE2ELNS1_3repE0EEENS1_36merge_oddeven_config_static_selectorELNS0_4arch9wavefront6targetE0EEEvSO_.num_vgpr, 0
	.set _ZN7rocprim17ROCPRIM_400000_NS6detail17trampoline_kernelINS0_14default_configENS1_38merge_sort_block_merge_config_selectorIjN6thrust23THRUST_200600_302600_NS5tupleIffNS6_9null_typeES8_S8_S8_S8_S8_S8_S8_EEEEZZNS1_27merge_sort_block_merge_implIS3_NS6_6detail15normal_iteratorINS6_10device_ptrIjEEEENSD_INSE_IS9_EEEEjNS1_19radix_merge_compareILb0ELb1EjNS0_19identity_decomposerEEEEE10hipError_tT0_T1_T2_jT3_P12ihipStream_tbPNSt15iterator_traitsISN_E10value_typeEPNST_ISO_E10value_typeEPSP_NS1_7vsmem_tEENKUlT_SN_SO_SP_E_clIPjSG_PS9_SI_EESM_S12_SN_SO_SP_EUlS12_E1_NS1_11comp_targetILNS1_3genE8ELNS1_11target_archE1030ELNS1_3gpuE2ELNS1_3repE0EEENS1_36merge_oddeven_config_static_selectorELNS0_4arch9wavefront6targetE0EEEvSO_.num_agpr, 0
	.set _ZN7rocprim17ROCPRIM_400000_NS6detail17trampoline_kernelINS0_14default_configENS1_38merge_sort_block_merge_config_selectorIjN6thrust23THRUST_200600_302600_NS5tupleIffNS6_9null_typeES8_S8_S8_S8_S8_S8_S8_EEEEZZNS1_27merge_sort_block_merge_implIS3_NS6_6detail15normal_iteratorINS6_10device_ptrIjEEEENSD_INSE_IS9_EEEEjNS1_19radix_merge_compareILb0ELb1EjNS0_19identity_decomposerEEEEE10hipError_tT0_T1_T2_jT3_P12ihipStream_tbPNSt15iterator_traitsISN_E10value_typeEPNST_ISO_E10value_typeEPSP_NS1_7vsmem_tEENKUlT_SN_SO_SP_E_clIPjSG_PS9_SI_EESM_S12_SN_SO_SP_EUlS12_E1_NS1_11comp_targetILNS1_3genE8ELNS1_11target_archE1030ELNS1_3gpuE2ELNS1_3repE0EEENS1_36merge_oddeven_config_static_selectorELNS0_4arch9wavefront6targetE0EEEvSO_.numbered_sgpr, 0
	.set _ZN7rocprim17ROCPRIM_400000_NS6detail17trampoline_kernelINS0_14default_configENS1_38merge_sort_block_merge_config_selectorIjN6thrust23THRUST_200600_302600_NS5tupleIffNS6_9null_typeES8_S8_S8_S8_S8_S8_S8_EEEEZZNS1_27merge_sort_block_merge_implIS3_NS6_6detail15normal_iteratorINS6_10device_ptrIjEEEENSD_INSE_IS9_EEEEjNS1_19radix_merge_compareILb0ELb1EjNS0_19identity_decomposerEEEEE10hipError_tT0_T1_T2_jT3_P12ihipStream_tbPNSt15iterator_traitsISN_E10value_typeEPNST_ISO_E10value_typeEPSP_NS1_7vsmem_tEENKUlT_SN_SO_SP_E_clIPjSG_PS9_SI_EESM_S12_SN_SO_SP_EUlS12_E1_NS1_11comp_targetILNS1_3genE8ELNS1_11target_archE1030ELNS1_3gpuE2ELNS1_3repE0EEENS1_36merge_oddeven_config_static_selectorELNS0_4arch9wavefront6targetE0EEEvSO_.num_named_barrier, 0
	.set _ZN7rocprim17ROCPRIM_400000_NS6detail17trampoline_kernelINS0_14default_configENS1_38merge_sort_block_merge_config_selectorIjN6thrust23THRUST_200600_302600_NS5tupleIffNS6_9null_typeES8_S8_S8_S8_S8_S8_S8_EEEEZZNS1_27merge_sort_block_merge_implIS3_NS6_6detail15normal_iteratorINS6_10device_ptrIjEEEENSD_INSE_IS9_EEEEjNS1_19radix_merge_compareILb0ELb1EjNS0_19identity_decomposerEEEEE10hipError_tT0_T1_T2_jT3_P12ihipStream_tbPNSt15iterator_traitsISN_E10value_typeEPNST_ISO_E10value_typeEPSP_NS1_7vsmem_tEENKUlT_SN_SO_SP_E_clIPjSG_PS9_SI_EESM_S12_SN_SO_SP_EUlS12_E1_NS1_11comp_targetILNS1_3genE8ELNS1_11target_archE1030ELNS1_3gpuE2ELNS1_3repE0EEENS1_36merge_oddeven_config_static_selectorELNS0_4arch9wavefront6targetE0EEEvSO_.private_seg_size, 0
	.set _ZN7rocprim17ROCPRIM_400000_NS6detail17trampoline_kernelINS0_14default_configENS1_38merge_sort_block_merge_config_selectorIjN6thrust23THRUST_200600_302600_NS5tupleIffNS6_9null_typeES8_S8_S8_S8_S8_S8_S8_EEEEZZNS1_27merge_sort_block_merge_implIS3_NS6_6detail15normal_iteratorINS6_10device_ptrIjEEEENSD_INSE_IS9_EEEEjNS1_19radix_merge_compareILb0ELb1EjNS0_19identity_decomposerEEEEE10hipError_tT0_T1_T2_jT3_P12ihipStream_tbPNSt15iterator_traitsISN_E10value_typeEPNST_ISO_E10value_typeEPSP_NS1_7vsmem_tEENKUlT_SN_SO_SP_E_clIPjSG_PS9_SI_EESM_S12_SN_SO_SP_EUlS12_E1_NS1_11comp_targetILNS1_3genE8ELNS1_11target_archE1030ELNS1_3gpuE2ELNS1_3repE0EEENS1_36merge_oddeven_config_static_selectorELNS0_4arch9wavefront6targetE0EEEvSO_.uses_vcc, 0
	.set _ZN7rocprim17ROCPRIM_400000_NS6detail17trampoline_kernelINS0_14default_configENS1_38merge_sort_block_merge_config_selectorIjN6thrust23THRUST_200600_302600_NS5tupleIffNS6_9null_typeES8_S8_S8_S8_S8_S8_S8_EEEEZZNS1_27merge_sort_block_merge_implIS3_NS6_6detail15normal_iteratorINS6_10device_ptrIjEEEENSD_INSE_IS9_EEEEjNS1_19radix_merge_compareILb0ELb1EjNS0_19identity_decomposerEEEEE10hipError_tT0_T1_T2_jT3_P12ihipStream_tbPNSt15iterator_traitsISN_E10value_typeEPNST_ISO_E10value_typeEPSP_NS1_7vsmem_tEENKUlT_SN_SO_SP_E_clIPjSG_PS9_SI_EESM_S12_SN_SO_SP_EUlS12_E1_NS1_11comp_targetILNS1_3genE8ELNS1_11target_archE1030ELNS1_3gpuE2ELNS1_3repE0EEENS1_36merge_oddeven_config_static_selectorELNS0_4arch9wavefront6targetE0EEEvSO_.uses_flat_scratch, 0
	.set _ZN7rocprim17ROCPRIM_400000_NS6detail17trampoline_kernelINS0_14default_configENS1_38merge_sort_block_merge_config_selectorIjN6thrust23THRUST_200600_302600_NS5tupleIffNS6_9null_typeES8_S8_S8_S8_S8_S8_S8_EEEEZZNS1_27merge_sort_block_merge_implIS3_NS6_6detail15normal_iteratorINS6_10device_ptrIjEEEENSD_INSE_IS9_EEEEjNS1_19radix_merge_compareILb0ELb1EjNS0_19identity_decomposerEEEEE10hipError_tT0_T1_T2_jT3_P12ihipStream_tbPNSt15iterator_traitsISN_E10value_typeEPNST_ISO_E10value_typeEPSP_NS1_7vsmem_tEENKUlT_SN_SO_SP_E_clIPjSG_PS9_SI_EESM_S12_SN_SO_SP_EUlS12_E1_NS1_11comp_targetILNS1_3genE8ELNS1_11target_archE1030ELNS1_3gpuE2ELNS1_3repE0EEENS1_36merge_oddeven_config_static_selectorELNS0_4arch9wavefront6targetE0EEEvSO_.has_dyn_sized_stack, 0
	.set _ZN7rocprim17ROCPRIM_400000_NS6detail17trampoline_kernelINS0_14default_configENS1_38merge_sort_block_merge_config_selectorIjN6thrust23THRUST_200600_302600_NS5tupleIffNS6_9null_typeES8_S8_S8_S8_S8_S8_S8_EEEEZZNS1_27merge_sort_block_merge_implIS3_NS6_6detail15normal_iteratorINS6_10device_ptrIjEEEENSD_INSE_IS9_EEEEjNS1_19radix_merge_compareILb0ELb1EjNS0_19identity_decomposerEEEEE10hipError_tT0_T1_T2_jT3_P12ihipStream_tbPNSt15iterator_traitsISN_E10value_typeEPNST_ISO_E10value_typeEPSP_NS1_7vsmem_tEENKUlT_SN_SO_SP_E_clIPjSG_PS9_SI_EESM_S12_SN_SO_SP_EUlS12_E1_NS1_11comp_targetILNS1_3genE8ELNS1_11target_archE1030ELNS1_3gpuE2ELNS1_3repE0EEENS1_36merge_oddeven_config_static_selectorELNS0_4arch9wavefront6targetE0EEEvSO_.has_recursion, 0
	.set _ZN7rocprim17ROCPRIM_400000_NS6detail17trampoline_kernelINS0_14default_configENS1_38merge_sort_block_merge_config_selectorIjN6thrust23THRUST_200600_302600_NS5tupleIffNS6_9null_typeES8_S8_S8_S8_S8_S8_S8_EEEEZZNS1_27merge_sort_block_merge_implIS3_NS6_6detail15normal_iteratorINS6_10device_ptrIjEEEENSD_INSE_IS9_EEEEjNS1_19radix_merge_compareILb0ELb1EjNS0_19identity_decomposerEEEEE10hipError_tT0_T1_T2_jT3_P12ihipStream_tbPNSt15iterator_traitsISN_E10value_typeEPNST_ISO_E10value_typeEPSP_NS1_7vsmem_tEENKUlT_SN_SO_SP_E_clIPjSG_PS9_SI_EESM_S12_SN_SO_SP_EUlS12_E1_NS1_11comp_targetILNS1_3genE8ELNS1_11target_archE1030ELNS1_3gpuE2ELNS1_3repE0EEENS1_36merge_oddeven_config_static_selectorELNS0_4arch9wavefront6targetE0EEEvSO_.has_indirect_call, 0
	.section	.AMDGPU.csdata,"",@progbits
; Kernel info:
; codeLenInByte = 0
; TotalNumSgprs: 0
; NumVgprs: 0
; ScratchSize: 0
; MemoryBound: 0
; FloatMode: 240
; IeeeMode: 1
; LDSByteSize: 0 bytes/workgroup (compile time only)
; SGPRBlocks: 0
; VGPRBlocks: 0
; NumSGPRsForWavesPerEU: 1
; NumVGPRsForWavesPerEU: 1
; Occupancy: 16
; WaveLimiterHint : 0
; COMPUTE_PGM_RSRC2:SCRATCH_EN: 0
; COMPUTE_PGM_RSRC2:USER_SGPR: 2
; COMPUTE_PGM_RSRC2:TRAP_HANDLER: 0
; COMPUTE_PGM_RSRC2:TGID_X_EN: 1
; COMPUTE_PGM_RSRC2:TGID_Y_EN: 0
; COMPUTE_PGM_RSRC2:TGID_Z_EN: 0
; COMPUTE_PGM_RSRC2:TIDIG_COMP_CNT: 0
	.section	.text._ZN7rocprim17ROCPRIM_400000_NS6detail17trampoline_kernelINS0_14default_configENS1_38merge_sort_block_merge_config_selectorIjN6thrust23THRUST_200600_302600_NS5tupleIffNS6_9null_typeES8_S8_S8_S8_S8_S8_S8_EEEEZZNS1_27merge_sort_block_merge_implIS3_NS6_6detail15normal_iteratorINS6_10device_ptrIjEEEENSD_INSE_IS9_EEEEjNS1_19radix_merge_compareILb0ELb1EjNS0_19identity_decomposerEEEEE10hipError_tT0_T1_T2_jT3_P12ihipStream_tbPNSt15iterator_traitsISN_E10value_typeEPNST_ISO_E10value_typeEPSP_NS1_7vsmem_tEENKUlT_SN_SO_SP_E_clISG_PjSI_PS9_EESM_S12_SN_SO_SP_EUlS12_E_NS1_11comp_targetILNS1_3genE0ELNS1_11target_archE4294967295ELNS1_3gpuE0ELNS1_3repE0EEENS1_48merge_mergepath_partition_config_static_selectorELNS0_4arch9wavefront6targetE0EEEvSO_,"axG",@progbits,_ZN7rocprim17ROCPRIM_400000_NS6detail17trampoline_kernelINS0_14default_configENS1_38merge_sort_block_merge_config_selectorIjN6thrust23THRUST_200600_302600_NS5tupleIffNS6_9null_typeES8_S8_S8_S8_S8_S8_S8_EEEEZZNS1_27merge_sort_block_merge_implIS3_NS6_6detail15normal_iteratorINS6_10device_ptrIjEEEENSD_INSE_IS9_EEEEjNS1_19radix_merge_compareILb0ELb1EjNS0_19identity_decomposerEEEEE10hipError_tT0_T1_T2_jT3_P12ihipStream_tbPNSt15iterator_traitsISN_E10value_typeEPNST_ISO_E10value_typeEPSP_NS1_7vsmem_tEENKUlT_SN_SO_SP_E_clISG_PjSI_PS9_EESM_S12_SN_SO_SP_EUlS12_E_NS1_11comp_targetILNS1_3genE0ELNS1_11target_archE4294967295ELNS1_3gpuE0ELNS1_3repE0EEENS1_48merge_mergepath_partition_config_static_selectorELNS0_4arch9wavefront6targetE0EEEvSO_,comdat
	.protected	_ZN7rocprim17ROCPRIM_400000_NS6detail17trampoline_kernelINS0_14default_configENS1_38merge_sort_block_merge_config_selectorIjN6thrust23THRUST_200600_302600_NS5tupleIffNS6_9null_typeES8_S8_S8_S8_S8_S8_S8_EEEEZZNS1_27merge_sort_block_merge_implIS3_NS6_6detail15normal_iteratorINS6_10device_ptrIjEEEENSD_INSE_IS9_EEEEjNS1_19radix_merge_compareILb0ELb1EjNS0_19identity_decomposerEEEEE10hipError_tT0_T1_T2_jT3_P12ihipStream_tbPNSt15iterator_traitsISN_E10value_typeEPNST_ISO_E10value_typeEPSP_NS1_7vsmem_tEENKUlT_SN_SO_SP_E_clISG_PjSI_PS9_EESM_S12_SN_SO_SP_EUlS12_E_NS1_11comp_targetILNS1_3genE0ELNS1_11target_archE4294967295ELNS1_3gpuE0ELNS1_3repE0EEENS1_48merge_mergepath_partition_config_static_selectorELNS0_4arch9wavefront6targetE0EEEvSO_ ; -- Begin function _ZN7rocprim17ROCPRIM_400000_NS6detail17trampoline_kernelINS0_14default_configENS1_38merge_sort_block_merge_config_selectorIjN6thrust23THRUST_200600_302600_NS5tupleIffNS6_9null_typeES8_S8_S8_S8_S8_S8_S8_EEEEZZNS1_27merge_sort_block_merge_implIS3_NS6_6detail15normal_iteratorINS6_10device_ptrIjEEEENSD_INSE_IS9_EEEEjNS1_19radix_merge_compareILb0ELb1EjNS0_19identity_decomposerEEEEE10hipError_tT0_T1_T2_jT3_P12ihipStream_tbPNSt15iterator_traitsISN_E10value_typeEPNST_ISO_E10value_typeEPSP_NS1_7vsmem_tEENKUlT_SN_SO_SP_E_clISG_PjSI_PS9_EESM_S12_SN_SO_SP_EUlS12_E_NS1_11comp_targetILNS1_3genE0ELNS1_11target_archE4294967295ELNS1_3gpuE0ELNS1_3repE0EEENS1_48merge_mergepath_partition_config_static_selectorELNS0_4arch9wavefront6targetE0EEEvSO_
	.globl	_ZN7rocprim17ROCPRIM_400000_NS6detail17trampoline_kernelINS0_14default_configENS1_38merge_sort_block_merge_config_selectorIjN6thrust23THRUST_200600_302600_NS5tupleIffNS6_9null_typeES8_S8_S8_S8_S8_S8_S8_EEEEZZNS1_27merge_sort_block_merge_implIS3_NS6_6detail15normal_iteratorINS6_10device_ptrIjEEEENSD_INSE_IS9_EEEEjNS1_19radix_merge_compareILb0ELb1EjNS0_19identity_decomposerEEEEE10hipError_tT0_T1_T2_jT3_P12ihipStream_tbPNSt15iterator_traitsISN_E10value_typeEPNST_ISO_E10value_typeEPSP_NS1_7vsmem_tEENKUlT_SN_SO_SP_E_clISG_PjSI_PS9_EESM_S12_SN_SO_SP_EUlS12_E_NS1_11comp_targetILNS1_3genE0ELNS1_11target_archE4294967295ELNS1_3gpuE0ELNS1_3repE0EEENS1_48merge_mergepath_partition_config_static_selectorELNS0_4arch9wavefront6targetE0EEEvSO_
	.p2align	8
	.type	_ZN7rocprim17ROCPRIM_400000_NS6detail17trampoline_kernelINS0_14default_configENS1_38merge_sort_block_merge_config_selectorIjN6thrust23THRUST_200600_302600_NS5tupleIffNS6_9null_typeES8_S8_S8_S8_S8_S8_S8_EEEEZZNS1_27merge_sort_block_merge_implIS3_NS6_6detail15normal_iteratorINS6_10device_ptrIjEEEENSD_INSE_IS9_EEEEjNS1_19radix_merge_compareILb0ELb1EjNS0_19identity_decomposerEEEEE10hipError_tT0_T1_T2_jT3_P12ihipStream_tbPNSt15iterator_traitsISN_E10value_typeEPNST_ISO_E10value_typeEPSP_NS1_7vsmem_tEENKUlT_SN_SO_SP_E_clISG_PjSI_PS9_EESM_S12_SN_SO_SP_EUlS12_E_NS1_11comp_targetILNS1_3genE0ELNS1_11target_archE4294967295ELNS1_3gpuE0ELNS1_3repE0EEENS1_48merge_mergepath_partition_config_static_selectorELNS0_4arch9wavefront6targetE0EEEvSO_,@function
_ZN7rocprim17ROCPRIM_400000_NS6detail17trampoline_kernelINS0_14default_configENS1_38merge_sort_block_merge_config_selectorIjN6thrust23THRUST_200600_302600_NS5tupleIffNS6_9null_typeES8_S8_S8_S8_S8_S8_S8_EEEEZZNS1_27merge_sort_block_merge_implIS3_NS6_6detail15normal_iteratorINS6_10device_ptrIjEEEENSD_INSE_IS9_EEEEjNS1_19radix_merge_compareILb0ELb1EjNS0_19identity_decomposerEEEEE10hipError_tT0_T1_T2_jT3_P12ihipStream_tbPNSt15iterator_traitsISN_E10value_typeEPNST_ISO_E10value_typeEPSP_NS1_7vsmem_tEENKUlT_SN_SO_SP_E_clISG_PjSI_PS9_EESM_S12_SN_SO_SP_EUlS12_E_NS1_11comp_targetILNS1_3genE0ELNS1_11target_archE4294967295ELNS1_3gpuE0ELNS1_3repE0EEENS1_48merge_mergepath_partition_config_static_selectorELNS0_4arch9wavefront6targetE0EEEvSO_: ; @_ZN7rocprim17ROCPRIM_400000_NS6detail17trampoline_kernelINS0_14default_configENS1_38merge_sort_block_merge_config_selectorIjN6thrust23THRUST_200600_302600_NS5tupleIffNS6_9null_typeES8_S8_S8_S8_S8_S8_S8_EEEEZZNS1_27merge_sort_block_merge_implIS3_NS6_6detail15normal_iteratorINS6_10device_ptrIjEEEENSD_INSE_IS9_EEEEjNS1_19radix_merge_compareILb0ELb1EjNS0_19identity_decomposerEEEEE10hipError_tT0_T1_T2_jT3_P12ihipStream_tbPNSt15iterator_traitsISN_E10value_typeEPNST_ISO_E10value_typeEPSP_NS1_7vsmem_tEENKUlT_SN_SO_SP_E_clISG_PjSI_PS9_EESM_S12_SN_SO_SP_EUlS12_E_NS1_11comp_targetILNS1_3genE0ELNS1_11target_archE4294967295ELNS1_3gpuE0ELNS1_3repE0EEENS1_48merge_mergepath_partition_config_static_selectorELNS0_4arch9wavefront6targetE0EEEvSO_
; %bb.0:
	.section	.rodata,"a",@progbits
	.p2align	6, 0x0
	.amdhsa_kernel _ZN7rocprim17ROCPRIM_400000_NS6detail17trampoline_kernelINS0_14default_configENS1_38merge_sort_block_merge_config_selectorIjN6thrust23THRUST_200600_302600_NS5tupleIffNS6_9null_typeES8_S8_S8_S8_S8_S8_S8_EEEEZZNS1_27merge_sort_block_merge_implIS3_NS6_6detail15normal_iteratorINS6_10device_ptrIjEEEENSD_INSE_IS9_EEEEjNS1_19radix_merge_compareILb0ELb1EjNS0_19identity_decomposerEEEEE10hipError_tT0_T1_T2_jT3_P12ihipStream_tbPNSt15iterator_traitsISN_E10value_typeEPNST_ISO_E10value_typeEPSP_NS1_7vsmem_tEENKUlT_SN_SO_SP_E_clISG_PjSI_PS9_EESM_S12_SN_SO_SP_EUlS12_E_NS1_11comp_targetILNS1_3genE0ELNS1_11target_archE4294967295ELNS1_3gpuE0ELNS1_3repE0EEENS1_48merge_mergepath_partition_config_static_selectorELNS0_4arch9wavefront6targetE0EEEvSO_
		.amdhsa_group_segment_fixed_size 0
		.amdhsa_private_segment_fixed_size 0
		.amdhsa_kernarg_size 40
		.amdhsa_user_sgpr_count 2
		.amdhsa_user_sgpr_dispatch_ptr 0
		.amdhsa_user_sgpr_queue_ptr 0
		.amdhsa_user_sgpr_kernarg_segment_ptr 1
		.amdhsa_user_sgpr_dispatch_id 0
		.amdhsa_user_sgpr_private_segment_size 0
		.amdhsa_wavefront_size32 1
		.amdhsa_uses_dynamic_stack 0
		.amdhsa_enable_private_segment 0
		.amdhsa_system_sgpr_workgroup_id_x 1
		.amdhsa_system_sgpr_workgroup_id_y 0
		.amdhsa_system_sgpr_workgroup_id_z 0
		.amdhsa_system_sgpr_workgroup_info 0
		.amdhsa_system_vgpr_workitem_id 0
		.amdhsa_next_free_vgpr 1
		.amdhsa_next_free_sgpr 1
		.amdhsa_reserve_vcc 0
		.amdhsa_float_round_mode_32 0
		.amdhsa_float_round_mode_16_64 0
		.amdhsa_float_denorm_mode_32 3
		.amdhsa_float_denorm_mode_16_64 3
		.amdhsa_fp16_overflow 0
		.amdhsa_workgroup_processor_mode 1
		.amdhsa_memory_ordered 1
		.amdhsa_forward_progress 1
		.amdhsa_inst_pref_size 0
		.amdhsa_round_robin_scheduling 0
		.amdhsa_exception_fp_ieee_invalid_op 0
		.amdhsa_exception_fp_denorm_src 0
		.amdhsa_exception_fp_ieee_div_zero 0
		.amdhsa_exception_fp_ieee_overflow 0
		.amdhsa_exception_fp_ieee_underflow 0
		.amdhsa_exception_fp_ieee_inexact 0
		.amdhsa_exception_int_div_zero 0
	.end_amdhsa_kernel
	.section	.text._ZN7rocprim17ROCPRIM_400000_NS6detail17trampoline_kernelINS0_14default_configENS1_38merge_sort_block_merge_config_selectorIjN6thrust23THRUST_200600_302600_NS5tupleIffNS6_9null_typeES8_S8_S8_S8_S8_S8_S8_EEEEZZNS1_27merge_sort_block_merge_implIS3_NS6_6detail15normal_iteratorINS6_10device_ptrIjEEEENSD_INSE_IS9_EEEEjNS1_19radix_merge_compareILb0ELb1EjNS0_19identity_decomposerEEEEE10hipError_tT0_T1_T2_jT3_P12ihipStream_tbPNSt15iterator_traitsISN_E10value_typeEPNST_ISO_E10value_typeEPSP_NS1_7vsmem_tEENKUlT_SN_SO_SP_E_clISG_PjSI_PS9_EESM_S12_SN_SO_SP_EUlS12_E_NS1_11comp_targetILNS1_3genE0ELNS1_11target_archE4294967295ELNS1_3gpuE0ELNS1_3repE0EEENS1_48merge_mergepath_partition_config_static_selectorELNS0_4arch9wavefront6targetE0EEEvSO_,"axG",@progbits,_ZN7rocprim17ROCPRIM_400000_NS6detail17trampoline_kernelINS0_14default_configENS1_38merge_sort_block_merge_config_selectorIjN6thrust23THRUST_200600_302600_NS5tupleIffNS6_9null_typeES8_S8_S8_S8_S8_S8_S8_EEEEZZNS1_27merge_sort_block_merge_implIS3_NS6_6detail15normal_iteratorINS6_10device_ptrIjEEEENSD_INSE_IS9_EEEEjNS1_19radix_merge_compareILb0ELb1EjNS0_19identity_decomposerEEEEE10hipError_tT0_T1_T2_jT3_P12ihipStream_tbPNSt15iterator_traitsISN_E10value_typeEPNST_ISO_E10value_typeEPSP_NS1_7vsmem_tEENKUlT_SN_SO_SP_E_clISG_PjSI_PS9_EESM_S12_SN_SO_SP_EUlS12_E_NS1_11comp_targetILNS1_3genE0ELNS1_11target_archE4294967295ELNS1_3gpuE0ELNS1_3repE0EEENS1_48merge_mergepath_partition_config_static_selectorELNS0_4arch9wavefront6targetE0EEEvSO_,comdat
.Lfunc_end115:
	.size	_ZN7rocprim17ROCPRIM_400000_NS6detail17trampoline_kernelINS0_14default_configENS1_38merge_sort_block_merge_config_selectorIjN6thrust23THRUST_200600_302600_NS5tupleIffNS6_9null_typeES8_S8_S8_S8_S8_S8_S8_EEEEZZNS1_27merge_sort_block_merge_implIS3_NS6_6detail15normal_iteratorINS6_10device_ptrIjEEEENSD_INSE_IS9_EEEEjNS1_19radix_merge_compareILb0ELb1EjNS0_19identity_decomposerEEEEE10hipError_tT0_T1_T2_jT3_P12ihipStream_tbPNSt15iterator_traitsISN_E10value_typeEPNST_ISO_E10value_typeEPSP_NS1_7vsmem_tEENKUlT_SN_SO_SP_E_clISG_PjSI_PS9_EESM_S12_SN_SO_SP_EUlS12_E_NS1_11comp_targetILNS1_3genE0ELNS1_11target_archE4294967295ELNS1_3gpuE0ELNS1_3repE0EEENS1_48merge_mergepath_partition_config_static_selectorELNS0_4arch9wavefront6targetE0EEEvSO_, .Lfunc_end115-_ZN7rocprim17ROCPRIM_400000_NS6detail17trampoline_kernelINS0_14default_configENS1_38merge_sort_block_merge_config_selectorIjN6thrust23THRUST_200600_302600_NS5tupleIffNS6_9null_typeES8_S8_S8_S8_S8_S8_S8_EEEEZZNS1_27merge_sort_block_merge_implIS3_NS6_6detail15normal_iteratorINS6_10device_ptrIjEEEENSD_INSE_IS9_EEEEjNS1_19radix_merge_compareILb0ELb1EjNS0_19identity_decomposerEEEEE10hipError_tT0_T1_T2_jT3_P12ihipStream_tbPNSt15iterator_traitsISN_E10value_typeEPNST_ISO_E10value_typeEPSP_NS1_7vsmem_tEENKUlT_SN_SO_SP_E_clISG_PjSI_PS9_EESM_S12_SN_SO_SP_EUlS12_E_NS1_11comp_targetILNS1_3genE0ELNS1_11target_archE4294967295ELNS1_3gpuE0ELNS1_3repE0EEENS1_48merge_mergepath_partition_config_static_selectorELNS0_4arch9wavefront6targetE0EEEvSO_
                                        ; -- End function
	.set _ZN7rocprim17ROCPRIM_400000_NS6detail17trampoline_kernelINS0_14default_configENS1_38merge_sort_block_merge_config_selectorIjN6thrust23THRUST_200600_302600_NS5tupleIffNS6_9null_typeES8_S8_S8_S8_S8_S8_S8_EEEEZZNS1_27merge_sort_block_merge_implIS3_NS6_6detail15normal_iteratorINS6_10device_ptrIjEEEENSD_INSE_IS9_EEEEjNS1_19radix_merge_compareILb0ELb1EjNS0_19identity_decomposerEEEEE10hipError_tT0_T1_T2_jT3_P12ihipStream_tbPNSt15iterator_traitsISN_E10value_typeEPNST_ISO_E10value_typeEPSP_NS1_7vsmem_tEENKUlT_SN_SO_SP_E_clISG_PjSI_PS9_EESM_S12_SN_SO_SP_EUlS12_E_NS1_11comp_targetILNS1_3genE0ELNS1_11target_archE4294967295ELNS1_3gpuE0ELNS1_3repE0EEENS1_48merge_mergepath_partition_config_static_selectorELNS0_4arch9wavefront6targetE0EEEvSO_.num_vgpr, 0
	.set _ZN7rocprim17ROCPRIM_400000_NS6detail17trampoline_kernelINS0_14default_configENS1_38merge_sort_block_merge_config_selectorIjN6thrust23THRUST_200600_302600_NS5tupleIffNS6_9null_typeES8_S8_S8_S8_S8_S8_S8_EEEEZZNS1_27merge_sort_block_merge_implIS3_NS6_6detail15normal_iteratorINS6_10device_ptrIjEEEENSD_INSE_IS9_EEEEjNS1_19radix_merge_compareILb0ELb1EjNS0_19identity_decomposerEEEEE10hipError_tT0_T1_T2_jT3_P12ihipStream_tbPNSt15iterator_traitsISN_E10value_typeEPNST_ISO_E10value_typeEPSP_NS1_7vsmem_tEENKUlT_SN_SO_SP_E_clISG_PjSI_PS9_EESM_S12_SN_SO_SP_EUlS12_E_NS1_11comp_targetILNS1_3genE0ELNS1_11target_archE4294967295ELNS1_3gpuE0ELNS1_3repE0EEENS1_48merge_mergepath_partition_config_static_selectorELNS0_4arch9wavefront6targetE0EEEvSO_.num_agpr, 0
	.set _ZN7rocprim17ROCPRIM_400000_NS6detail17trampoline_kernelINS0_14default_configENS1_38merge_sort_block_merge_config_selectorIjN6thrust23THRUST_200600_302600_NS5tupleIffNS6_9null_typeES8_S8_S8_S8_S8_S8_S8_EEEEZZNS1_27merge_sort_block_merge_implIS3_NS6_6detail15normal_iteratorINS6_10device_ptrIjEEEENSD_INSE_IS9_EEEEjNS1_19radix_merge_compareILb0ELb1EjNS0_19identity_decomposerEEEEE10hipError_tT0_T1_T2_jT3_P12ihipStream_tbPNSt15iterator_traitsISN_E10value_typeEPNST_ISO_E10value_typeEPSP_NS1_7vsmem_tEENKUlT_SN_SO_SP_E_clISG_PjSI_PS9_EESM_S12_SN_SO_SP_EUlS12_E_NS1_11comp_targetILNS1_3genE0ELNS1_11target_archE4294967295ELNS1_3gpuE0ELNS1_3repE0EEENS1_48merge_mergepath_partition_config_static_selectorELNS0_4arch9wavefront6targetE0EEEvSO_.numbered_sgpr, 0
	.set _ZN7rocprim17ROCPRIM_400000_NS6detail17trampoline_kernelINS0_14default_configENS1_38merge_sort_block_merge_config_selectorIjN6thrust23THRUST_200600_302600_NS5tupleIffNS6_9null_typeES8_S8_S8_S8_S8_S8_S8_EEEEZZNS1_27merge_sort_block_merge_implIS3_NS6_6detail15normal_iteratorINS6_10device_ptrIjEEEENSD_INSE_IS9_EEEEjNS1_19radix_merge_compareILb0ELb1EjNS0_19identity_decomposerEEEEE10hipError_tT0_T1_T2_jT3_P12ihipStream_tbPNSt15iterator_traitsISN_E10value_typeEPNST_ISO_E10value_typeEPSP_NS1_7vsmem_tEENKUlT_SN_SO_SP_E_clISG_PjSI_PS9_EESM_S12_SN_SO_SP_EUlS12_E_NS1_11comp_targetILNS1_3genE0ELNS1_11target_archE4294967295ELNS1_3gpuE0ELNS1_3repE0EEENS1_48merge_mergepath_partition_config_static_selectorELNS0_4arch9wavefront6targetE0EEEvSO_.num_named_barrier, 0
	.set _ZN7rocprim17ROCPRIM_400000_NS6detail17trampoline_kernelINS0_14default_configENS1_38merge_sort_block_merge_config_selectorIjN6thrust23THRUST_200600_302600_NS5tupleIffNS6_9null_typeES8_S8_S8_S8_S8_S8_S8_EEEEZZNS1_27merge_sort_block_merge_implIS3_NS6_6detail15normal_iteratorINS6_10device_ptrIjEEEENSD_INSE_IS9_EEEEjNS1_19radix_merge_compareILb0ELb1EjNS0_19identity_decomposerEEEEE10hipError_tT0_T1_T2_jT3_P12ihipStream_tbPNSt15iterator_traitsISN_E10value_typeEPNST_ISO_E10value_typeEPSP_NS1_7vsmem_tEENKUlT_SN_SO_SP_E_clISG_PjSI_PS9_EESM_S12_SN_SO_SP_EUlS12_E_NS1_11comp_targetILNS1_3genE0ELNS1_11target_archE4294967295ELNS1_3gpuE0ELNS1_3repE0EEENS1_48merge_mergepath_partition_config_static_selectorELNS0_4arch9wavefront6targetE0EEEvSO_.private_seg_size, 0
	.set _ZN7rocprim17ROCPRIM_400000_NS6detail17trampoline_kernelINS0_14default_configENS1_38merge_sort_block_merge_config_selectorIjN6thrust23THRUST_200600_302600_NS5tupleIffNS6_9null_typeES8_S8_S8_S8_S8_S8_S8_EEEEZZNS1_27merge_sort_block_merge_implIS3_NS6_6detail15normal_iteratorINS6_10device_ptrIjEEEENSD_INSE_IS9_EEEEjNS1_19radix_merge_compareILb0ELb1EjNS0_19identity_decomposerEEEEE10hipError_tT0_T1_T2_jT3_P12ihipStream_tbPNSt15iterator_traitsISN_E10value_typeEPNST_ISO_E10value_typeEPSP_NS1_7vsmem_tEENKUlT_SN_SO_SP_E_clISG_PjSI_PS9_EESM_S12_SN_SO_SP_EUlS12_E_NS1_11comp_targetILNS1_3genE0ELNS1_11target_archE4294967295ELNS1_3gpuE0ELNS1_3repE0EEENS1_48merge_mergepath_partition_config_static_selectorELNS0_4arch9wavefront6targetE0EEEvSO_.uses_vcc, 0
	.set _ZN7rocprim17ROCPRIM_400000_NS6detail17trampoline_kernelINS0_14default_configENS1_38merge_sort_block_merge_config_selectorIjN6thrust23THRUST_200600_302600_NS5tupleIffNS6_9null_typeES8_S8_S8_S8_S8_S8_S8_EEEEZZNS1_27merge_sort_block_merge_implIS3_NS6_6detail15normal_iteratorINS6_10device_ptrIjEEEENSD_INSE_IS9_EEEEjNS1_19radix_merge_compareILb0ELb1EjNS0_19identity_decomposerEEEEE10hipError_tT0_T1_T2_jT3_P12ihipStream_tbPNSt15iterator_traitsISN_E10value_typeEPNST_ISO_E10value_typeEPSP_NS1_7vsmem_tEENKUlT_SN_SO_SP_E_clISG_PjSI_PS9_EESM_S12_SN_SO_SP_EUlS12_E_NS1_11comp_targetILNS1_3genE0ELNS1_11target_archE4294967295ELNS1_3gpuE0ELNS1_3repE0EEENS1_48merge_mergepath_partition_config_static_selectorELNS0_4arch9wavefront6targetE0EEEvSO_.uses_flat_scratch, 0
	.set _ZN7rocprim17ROCPRIM_400000_NS6detail17trampoline_kernelINS0_14default_configENS1_38merge_sort_block_merge_config_selectorIjN6thrust23THRUST_200600_302600_NS5tupleIffNS6_9null_typeES8_S8_S8_S8_S8_S8_S8_EEEEZZNS1_27merge_sort_block_merge_implIS3_NS6_6detail15normal_iteratorINS6_10device_ptrIjEEEENSD_INSE_IS9_EEEEjNS1_19radix_merge_compareILb0ELb1EjNS0_19identity_decomposerEEEEE10hipError_tT0_T1_T2_jT3_P12ihipStream_tbPNSt15iterator_traitsISN_E10value_typeEPNST_ISO_E10value_typeEPSP_NS1_7vsmem_tEENKUlT_SN_SO_SP_E_clISG_PjSI_PS9_EESM_S12_SN_SO_SP_EUlS12_E_NS1_11comp_targetILNS1_3genE0ELNS1_11target_archE4294967295ELNS1_3gpuE0ELNS1_3repE0EEENS1_48merge_mergepath_partition_config_static_selectorELNS0_4arch9wavefront6targetE0EEEvSO_.has_dyn_sized_stack, 0
	.set _ZN7rocprim17ROCPRIM_400000_NS6detail17trampoline_kernelINS0_14default_configENS1_38merge_sort_block_merge_config_selectorIjN6thrust23THRUST_200600_302600_NS5tupleIffNS6_9null_typeES8_S8_S8_S8_S8_S8_S8_EEEEZZNS1_27merge_sort_block_merge_implIS3_NS6_6detail15normal_iteratorINS6_10device_ptrIjEEEENSD_INSE_IS9_EEEEjNS1_19radix_merge_compareILb0ELb1EjNS0_19identity_decomposerEEEEE10hipError_tT0_T1_T2_jT3_P12ihipStream_tbPNSt15iterator_traitsISN_E10value_typeEPNST_ISO_E10value_typeEPSP_NS1_7vsmem_tEENKUlT_SN_SO_SP_E_clISG_PjSI_PS9_EESM_S12_SN_SO_SP_EUlS12_E_NS1_11comp_targetILNS1_3genE0ELNS1_11target_archE4294967295ELNS1_3gpuE0ELNS1_3repE0EEENS1_48merge_mergepath_partition_config_static_selectorELNS0_4arch9wavefront6targetE0EEEvSO_.has_recursion, 0
	.set _ZN7rocprim17ROCPRIM_400000_NS6detail17trampoline_kernelINS0_14default_configENS1_38merge_sort_block_merge_config_selectorIjN6thrust23THRUST_200600_302600_NS5tupleIffNS6_9null_typeES8_S8_S8_S8_S8_S8_S8_EEEEZZNS1_27merge_sort_block_merge_implIS3_NS6_6detail15normal_iteratorINS6_10device_ptrIjEEEENSD_INSE_IS9_EEEEjNS1_19radix_merge_compareILb0ELb1EjNS0_19identity_decomposerEEEEE10hipError_tT0_T1_T2_jT3_P12ihipStream_tbPNSt15iterator_traitsISN_E10value_typeEPNST_ISO_E10value_typeEPSP_NS1_7vsmem_tEENKUlT_SN_SO_SP_E_clISG_PjSI_PS9_EESM_S12_SN_SO_SP_EUlS12_E_NS1_11comp_targetILNS1_3genE0ELNS1_11target_archE4294967295ELNS1_3gpuE0ELNS1_3repE0EEENS1_48merge_mergepath_partition_config_static_selectorELNS0_4arch9wavefront6targetE0EEEvSO_.has_indirect_call, 0
	.section	.AMDGPU.csdata,"",@progbits
; Kernel info:
; codeLenInByte = 0
; TotalNumSgprs: 0
; NumVgprs: 0
; ScratchSize: 0
; MemoryBound: 0
; FloatMode: 240
; IeeeMode: 1
; LDSByteSize: 0 bytes/workgroup (compile time only)
; SGPRBlocks: 0
; VGPRBlocks: 0
; NumSGPRsForWavesPerEU: 1
; NumVGPRsForWavesPerEU: 1
; Occupancy: 16
; WaveLimiterHint : 0
; COMPUTE_PGM_RSRC2:SCRATCH_EN: 0
; COMPUTE_PGM_RSRC2:USER_SGPR: 2
; COMPUTE_PGM_RSRC2:TRAP_HANDLER: 0
; COMPUTE_PGM_RSRC2:TGID_X_EN: 1
; COMPUTE_PGM_RSRC2:TGID_Y_EN: 0
; COMPUTE_PGM_RSRC2:TGID_Z_EN: 0
; COMPUTE_PGM_RSRC2:TIDIG_COMP_CNT: 0
	.section	.text._ZN7rocprim17ROCPRIM_400000_NS6detail17trampoline_kernelINS0_14default_configENS1_38merge_sort_block_merge_config_selectorIjN6thrust23THRUST_200600_302600_NS5tupleIffNS6_9null_typeES8_S8_S8_S8_S8_S8_S8_EEEEZZNS1_27merge_sort_block_merge_implIS3_NS6_6detail15normal_iteratorINS6_10device_ptrIjEEEENSD_INSE_IS9_EEEEjNS1_19radix_merge_compareILb0ELb1EjNS0_19identity_decomposerEEEEE10hipError_tT0_T1_T2_jT3_P12ihipStream_tbPNSt15iterator_traitsISN_E10value_typeEPNST_ISO_E10value_typeEPSP_NS1_7vsmem_tEENKUlT_SN_SO_SP_E_clISG_PjSI_PS9_EESM_S12_SN_SO_SP_EUlS12_E_NS1_11comp_targetILNS1_3genE10ELNS1_11target_archE1201ELNS1_3gpuE5ELNS1_3repE0EEENS1_48merge_mergepath_partition_config_static_selectorELNS0_4arch9wavefront6targetE0EEEvSO_,"axG",@progbits,_ZN7rocprim17ROCPRIM_400000_NS6detail17trampoline_kernelINS0_14default_configENS1_38merge_sort_block_merge_config_selectorIjN6thrust23THRUST_200600_302600_NS5tupleIffNS6_9null_typeES8_S8_S8_S8_S8_S8_S8_EEEEZZNS1_27merge_sort_block_merge_implIS3_NS6_6detail15normal_iteratorINS6_10device_ptrIjEEEENSD_INSE_IS9_EEEEjNS1_19radix_merge_compareILb0ELb1EjNS0_19identity_decomposerEEEEE10hipError_tT0_T1_T2_jT3_P12ihipStream_tbPNSt15iterator_traitsISN_E10value_typeEPNST_ISO_E10value_typeEPSP_NS1_7vsmem_tEENKUlT_SN_SO_SP_E_clISG_PjSI_PS9_EESM_S12_SN_SO_SP_EUlS12_E_NS1_11comp_targetILNS1_3genE10ELNS1_11target_archE1201ELNS1_3gpuE5ELNS1_3repE0EEENS1_48merge_mergepath_partition_config_static_selectorELNS0_4arch9wavefront6targetE0EEEvSO_,comdat
	.protected	_ZN7rocprim17ROCPRIM_400000_NS6detail17trampoline_kernelINS0_14default_configENS1_38merge_sort_block_merge_config_selectorIjN6thrust23THRUST_200600_302600_NS5tupleIffNS6_9null_typeES8_S8_S8_S8_S8_S8_S8_EEEEZZNS1_27merge_sort_block_merge_implIS3_NS6_6detail15normal_iteratorINS6_10device_ptrIjEEEENSD_INSE_IS9_EEEEjNS1_19radix_merge_compareILb0ELb1EjNS0_19identity_decomposerEEEEE10hipError_tT0_T1_T2_jT3_P12ihipStream_tbPNSt15iterator_traitsISN_E10value_typeEPNST_ISO_E10value_typeEPSP_NS1_7vsmem_tEENKUlT_SN_SO_SP_E_clISG_PjSI_PS9_EESM_S12_SN_SO_SP_EUlS12_E_NS1_11comp_targetILNS1_3genE10ELNS1_11target_archE1201ELNS1_3gpuE5ELNS1_3repE0EEENS1_48merge_mergepath_partition_config_static_selectorELNS0_4arch9wavefront6targetE0EEEvSO_ ; -- Begin function _ZN7rocprim17ROCPRIM_400000_NS6detail17trampoline_kernelINS0_14default_configENS1_38merge_sort_block_merge_config_selectorIjN6thrust23THRUST_200600_302600_NS5tupleIffNS6_9null_typeES8_S8_S8_S8_S8_S8_S8_EEEEZZNS1_27merge_sort_block_merge_implIS3_NS6_6detail15normal_iteratorINS6_10device_ptrIjEEEENSD_INSE_IS9_EEEEjNS1_19radix_merge_compareILb0ELb1EjNS0_19identity_decomposerEEEEE10hipError_tT0_T1_T2_jT3_P12ihipStream_tbPNSt15iterator_traitsISN_E10value_typeEPNST_ISO_E10value_typeEPSP_NS1_7vsmem_tEENKUlT_SN_SO_SP_E_clISG_PjSI_PS9_EESM_S12_SN_SO_SP_EUlS12_E_NS1_11comp_targetILNS1_3genE10ELNS1_11target_archE1201ELNS1_3gpuE5ELNS1_3repE0EEENS1_48merge_mergepath_partition_config_static_selectorELNS0_4arch9wavefront6targetE0EEEvSO_
	.globl	_ZN7rocprim17ROCPRIM_400000_NS6detail17trampoline_kernelINS0_14default_configENS1_38merge_sort_block_merge_config_selectorIjN6thrust23THRUST_200600_302600_NS5tupleIffNS6_9null_typeES8_S8_S8_S8_S8_S8_S8_EEEEZZNS1_27merge_sort_block_merge_implIS3_NS6_6detail15normal_iteratorINS6_10device_ptrIjEEEENSD_INSE_IS9_EEEEjNS1_19radix_merge_compareILb0ELb1EjNS0_19identity_decomposerEEEEE10hipError_tT0_T1_T2_jT3_P12ihipStream_tbPNSt15iterator_traitsISN_E10value_typeEPNST_ISO_E10value_typeEPSP_NS1_7vsmem_tEENKUlT_SN_SO_SP_E_clISG_PjSI_PS9_EESM_S12_SN_SO_SP_EUlS12_E_NS1_11comp_targetILNS1_3genE10ELNS1_11target_archE1201ELNS1_3gpuE5ELNS1_3repE0EEENS1_48merge_mergepath_partition_config_static_selectorELNS0_4arch9wavefront6targetE0EEEvSO_
	.p2align	8
	.type	_ZN7rocprim17ROCPRIM_400000_NS6detail17trampoline_kernelINS0_14default_configENS1_38merge_sort_block_merge_config_selectorIjN6thrust23THRUST_200600_302600_NS5tupleIffNS6_9null_typeES8_S8_S8_S8_S8_S8_S8_EEEEZZNS1_27merge_sort_block_merge_implIS3_NS6_6detail15normal_iteratorINS6_10device_ptrIjEEEENSD_INSE_IS9_EEEEjNS1_19radix_merge_compareILb0ELb1EjNS0_19identity_decomposerEEEEE10hipError_tT0_T1_T2_jT3_P12ihipStream_tbPNSt15iterator_traitsISN_E10value_typeEPNST_ISO_E10value_typeEPSP_NS1_7vsmem_tEENKUlT_SN_SO_SP_E_clISG_PjSI_PS9_EESM_S12_SN_SO_SP_EUlS12_E_NS1_11comp_targetILNS1_3genE10ELNS1_11target_archE1201ELNS1_3gpuE5ELNS1_3repE0EEENS1_48merge_mergepath_partition_config_static_selectorELNS0_4arch9wavefront6targetE0EEEvSO_,@function
_ZN7rocprim17ROCPRIM_400000_NS6detail17trampoline_kernelINS0_14default_configENS1_38merge_sort_block_merge_config_selectorIjN6thrust23THRUST_200600_302600_NS5tupleIffNS6_9null_typeES8_S8_S8_S8_S8_S8_S8_EEEEZZNS1_27merge_sort_block_merge_implIS3_NS6_6detail15normal_iteratorINS6_10device_ptrIjEEEENSD_INSE_IS9_EEEEjNS1_19radix_merge_compareILb0ELb1EjNS0_19identity_decomposerEEEEE10hipError_tT0_T1_T2_jT3_P12ihipStream_tbPNSt15iterator_traitsISN_E10value_typeEPNST_ISO_E10value_typeEPSP_NS1_7vsmem_tEENKUlT_SN_SO_SP_E_clISG_PjSI_PS9_EESM_S12_SN_SO_SP_EUlS12_E_NS1_11comp_targetILNS1_3genE10ELNS1_11target_archE1201ELNS1_3gpuE5ELNS1_3repE0EEENS1_48merge_mergepath_partition_config_static_selectorELNS0_4arch9wavefront6targetE0EEEvSO_: ; @_ZN7rocprim17ROCPRIM_400000_NS6detail17trampoline_kernelINS0_14default_configENS1_38merge_sort_block_merge_config_selectorIjN6thrust23THRUST_200600_302600_NS5tupleIffNS6_9null_typeES8_S8_S8_S8_S8_S8_S8_EEEEZZNS1_27merge_sort_block_merge_implIS3_NS6_6detail15normal_iteratorINS6_10device_ptrIjEEEENSD_INSE_IS9_EEEEjNS1_19radix_merge_compareILb0ELb1EjNS0_19identity_decomposerEEEEE10hipError_tT0_T1_T2_jT3_P12ihipStream_tbPNSt15iterator_traitsISN_E10value_typeEPNST_ISO_E10value_typeEPSP_NS1_7vsmem_tEENKUlT_SN_SO_SP_E_clISG_PjSI_PS9_EESM_S12_SN_SO_SP_EUlS12_E_NS1_11comp_targetILNS1_3genE10ELNS1_11target_archE1201ELNS1_3gpuE5ELNS1_3repE0EEENS1_48merge_mergepath_partition_config_static_selectorELNS0_4arch9wavefront6targetE0EEEvSO_
; %bb.0:
	s_load_b32 s2, s[0:1], 0x0
	v_lshl_or_b32 v0, ttmp9, 7, v0
	s_wait_kmcnt 0x0
	s_delay_alu instid0(VALU_DEP_1)
	v_cmp_gt_u32_e32 vcc_lo, s2, v0
	s_and_saveexec_b32 s2, vcc_lo
	s_cbranch_execz .LBB116_6
; %bb.1:
	s_load_b64 s[2:3], s[0:1], 0x4
	s_mov_b32 s6, 0
	s_wait_kmcnt 0x0
	s_lshr_b32 s4, s2, 9
	s_delay_alu instid0(SALU_CYCLE_1) | instskip(NEXT) | instid1(SALU_CYCLE_1)
	s_and_b32 s4, s4, 0x7ffffe
	s_sub_co_i32 s5, 0, s4
	s_add_co_i32 s4, s4, -1
	v_and_b32_e32 v1, s5, v0
	v_and_b32_e32 v5, s4, v0
	s_load_b64 s[4:5], s[0:1], 0x20
	s_delay_alu instid0(VALU_DEP_2) | instskip(NEXT) | instid1(VALU_DEP_1)
	v_lshlrev_b32_e32 v1, 10, v1
	v_add_nc_u32_e32 v2, s2, v1
	s_delay_alu instid0(VALU_DEP_1) | instskip(SKIP_1) | instid1(VALU_DEP_2)
	v_min_u32_e32 v4, s3, v2
	v_min_u32_e32 v2, s3, v1
	v_add_nc_u32_e32 v3, s2, v4
	s_delay_alu instid0(VALU_DEP_1) | instskip(SKIP_2) | instid1(VALU_DEP_2)
	v_min_u32_e32 v1, s3, v3
	v_lshlrev_b32_e32 v3, 10, v5
	s_mov_b32 s3, exec_lo
	v_sub_nc_u32_e32 v5, v1, v2
	v_sub_nc_u32_e32 v6, v1, v4
	s_delay_alu instid0(VALU_DEP_2) | instskip(SKIP_1) | instid1(VALU_DEP_2)
	v_min_u32_e32 v1, v5, v3
	v_sub_nc_u32_e32 v3, v4, v2
	v_sub_nc_u32_e64 v6, v1, v6 clamp
	s_delay_alu instid0(VALU_DEP_2) | instskip(NEXT) | instid1(VALU_DEP_1)
	v_min_u32_e32 v7, v1, v3
	v_cmpx_lt_u32_e64 v6, v7
	s_cbranch_execz .LBB116_5
; %bb.2:
	s_load_b96 s[0:2], s[0:1], 0x10
	v_mov_b32_e32 v5, 0
	s_delay_alu instid0(VALU_DEP_1) | instskip(SKIP_1) | instid1(VALU_DEP_2)
	v_mov_b32_e32 v3, v5
	v_lshlrev_b64_e32 v[10:11], 2, v[4:5]
	v_lshlrev_b64_e32 v[8:9], 2, v[2:3]
	s_wait_kmcnt 0x0
	s_delay_alu instid0(VALU_DEP_1) | instskip(NEXT) | instid1(VALU_DEP_1)
	v_add_co_u32 v3, vcc_lo, s0, v8
	v_add_co_ci_u32_e64 v8, null, s1, v9, vcc_lo
	s_delay_alu instid0(VALU_DEP_4)
	v_add_co_u32 v9, vcc_lo, s0, v10
	s_wait_alu 0xfffd
	v_add_co_ci_u32_e64 v10, null, s1, v11, vcc_lo
.LBB116_3:                              ; =>This Inner Loop Header: Depth=1
	v_add_nc_u32_e32 v4, v7, v6
	v_mov_b32_e32 v12, v5
	s_delay_alu instid0(VALU_DEP_2) | instskip(NEXT) | instid1(VALU_DEP_1)
	v_lshrrev_b32_e32 v4, 1, v4
	v_xad_u32 v11, v4, -1, v1
	v_lshlrev_b64_e32 v[13:14], 2, v[4:5]
	s_delay_alu instid0(VALU_DEP_2) | instskip(NEXT) | instid1(VALU_DEP_2)
	v_lshlrev_b64_e32 v[11:12], 2, v[11:12]
	v_add_co_u32 v13, vcc_lo, v3, v13
	s_wait_alu 0xfffd
	s_delay_alu instid0(VALU_DEP_3) | instskip(NEXT) | instid1(VALU_DEP_3)
	v_add_co_ci_u32_e64 v14, null, v8, v14, vcc_lo
	v_add_co_u32 v11, vcc_lo, v9, v11
	s_wait_alu 0xfffd
	v_add_co_ci_u32_e64 v12, null, v10, v12, vcc_lo
	s_clause 0x1
	flat_load_b32 v13, v[13:14]
	flat_load_b32 v11, v[11:12]
	s_wait_loadcnt_dscnt 0x101
	v_and_b32_e32 v12, s2, v13
	s_wait_loadcnt_dscnt 0x0
	v_and_b32_e32 v11, s2, v11
	v_add_nc_u32_e32 v13, 1, v4
	s_delay_alu instid0(VALU_DEP_2) | instskip(SKIP_1) | instid1(VALU_DEP_2)
	v_cmp_gt_u32_e32 vcc_lo, v12, v11
	s_wait_alu 0xfffd
	v_dual_cndmask_b32 v7, v7, v4 :: v_dual_cndmask_b32 v6, v13, v6
	s_delay_alu instid0(VALU_DEP_1) | instskip(SKIP_1) | instid1(SALU_CYCLE_1)
	v_cmp_ge_u32_e32 vcc_lo, v6, v7
	s_or_b32 s6, vcc_lo, s6
	s_and_not1_b32 exec_lo, exec_lo, s6
	s_cbranch_execnz .LBB116_3
; %bb.4:
	s_or_b32 exec_lo, exec_lo, s6
.LBB116_5:
	s_wait_alu 0xfffe
	s_or_b32 exec_lo, exec_lo, s3
	v_dual_mov_b32 v1, 0 :: v_dual_add_nc_u32 v2, v6, v2
	s_delay_alu instid0(VALU_DEP_1) | instskip(SKIP_1) | instid1(VALU_DEP_1)
	v_lshlrev_b64_e32 v[0:1], 2, v[0:1]
	s_wait_kmcnt 0x0
	v_add_co_u32 v0, vcc_lo, s4, v0
	s_wait_alu 0xfffd
	s_delay_alu instid0(VALU_DEP_2)
	v_add_co_ci_u32_e64 v1, null, s5, v1, vcc_lo
	global_store_b32 v[0:1], v2, off
.LBB116_6:
	s_endpgm
	.section	.rodata,"a",@progbits
	.p2align	6, 0x0
	.amdhsa_kernel _ZN7rocprim17ROCPRIM_400000_NS6detail17trampoline_kernelINS0_14default_configENS1_38merge_sort_block_merge_config_selectorIjN6thrust23THRUST_200600_302600_NS5tupleIffNS6_9null_typeES8_S8_S8_S8_S8_S8_S8_EEEEZZNS1_27merge_sort_block_merge_implIS3_NS6_6detail15normal_iteratorINS6_10device_ptrIjEEEENSD_INSE_IS9_EEEEjNS1_19radix_merge_compareILb0ELb1EjNS0_19identity_decomposerEEEEE10hipError_tT0_T1_T2_jT3_P12ihipStream_tbPNSt15iterator_traitsISN_E10value_typeEPNST_ISO_E10value_typeEPSP_NS1_7vsmem_tEENKUlT_SN_SO_SP_E_clISG_PjSI_PS9_EESM_S12_SN_SO_SP_EUlS12_E_NS1_11comp_targetILNS1_3genE10ELNS1_11target_archE1201ELNS1_3gpuE5ELNS1_3repE0EEENS1_48merge_mergepath_partition_config_static_selectorELNS0_4arch9wavefront6targetE0EEEvSO_
		.amdhsa_group_segment_fixed_size 0
		.amdhsa_private_segment_fixed_size 0
		.amdhsa_kernarg_size 40
		.amdhsa_user_sgpr_count 2
		.amdhsa_user_sgpr_dispatch_ptr 0
		.amdhsa_user_sgpr_queue_ptr 0
		.amdhsa_user_sgpr_kernarg_segment_ptr 1
		.amdhsa_user_sgpr_dispatch_id 0
		.amdhsa_user_sgpr_private_segment_size 0
		.amdhsa_wavefront_size32 1
		.amdhsa_uses_dynamic_stack 0
		.amdhsa_enable_private_segment 0
		.amdhsa_system_sgpr_workgroup_id_x 1
		.amdhsa_system_sgpr_workgroup_id_y 0
		.amdhsa_system_sgpr_workgroup_id_z 0
		.amdhsa_system_sgpr_workgroup_info 0
		.amdhsa_system_vgpr_workitem_id 0
		.amdhsa_next_free_vgpr 15
		.amdhsa_next_free_sgpr 7
		.amdhsa_reserve_vcc 1
		.amdhsa_float_round_mode_32 0
		.amdhsa_float_round_mode_16_64 0
		.amdhsa_float_denorm_mode_32 3
		.amdhsa_float_denorm_mode_16_64 3
		.amdhsa_fp16_overflow 0
		.amdhsa_workgroup_processor_mode 1
		.amdhsa_memory_ordered 1
		.amdhsa_forward_progress 1
		.amdhsa_inst_pref_size 4
		.amdhsa_round_robin_scheduling 0
		.amdhsa_exception_fp_ieee_invalid_op 0
		.amdhsa_exception_fp_denorm_src 0
		.amdhsa_exception_fp_ieee_div_zero 0
		.amdhsa_exception_fp_ieee_overflow 0
		.amdhsa_exception_fp_ieee_underflow 0
		.amdhsa_exception_fp_ieee_inexact 0
		.amdhsa_exception_int_div_zero 0
	.end_amdhsa_kernel
	.section	.text._ZN7rocprim17ROCPRIM_400000_NS6detail17trampoline_kernelINS0_14default_configENS1_38merge_sort_block_merge_config_selectorIjN6thrust23THRUST_200600_302600_NS5tupleIffNS6_9null_typeES8_S8_S8_S8_S8_S8_S8_EEEEZZNS1_27merge_sort_block_merge_implIS3_NS6_6detail15normal_iteratorINS6_10device_ptrIjEEEENSD_INSE_IS9_EEEEjNS1_19radix_merge_compareILb0ELb1EjNS0_19identity_decomposerEEEEE10hipError_tT0_T1_T2_jT3_P12ihipStream_tbPNSt15iterator_traitsISN_E10value_typeEPNST_ISO_E10value_typeEPSP_NS1_7vsmem_tEENKUlT_SN_SO_SP_E_clISG_PjSI_PS9_EESM_S12_SN_SO_SP_EUlS12_E_NS1_11comp_targetILNS1_3genE10ELNS1_11target_archE1201ELNS1_3gpuE5ELNS1_3repE0EEENS1_48merge_mergepath_partition_config_static_selectorELNS0_4arch9wavefront6targetE0EEEvSO_,"axG",@progbits,_ZN7rocprim17ROCPRIM_400000_NS6detail17trampoline_kernelINS0_14default_configENS1_38merge_sort_block_merge_config_selectorIjN6thrust23THRUST_200600_302600_NS5tupleIffNS6_9null_typeES8_S8_S8_S8_S8_S8_S8_EEEEZZNS1_27merge_sort_block_merge_implIS3_NS6_6detail15normal_iteratorINS6_10device_ptrIjEEEENSD_INSE_IS9_EEEEjNS1_19radix_merge_compareILb0ELb1EjNS0_19identity_decomposerEEEEE10hipError_tT0_T1_T2_jT3_P12ihipStream_tbPNSt15iterator_traitsISN_E10value_typeEPNST_ISO_E10value_typeEPSP_NS1_7vsmem_tEENKUlT_SN_SO_SP_E_clISG_PjSI_PS9_EESM_S12_SN_SO_SP_EUlS12_E_NS1_11comp_targetILNS1_3genE10ELNS1_11target_archE1201ELNS1_3gpuE5ELNS1_3repE0EEENS1_48merge_mergepath_partition_config_static_selectorELNS0_4arch9wavefront6targetE0EEEvSO_,comdat
.Lfunc_end116:
	.size	_ZN7rocprim17ROCPRIM_400000_NS6detail17trampoline_kernelINS0_14default_configENS1_38merge_sort_block_merge_config_selectorIjN6thrust23THRUST_200600_302600_NS5tupleIffNS6_9null_typeES8_S8_S8_S8_S8_S8_S8_EEEEZZNS1_27merge_sort_block_merge_implIS3_NS6_6detail15normal_iteratorINS6_10device_ptrIjEEEENSD_INSE_IS9_EEEEjNS1_19radix_merge_compareILb0ELb1EjNS0_19identity_decomposerEEEEE10hipError_tT0_T1_T2_jT3_P12ihipStream_tbPNSt15iterator_traitsISN_E10value_typeEPNST_ISO_E10value_typeEPSP_NS1_7vsmem_tEENKUlT_SN_SO_SP_E_clISG_PjSI_PS9_EESM_S12_SN_SO_SP_EUlS12_E_NS1_11comp_targetILNS1_3genE10ELNS1_11target_archE1201ELNS1_3gpuE5ELNS1_3repE0EEENS1_48merge_mergepath_partition_config_static_selectorELNS0_4arch9wavefront6targetE0EEEvSO_, .Lfunc_end116-_ZN7rocprim17ROCPRIM_400000_NS6detail17trampoline_kernelINS0_14default_configENS1_38merge_sort_block_merge_config_selectorIjN6thrust23THRUST_200600_302600_NS5tupleIffNS6_9null_typeES8_S8_S8_S8_S8_S8_S8_EEEEZZNS1_27merge_sort_block_merge_implIS3_NS6_6detail15normal_iteratorINS6_10device_ptrIjEEEENSD_INSE_IS9_EEEEjNS1_19radix_merge_compareILb0ELb1EjNS0_19identity_decomposerEEEEE10hipError_tT0_T1_T2_jT3_P12ihipStream_tbPNSt15iterator_traitsISN_E10value_typeEPNST_ISO_E10value_typeEPSP_NS1_7vsmem_tEENKUlT_SN_SO_SP_E_clISG_PjSI_PS9_EESM_S12_SN_SO_SP_EUlS12_E_NS1_11comp_targetILNS1_3genE10ELNS1_11target_archE1201ELNS1_3gpuE5ELNS1_3repE0EEENS1_48merge_mergepath_partition_config_static_selectorELNS0_4arch9wavefront6targetE0EEEvSO_
                                        ; -- End function
	.set _ZN7rocprim17ROCPRIM_400000_NS6detail17trampoline_kernelINS0_14default_configENS1_38merge_sort_block_merge_config_selectorIjN6thrust23THRUST_200600_302600_NS5tupleIffNS6_9null_typeES8_S8_S8_S8_S8_S8_S8_EEEEZZNS1_27merge_sort_block_merge_implIS3_NS6_6detail15normal_iteratorINS6_10device_ptrIjEEEENSD_INSE_IS9_EEEEjNS1_19radix_merge_compareILb0ELb1EjNS0_19identity_decomposerEEEEE10hipError_tT0_T1_T2_jT3_P12ihipStream_tbPNSt15iterator_traitsISN_E10value_typeEPNST_ISO_E10value_typeEPSP_NS1_7vsmem_tEENKUlT_SN_SO_SP_E_clISG_PjSI_PS9_EESM_S12_SN_SO_SP_EUlS12_E_NS1_11comp_targetILNS1_3genE10ELNS1_11target_archE1201ELNS1_3gpuE5ELNS1_3repE0EEENS1_48merge_mergepath_partition_config_static_selectorELNS0_4arch9wavefront6targetE0EEEvSO_.num_vgpr, 15
	.set _ZN7rocprim17ROCPRIM_400000_NS6detail17trampoline_kernelINS0_14default_configENS1_38merge_sort_block_merge_config_selectorIjN6thrust23THRUST_200600_302600_NS5tupleIffNS6_9null_typeES8_S8_S8_S8_S8_S8_S8_EEEEZZNS1_27merge_sort_block_merge_implIS3_NS6_6detail15normal_iteratorINS6_10device_ptrIjEEEENSD_INSE_IS9_EEEEjNS1_19radix_merge_compareILb0ELb1EjNS0_19identity_decomposerEEEEE10hipError_tT0_T1_T2_jT3_P12ihipStream_tbPNSt15iterator_traitsISN_E10value_typeEPNST_ISO_E10value_typeEPSP_NS1_7vsmem_tEENKUlT_SN_SO_SP_E_clISG_PjSI_PS9_EESM_S12_SN_SO_SP_EUlS12_E_NS1_11comp_targetILNS1_3genE10ELNS1_11target_archE1201ELNS1_3gpuE5ELNS1_3repE0EEENS1_48merge_mergepath_partition_config_static_selectorELNS0_4arch9wavefront6targetE0EEEvSO_.num_agpr, 0
	.set _ZN7rocprim17ROCPRIM_400000_NS6detail17trampoline_kernelINS0_14default_configENS1_38merge_sort_block_merge_config_selectorIjN6thrust23THRUST_200600_302600_NS5tupleIffNS6_9null_typeES8_S8_S8_S8_S8_S8_S8_EEEEZZNS1_27merge_sort_block_merge_implIS3_NS6_6detail15normal_iteratorINS6_10device_ptrIjEEEENSD_INSE_IS9_EEEEjNS1_19radix_merge_compareILb0ELb1EjNS0_19identity_decomposerEEEEE10hipError_tT0_T1_T2_jT3_P12ihipStream_tbPNSt15iterator_traitsISN_E10value_typeEPNST_ISO_E10value_typeEPSP_NS1_7vsmem_tEENKUlT_SN_SO_SP_E_clISG_PjSI_PS9_EESM_S12_SN_SO_SP_EUlS12_E_NS1_11comp_targetILNS1_3genE10ELNS1_11target_archE1201ELNS1_3gpuE5ELNS1_3repE0EEENS1_48merge_mergepath_partition_config_static_selectorELNS0_4arch9wavefront6targetE0EEEvSO_.numbered_sgpr, 7
	.set _ZN7rocprim17ROCPRIM_400000_NS6detail17trampoline_kernelINS0_14default_configENS1_38merge_sort_block_merge_config_selectorIjN6thrust23THRUST_200600_302600_NS5tupleIffNS6_9null_typeES8_S8_S8_S8_S8_S8_S8_EEEEZZNS1_27merge_sort_block_merge_implIS3_NS6_6detail15normal_iteratorINS6_10device_ptrIjEEEENSD_INSE_IS9_EEEEjNS1_19radix_merge_compareILb0ELb1EjNS0_19identity_decomposerEEEEE10hipError_tT0_T1_T2_jT3_P12ihipStream_tbPNSt15iterator_traitsISN_E10value_typeEPNST_ISO_E10value_typeEPSP_NS1_7vsmem_tEENKUlT_SN_SO_SP_E_clISG_PjSI_PS9_EESM_S12_SN_SO_SP_EUlS12_E_NS1_11comp_targetILNS1_3genE10ELNS1_11target_archE1201ELNS1_3gpuE5ELNS1_3repE0EEENS1_48merge_mergepath_partition_config_static_selectorELNS0_4arch9wavefront6targetE0EEEvSO_.num_named_barrier, 0
	.set _ZN7rocprim17ROCPRIM_400000_NS6detail17trampoline_kernelINS0_14default_configENS1_38merge_sort_block_merge_config_selectorIjN6thrust23THRUST_200600_302600_NS5tupleIffNS6_9null_typeES8_S8_S8_S8_S8_S8_S8_EEEEZZNS1_27merge_sort_block_merge_implIS3_NS6_6detail15normal_iteratorINS6_10device_ptrIjEEEENSD_INSE_IS9_EEEEjNS1_19radix_merge_compareILb0ELb1EjNS0_19identity_decomposerEEEEE10hipError_tT0_T1_T2_jT3_P12ihipStream_tbPNSt15iterator_traitsISN_E10value_typeEPNST_ISO_E10value_typeEPSP_NS1_7vsmem_tEENKUlT_SN_SO_SP_E_clISG_PjSI_PS9_EESM_S12_SN_SO_SP_EUlS12_E_NS1_11comp_targetILNS1_3genE10ELNS1_11target_archE1201ELNS1_3gpuE5ELNS1_3repE0EEENS1_48merge_mergepath_partition_config_static_selectorELNS0_4arch9wavefront6targetE0EEEvSO_.private_seg_size, 0
	.set _ZN7rocprim17ROCPRIM_400000_NS6detail17trampoline_kernelINS0_14default_configENS1_38merge_sort_block_merge_config_selectorIjN6thrust23THRUST_200600_302600_NS5tupleIffNS6_9null_typeES8_S8_S8_S8_S8_S8_S8_EEEEZZNS1_27merge_sort_block_merge_implIS3_NS6_6detail15normal_iteratorINS6_10device_ptrIjEEEENSD_INSE_IS9_EEEEjNS1_19radix_merge_compareILb0ELb1EjNS0_19identity_decomposerEEEEE10hipError_tT0_T1_T2_jT3_P12ihipStream_tbPNSt15iterator_traitsISN_E10value_typeEPNST_ISO_E10value_typeEPSP_NS1_7vsmem_tEENKUlT_SN_SO_SP_E_clISG_PjSI_PS9_EESM_S12_SN_SO_SP_EUlS12_E_NS1_11comp_targetILNS1_3genE10ELNS1_11target_archE1201ELNS1_3gpuE5ELNS1_3repE0EEENS1_48merge_mergepath_partition_config_static_selectorELNS0_4arch9wavefront6targetE0EEEvSO_.uses_vcc, 1
	.set _ZN7rocprim17ROCPRIM_400000_NS6detail17trampoline_kernelINS0_14default_configENS1_38merge_sort_block_merge_config_selectorIjN6thrust23THRUST_200600_302600_NS5tupleIffNS6_9null_typeES8_S8_S8_S8_S8_S8_S8_EEEEZZNS1_27merge_sort_block_merge_implIS3_NS6_6detail15normal_iteratorINS6_10device_ptrIjEEEENSD_INSE_IS9_EEEEjNS1_19radix_merge_compareILb0ELb1EjNS0_19identity_decomposerEEEEE10hipError_tT0_T1_T2_jT3_P12ihipStream_tbPNSt15iterator_traitsISN_E10value_typeEPNST_ISO_E10value_typeEPSP_NS1_7vsmem_tEENKUlT_SN_SO_SP_E_clISG_PjSI_PS9_EESM_S12_SN_SO_SP_EUlS12_E_NS1_11comp_targetILNS1_3genE10ELNS1_11target_archE1201ELNS1_3gpuE5ELNS1_3repE0EEENS1_48merge_mergepath_partition_config_static_selectorELNS0_4arch9wavefront6targetE0EEEvSO_.uses_flat_scratch, 1
	.set _ZN7rocprim17ROCPRIM_400000_NS6detail17trampoline_kernelINS0_14default_configENS1_38merge_sort_block_merge_config_selectorIjN6thrust23THRUST_200600_302600_NS5tupleIffNS6_9null_typeES8_S8_S8_S8_S8_S8_S8_EEEEZZNS1_27merge_sort_block_merge_implIS3_NS6_6detail15normal_iteratorINS6_10device_ptrIjEEEENSD_INSE_IS9_EEEEjNS1_19radix_merge_compareILb0ELb1EjNS0_19identity_decomposerEEEEE10hipError_tT0_T1_T2_jT3_P12ihipStream_tbPNSt15iterator_traitsISN_E10value_typeEPNST_ISO_E10value_typeEPSP_NS1_7vsmem_tEENKUlT_SN_SO_SP_E_clISG_PjSI_PS9_EESM_S12_SN_SO_SP_EUlS12_E_NS1_11comp_targetILNS1_3genE10ELNS1_11target_archE1201ELNS1_3gpuE5ELNS1_3repE0EEENS1_48merge_mergepath_partition_config_static_selectorELNS0_4arch9wavefront6targetE0EEEvSO_.has_dyn_sized_stack, 0
	.set _ZN7rocprim17ROCPRIM_400000_NS6detail17trampoline_kernelINS0_14default_configENS1_38merge_sort_block_merge_config_selectorIjN6thrust23THRUST_200600_302600_NS5tupleIffNS6_9null_typeES8_S8_S8_S8_S8_S8_S8_EEEEZZNS1_27merge_sort_block_merge_implIS3_NS6_6detail15normal_iteratorINS6_10device_ptrIjEEEENSD_INSE_IS9_EEEEjNS1_19radix_merge_compareILb0ELb1EjNS0_19identity_decomposerEEEEE10hipError_tT0_T1_T2_jT3_P12ihipStream_tbPNSt15iterator_traitsISN_E10value_typeEPNST_ISO_E10value_typeEPSP_NS1_7vsmem_tEENKUlT_SN_SO_SP_E_clISG_PjSI_PS9_EESM_S12_SN_SO_SP_EUlS12_E_NS1_11comp_targetILNS1_3genE10ELNS1_11target_archE1201ELNS1_3gpuE5ELNS1_3repE0EEENS1_48merge_mergepath_partition_config_static_selectorELNS0_4arch9wavefront6targetE0EEEvSO_.has_recursion, 0
	.set _ZN7rocprim17ROCPRIM_400000_NS6detail17trampoline_kernelINS0_14default_configENS1_38merge_sort_block_merge_config_selectorIjN6thrust23THRUST_200600_302600_NS5tupleIffNS6_9null_typeES8_S8_S8_S8_S8_S8_S8_EEEEZZNS1_27merge_sort_block_merge_implIS3_NS6_6detail15normal_iteratorINS6_10device_ptrIjEEEENSD_INSE_IS9_EEEEjNS1_19radix_merge_compareILb0ELb1EjNS0_19identity_decomposerEEEEE10hipError_tT0_T1_T2_jT3_P12ihipStream_tbPNSt15iterator_traitsISN_E10value_typeEPNST_ISO_E10value_typeEPSP_NS1_7vsmem_tEENKUlT_SN_SO_SP_E_clISG_PjSI_PS9_EESM_S12_SN_SO_SP_EUlS12_E_NS1_11comp_targetILNS1_3genE10ELNS1_11target_archE1201ELNS1_3gpuE5ELNS1_3repE0EEENS1_48merge_mergepath_partition_config_static_selectorELNS0_4arch9wavefront6targetE0EEEvSO_.has_indirect_call, 0
	.section	.AMDGPU.csdata,"",@progbits
; Kernel info:
; codeLenInByte = 500
; TotalNumSgprs: 9
; NumVgprs: 15
; ScratchSize: 0
; MemoryBound: 0
; FloatMode: 240
; IeeeMode: 1
; LDSByteSize: 0 bytes/workgroup (compile time only)
; SGPRBlocks: 0
; VGPRBlocks: 1
; NumSGPRsForWavesPerEU: 9
; NumVGPRsForWavesPerEU: 15
; Occupancy: 16
; WaveLimiterHint : 0
; COMPUTE_PGM_RSRC2:SCRATCH_EN: 0
; COMPUTE_PGM_RSRC2:USER_SGPR: 2
; COMPUTE_PGM_RSRC2:TRAP_HANDLER: 0
; COMPUTE_PGM_RSRC2:TGID_X_EN: 1
; COMPUTE_PGM_RSRC2:TGID_Y_EN: 0
; COMPUTE_PGM_RSRC2:TGID_Z_EN: 0
; COMPUTE_PGM_RSRC2:TIDIG_COMP_CNT: 0
	.section	.text._ZN7rocprim17ROCPRIM_400000_NS6detail17trampoline_kernelINS0_14default_configENS1_38merge_sort_block_merge_config_selectorIjN6thrust23THRUST_200600_302600_NS5tupleIffNS6_9null_typeES8_S8_S8_S8_S8_S8_S8_EEEEZZNS1_27merge_sort_block_merge_implIS3_NS6_6detail15normal_iteratorINS6_10device_ptrIjEEEENSD_INSE_IS9_EEEEjNS1_19radix_merge_compareILb0ELb1EjNS0_19identity_decomposerEEEEE10hipError_tT0_T1_T2_jT3_P12ihipStream_tbPNSt15iterator_traitsISN_E10value_typeEPNST_ISO_E10value_typeEPSP_NS1_7vsmem_tEENKUlT_SN_SO_SP_E_clISG_PjSI_PS9_EESM_S12_SN_SO_SP_EUlS12_E_NS1_11comp_targetILNS1_3genE5ELNS1_11target_archE942ELNS1_3gpuE9ELNS1_3repE0EEENS1_48merge_mergepath_partition_config_static_selectorELNS0_4arch9wavefront6targetE0EEEvSO_,"axG",@progbits,_ZN7rocprim17ROCPRIM_400000_NS6detail17trampoline_kernelINS0_14default_configENS1_38merge_sort_block_merge_config_selectorIjN6thrust23THRUST_200600_302600_NS5tupleIffNS6_9null_typeES8_S8_S8_S8_S8_S8_S8_EEEEZZNS1_27merge_sort_block_merge_implIS3_NS6_6detail15normal_iteratorINS6_10device_ptrIjEEEENSD_INSE_IS9_EEEEjNS1_19radix_merge_compareILb0ELb1EjNS0_19identity_decomposerEEEEE10hipError_tT0_T1_T2_jT3_P12ihipStream_tbPNSt15iterator_traitsISN_E10value_typeEPNST_ISO_E10value_typeEPSP_NS1_7vsmem_tEENKUlT_SN_SO_SP_E_clISG_PjSI_PS9_EESM_S12_SN_SO_SP_EUlS12_E_NS1_11comp_targetILNS1_3genE5ELNS1_11target_archE942ELNS1_3gpuE9ELNS1_3repE0EEENS1_48merge_mergepath_partition_config_static_selectorELNS0_4arch9wavefront6targetE0EEEvSO_,comdat
	.protected	_ZN7rocprim17ROCPRIM_400000_NS6detail17trampoline_kernelINS0_14default_configENS1_38merge_sort_block_merge_config_selectorIjN6thrust23THRUST_200600_302600_NS5tupleIffNS6_9null_typeES8_S8_S8_S8_S8_S8_S8_EEEEZZNS1_27merge_sort_block_merge_implIS3_NS6_6detail15normal_iteratorINS6_10device_ptrIjEEEENSD_INSE_IS9_EEEEjNS1_19radix_merge_compareILb0ELb1EjNS0_19identity_decomposerEEEEE10hipError_tT0_T1_T2_jT3_P12ihipStream_tbPNSt15iterator_traitsISN_E10value_typeEPNST_ISO_E10value_typeEPSP_NS1_7vsmem_tEENKUlT_SN_SO_SP_E_clISG_PjSI_PS9_EESM_S12_SN_SO_SP_EUlS12_E_NS1_11comp_targetILNS1_3genE5ELNS1_11target_archE942ELNS1_3gpuE9ELNS1_3repE0EEENS1_48merge_mergepath_partition_config_static_selectorELNS0_4arch9wavefront6targetE0EEEvSO_ ; -- Begin function _ZN7rocprim17ROCPRIM_400000_NS6detail17trampoline_kernelINS0_14default_configENS1_38merge_sort_block_merge_config_selectorIjN6thrust23THRUST_200600_302600_NS5tupleIffNS6_9null_typeES8_S8_S8_S8_S8_S8_S8_EEEEZZNS1_27merge_sort_block_merge_implIS3_NS6_6detail15normal_iteratorINS6_10device_ptrIjEEEENSD_INSE_IS9_EEEEjNS1_19radix_merge_compareILb0ELb1EjNS0_19identity_decomposerEEEEE10hipError_tT0_T1_T2_jT3_P12ihipStream_tbPNSt15iterator_traitsISN_E10value_typeEPNST_ISO_E10value_typeEPSP_NS1_7vsmem_tEENKUlT_SN_SO_SP_E_clISG_PjSI_PS9_EESM_S12_SN_SO_SP_EUlS12_E_NS1_11comp_targetILNS1_3genE5ELNS1_11target_archE942ELNS1_3gpuE9ELNS1_3repE0EEENS1_48merge_mergepath_partition_config_static_selectorELNS0_4arch9wavefront6targetE0EEEvSO_
	.globl	_ZN7rocprim17ROCPRIM_400000_NS6detail17trampoline_kernelINS0_14default_configENS1_38merge_sort_block_merge_config_selectorIjN6thrust23THRUST_200600_302600_NS5tupleIffNS6_9null_typeES8_S8_S8_S8_S8_S8_S8_EEEEZZNS1_27merge_sort_block_merge_implIS3_NS6_6detail15normal_iteratorINS6_10device_ptrIjEEEENSD_INSE_IS9_EEEEjNS1_19radix_merge_compareILb0ELb1EjNS0_19identity_decomposerEEEEE10hipError_tT0_T1_T2_jT3_P12ihipStream_tbPNSt15iterator_traitsISN_E10value_typeEPNST_ISO_E10value_typeEPSP_NS1_7vsmem_tEENKUlT_SN_SO_SP_E_clISG_PjSI_PS9_EESM_S12_SN_SO_SP_EUlS12_E_NS1_11comp_targetILNS1_3genE5ELNS1_11target_archE942ELNS1_3gpuE9ELNS1_3repE0EEENS1_48merge_mergepath_partition_config_static_selectorELNS0_4arch9wavefront6targetE0EEEvSO_
	.p2align	8
	.type	_ZN7rocprim17ROCPRIM_400000_NS6detail17trampoline_kernelINS0_14default_configENS1_38merge_sort_block_merge_config_selectorIjN6thrust23THRUST_200600_302600_NS5tupleIffNS6_9null_typeES8_S8_S8_S8_S8_S8_S8_EEEEZZNS1_27merge_sort_block_merge_implIS3_NS6_6detail15normal_iteratorINS6_10device_ptrIjEEEENSD_INSE_IS9_EEEEjNS1_19radix_merge_compareILb0ELb1EjNS0_19identity_decomposerEEEEE10hipError_tT0_T1_T2_jT3_P12ihipStream_tbPNSt15iterator_traitsISN_E10value_typeEPNST_ISO_E10value_typeEPSP_NS1_7vsmem_tEENKUlT_SN_SO_SP_E_clISG_PjSI_PS9_EESM_S12_SN_SO_SP_EUlS12_E_NS1_11comp_targetILNS1_3genE5ELNS1_11target_archE942ELNS1_3gpuE9ELNS1_3repE0EEENS1_48merge_mergepath_partition_config_static_selectorELNS0_4arch9wavefront6targetE0EEEvSO_,@function
_ZN7rocprim17ROCPRIM_400000_NS6detail17trampoline_kernelINS0_14default_configENS1_38merge_sort_block_merge_config_selectorIjN6thrust23THRUST_200600_302600_NS5tupleIffNS6_9null_typeES8_S8_S8_S8_S8_S8_S8_EEEEZZNS1_27merge_sort_block_merge_implIS3_NS6_6detail15normal_iteratorINS6_10device_ptrIjEEEENSD_INSE_IS9_EEEEjNS1_19radix_merge_compareILb0ELb1EjNS0_19identity_decomposerEEEEE10hipError_tT0_T1_T2_jT3_P12ihipStream_tbPNSt15iterator_traitsISN_E10value_typeEPNST_ISO_E10value_typeEPSP_NS1_7vsmem_tEENKUlT_SN_SO_SP_E_clISG_PjSI_PS9_EESM_S12_SN_SO_SP_EUlS12_E_NS1_11comp_targetILNS1_3genE5ELNS1_11target_archE942ELNS1_3gpuE9ELNS1_3repE0EEENS1_48merge_mergepath_partition_config_static_selectorELNS0_4arch9wavefront6targetE0EEEvSO_: ; @_ZN7rocprim17ROCPRIM_400000_NS6detail17trampoline_kernelINS0_14default_configENS1_38merge_sort_block_merge_config_selectorIjN6thrust23THRUST_200600_302600_NS5tupleIffNS6_9null_typeES8_S8_S8_S8_S8_S8_S8_EEEEZZNS1_27merge_sort_block_merge_implIS3_NS6_6detail15normal_iteratorINS6_10device_ptrIjEEEENSD_INSE_IS9_EEEEjNS1_19radix_merge_compareILb0ELb1EjNS0_19identity_decomposerEEEEE10hipError_tT0_T1_T2_jT3_P12ihipStream_tbPNSt15iterator_traitsISN_E10value_typeEPNST_ISO_E10value_typeEPSP_NS1_7vsmem_tEENKUlT_SN_SO_SP_E_clISG_PjSI_PS9_EESM_S12_SN_SO_SP_EUlS12_E_NS1_11comp_targetILNS1_3genE5ELNS1_11target_archE942ELNS1_3gpuE9ELNS1_3repE0EEENS1_48merge_mergepath_partition_config_static_selectorELNS0_4arch9wavefront6targetE0EEEvSO_
; %bb.0:
	.section	.rodata,"a",@progbits
	.p2align	6, 0x0
	.amdhsa_kernel _ZN7rocprim17ROCPRIM_400000_NS6detail17trampoline_kernelINS0_14default_configENS1_38merge_sort_block_merge_config_selectorIjN6thrust23THRUST_200600_302600_NS5tupleIffNS6_9null_typeES8_S8_S8_S8_S8_S8_S8_EEEEZZNS1_27merge_sort_block_merge_implIS3_NS6_6detail15normal_iteratorINS6_10device_ptrIjEEEENSD_INSE_IS9_EEEEjNS1_19radix_merge_compareILb0ELb1EjNS0_19identity_decomposerEEEEE10hipError_tT0_T1_T2_jT3_P12ihipStream_tbPNSt15iterator_traitsISN_E10value_typeEPNST_ISO_E10value_typeEPSP_NS1_7vsmem_tEENKUlT_SN_SO_SP_E_clISG_PjSI_PS9_EESM_S12_SN_SO_SP_EUlS12_E_NS1_11comp_targetILNS1_3genE5ELNS1_11target_archE942ELNS1_3gpuE9ELNS1_3repE0EEENS1_48merge_mergepath_partition_config_static_selectorELNS0_4arch9wavefront6targetE0EEEvSO_
		.amdhsa_group_segment_fixed_size 0
		.amdhsa_private_segment_fixed_size 0
		.amdhsa_kernarg_size 40
		.amdhsa_user_sgpr_count 2
		.amdhsa_user_sgpr_dispatch_ptr 0
		.amdhsa_user_sgpr_queue_ptr 0
		.amdhsa_user_sgpr_kernarg_segment_ptr 1
		.amdhsa_user_sgpr_dispatch_id 0
		.amdhsa_user_sgpr_private_segment_size 0
		.amdhsa_wavefront_size32 1
		.amdhsa_uses_dynamic_stack 0
		.amdhsa_enable_private_segment 0
		.amdhsa_system_sgpr_workgroup_id_x 1
		.amdhsa_system_sgpr_workgroup_id_y 0
		.amdhsa_system_sgpr_workgroup_id_z 0
		.amdhsa_system_sgpr_workgroup_info 0
		.amdhsa_system_vgpr_workitem_id 0
		.amdhsa_next_free_vgpr 1
		.amdhsa_next_free_sgpr 1
		.amdhsa_reserve_vcc 0
		.amdhsa_float_round_mode_32 0
		.amdhsa_float_round_mode_16_64 0
		.amdhsa_float_denorm_mode_32 3
		.amdhsa_float_denorm_mode_16_64 3
		.amdhsa_fp16_overflow 0
		.amdhsa_workgroup_processor_mode 1
		.amdhsa_memory_ordered 1
		.amdhsa_forward_progress 1
		.amdhsa_inst_pref_size 0
		.amdhsa_round_robin_scheduling 0
		.amdhsa_exception_fp_ieee_invalid_op 0
		.amdhsa_exception_fp_denorm_src 0
		.amdhsa_exception_fp_ieee_div_zero 0
		.amdhsa_exception_fp_ieee_overflow 0
		.amdhsa_exception_fp_ieee_underflow 0
		.amdhsa_exception_fp_ieee_inexact 0
		.amdhsa_exception_int_div_zero 0
	.end_amdhsa_kernel
	.section	.text._ZN7rocprim17ROCPRIM_400000_NS6detail17trampoline_kernelINS0_14default_configENS1_38merge_sort_block_merge_config_selectorIjN6thrust23THRUST_200600_302600_NS5tupleIffNS6_9null_typeES8_S8_S8_S8_S8_S8_S8_EEEEZZNS1_27merge_sort_block_merge_implIS3_NS6_6detail15normal_iteratorINS6_10device_ptrIjEEEENSD_INSE_IS9_EEEEjNS1_19radix_merge_compareILb0ELb1EjNS0_19identity_decomposerEEEEE10hipError_tT0_T1_T2_jT3_P12ihipStream_tbPNSt15iterator_traitsISN_E10value_typeEPNST_ISO_E10value_typeEPSP_NS1_7vsmem_tEENKUlT_SN_SO_SP_E_clISG_PjSI_PS9_EESM_S12_SN_SO_SP_EUlS12_E_NS1_11comp_targetILNS1_3genE5ELNS1_11target_archE942ELNS1_3gpuE9ELNS1_3repE0EEENS1_48merge_mergepath_partition_config_static_selectorELNS0_4arch9wavefront6targetE0EEEvSO_,"axG",@progbits,_ZN7rocprim17ROCPRIM_400000_NS6detail17trampoline_kernelINS0_14default_configENS1_38merge_sort_block_merge_config_selectorIjN6thrust23THRUST_200600_302600_NS5tupleIffNS6_9null_typeES8_S8_S8_S8_S8_S8_S8_EEEEZZNS1_27merge_sort_block_merge_implIS3_NS6_6detail15normal_iteratorINS6_10device_ptrIjEEEENSD_INSE_IS9_EEEEjNS1_19radix_merge_compareILb0ELb1EjNS0_19identity_decomposerEEEEE10hipError_tT0_T1_T2_jT3_P12ihipStream_tbPNSt15iterator_traitsISN_E10value_typeEPNST_ISO_E10value_typeEPSP_NS1_7vsmem_tEENKUlT_SN_SO_SP_E_clISG_PjSI_PS9_EESM_S12_SN_SO_SP_EUlS12_E_NS1_11comp_targetILNS1_3genE5ELNS1_11target_archE942ELNS1_3gpuE9ELNS1_3repE0EEENS1_48merge_mergepath_partition_config_static_selectorELNS0_4arch9wavefront6targetE0EEEvSO_,comdat
.Lfunc_end117:
	.size	_ZN7rocprim17ROCPRIM_400000_NS6detail17trampoline_kernelINS0_14default_configENS1_38merge_sort_block_merge_config_selectorIjN6thrust23THRUST_200600_302600_NS5tupleIffNS6_9null_typeES8_S8_S8_S8_S8_S8_S8_EEEEZZNS1_27merge_sort_block_merge_implIS3_NS6_6detail15normal_iteratorINS6_10device_ptrIjEEEENSD_INSE_IS9_EEEEjNS1_19radix_merge_compareILb0ELb1EjNS0_19identity_decomposerEEEEE10hipError_tT0_T1_T2_jT3_P12ihipStream_tbPNSt15iterator_traitsISN_E10value_typeEPNST_ISO_E10value_typeEPSP_NS1_7vsmem_tEENKUlT_SN_SO_SP_E_clISG_PjSI_PS9_EESM_S12_SN_SO_SP_EUlS12_E_NS1_11comp_targetILNS1_3genE5ELNS1_11target_archE942ELNS1_3gpuE9ELNS1_3repE0EEENS1_48merge_mergepath_partition_config_static_selectorELNS0_4arch9wavefront6targetE0EEEvSO_, .Lfunc_end117-_ZN7rocprim17ROCPRIM_400000_NS6detail17trampoline_kernelINS0_14default_configENS1_38merge_sort_block_merge_config_selectorIjN6thrust23THRUST_200600_302600_NS5tupleIffNS6_9null_typeES8_S8_S8_S8_S8_S8_S8_EEEEZZNS1_27merge_sort_block_merge_implIS3_NS6_6detail15normal_iteratorINS6_10device_ptrIjEEEENSD_INSE_IS9_EEEEjNS1_19radix_merge_compareILb0ELb1EjNS0_19identity_decomposerEEEEE10hipError_tT0_T1_T2_jT3_P12ihipStream_tbPNSt15iterator_traitsISN_E10value_typeEPNST_ISO_E10value_typeEPSP_NS1_7vsmem_tEENKUlT_SN_SO_SP_E_clISG_PjSI_PS9_EESM_S12_SN_SO_SP_EUlS12_E_NS1_11comp_targetILNS1_3genE5ELNS1_11target_archE942ELNS1_3gpuE9ELNS1_3repE0EEENS1_48merge_mergepath_partition_config_static_selectorELNS0_4arch9wavefront6targetE0EEEvSO_
                                        ; -- End function
	.set _ZN7rocprim17ROCPRIM_400000_NS6detail17trampoline_kernelINS0_14default_configENS1_38merge_sort_block_merge_config_selectorIjN6thrust23THRUST_200600_302600_NS5tupleIffNS6_9null_typeES8_S8_S8_S8_S8_S8_S8_EEEEZZNS1_27merge_sort_block_merge_implIS3_NS6_6detail15normal_iteratorINS6_10device_ptrIjEEEENSD_INSE_IS9_EEEEjNS1_19radix_merge_compareILb0ELb1EjNS0_19identity_decomposerEEEEE10hipError_tT0_T1_T2_jT3_P12ihipStream_tbPNSt15iterator_traitsISN_E10value_typeEPNST_ISO_E10value_typeEPSP_NS1_7vsmem_tEENKUlT_SN_SO_SP_E_clISG_PjSI_PS9_EESM_S12_SN_SO_SP_EUlS12_E_NS1_11comp_targetILNS1_3genE5ELNS1_11target_archE942ELNS1_3gpuE9ELNS1_3repE0EEENS1_48merge_mergepath_partition_config_static_selectorELNS0_4arch9wavefront6targetE0EEEvSO_.num_vgpr, 0
	.set _ZN7rocprim17ROCPRIM_400000_NS6detail17trampoline_kernelINS0_14default_configENS1_38merge_sort_block_merge_config_selectorIjN6thrust23THRUST_200600_302600_NS5tupleIffNS6_9null_typeES8_S8_S8_S8_S8_S8_S8_EEEEZZNS1_27merge_sort_block_merge_implIS3_NS6_6detail15normal_iteratorINS6_10device_ptrIjEEEENSD_INSE_IS9_EEEEjNS1_19radix_merge_compareILb0ELb1EjNS0_19identity_decomposerEEEEE10hipError_tT0_T1_T2_jT3_P12ihipStream_tbPNSt15iterator_traitsISN_E10value_typeEPNST_ISO_E10value_typeEPSP_NS1_7vsmem_tEENKUlT_SN_SO_SP_E_clISG_PjSI_PS9_EESM_S12_SN_SO_SP_EUlS12_E_NS1_11comp_targetILNS1_3genE5ELNS1_11target_archE942ELNS1_3gpuE9ELNS1_3repE0EEENS1_48merge_mergepath_partition_config_static_selectorELNS0_4arch9wavefront6targetE0EEEvSO_.num_agpr, 0
	.set _ZN7rocprim17ROCPRIM_400000_NS6detail17trampoline_kernelINS0_14default_configENS1_38merge_sort_block_merge_config_selectorIjN6thrust23THRUST_200600_302600_NS5tupleIffNS6_9null_typeES8_S8_S8_S8_S8_S8_S8_EEEEZZNS1_27merge_sort_block_merge_implIS3_NS6_6detail15normal_iteratorINS6_10device_ptrIjEEEENSD_INSE_IS9_EEEEjNS1_19radix_merge_compareILb0ELb1EjNS0_19identity_decomposerEEEEE10hipError_tT0_T1_T2_jT3_P12ihipStream_tbPNSt15iterator_traitsISN_E10value_typeEPNST_ISO_E10value_typeEPSP_NS1_7vsmem_tEENKUlT_SN_SO_SP_E_clISG_PjSI_PS9_EESM_S12_SN_SO_SP_EUlS12_E_NS1_11comp_targetILNS1_3genE5ELNS1_11target_archE942ELNS1_3gpuE9ELNS1_3repE0EEENS1_48merge_mergepath_partition_config_static_selectorELNS0_4arch9wavefront6targetE0EEEvSO_.numbered_sgpr, 0
	.set _ZN7rocprim17ROCPRIM_400000_NS6detail17trampoline_kernelINS0_14default_configENS1_38merge_sort_block_merge_config_selectorIjN6thrust23THRUST_200600_302600_NS5tupleIffNS6_9null_typeES8_S8_S8_S8_S8_S8_S8_EEEEZZNS1_27merge_sort_block_merge_implIS3_NS6_6detail15normal_iteratorINS6_10device_ptrIjEEEENSD_INSE_IS9_EEEEjNS1_19radix_merge_compareILb0ELb1EjNS0_19identity_decomposerEEEEE10hipError_tT0_T1_T2_jT3_P12ihipStream_tbPNSt15iterator_traitsISN_E10value_typeEPNST_ISO_E10value_typeEPSP_NS1_7vsmem_tEENKUlT_SN_SO_SP_E_clISG_PjSI_PS9_EESM_S12_SN_SO_SP_EUlS12_E_NS1_11comp_targetILNS1_3genE5ELNS1_11target_archE942ELNS1_3gpuE9ELNS1_3repE0EEENS1_48merge_mergepath_partition_config_static_selectorELNS0_4arch9wavefront6targetE0EEEvSO_.num_named_barrier, 0
	.set _ZN7rocprim17ROCPRIM_400000_NS6detail17trampoline_kernelINS0_14default_configENS1_38merge_sort_block_merge_config_selectorIjN6thrust23THRUST_200600_302600_NS5tupleIffNS6_9null_typeES8_S8_S8_S8_S8_S8_S8_EEEEZZNS1_27merge_sort_block_merge_implIS3_NS6_6detail15normal_iteratorINS6_10device_ptrIjEEEENSD_INSE_IS9_EEEEjNS1_19radix_merge_compareILb0ELb1EjNS0_19identity_decomposerEEEEE10hipError_tT0_T1_T2_jT3_P12ihipStream_tbPNSt15iterator_traitsISN_E10value_typeEPNST_ISO_E10value_typeEPSP_NS1_7vsmem_tEENKUlT_SN_SO_SP_E_clISG_PjSI_PS9_EESM_S12_SN_SO_SP_EUlS12_E_NS1_11comp_targetILNS1_3genE5ELNS1_11target_archE942ELNS1_3gpuE9ELNS1_3repE0EEENS1_48merge_mergepath_partition_config_static_selectorELNS0_4arch9wavefront6targetE0EEEvSO_.private_seg_size, 0
	.set _ZN7rocprim17ROCPRIM_400000_NS6detail17trampoline_kernelINS0_14default_configENS1_38merge_sort_block_merge_config_selectorIjN6thrust23THRUST_200600_302600_NS5tupleIffNS6_9null_typeES8_S8_S8_S8_S8_S8_S8_EEEEZZNS1_27merge_sort_block_merge_implIS3_NS6_6detail15normal_iteratorINS6_10device_ptrIjEEEENSD_INSE_IS9_EEEEjNS1_19radix_merge_compareILb0ELb1EjNS0_19identity_decomposerEEEEE10hipError_tT0_T1_T2_jT3_P12ihipStream_tbPNSt15iterator_traitsISN_E10value_typeEPNST_ISO_E10value_typeEPSP_NS1_7vsmem_tEENKUlT_SN_SO_SP_E_clISG_PjSI_PS9_EESM_S12_SN_SO_SP_EUlS12_E_NS1_11comp_targetILNS1_3genE5ELNS1_11target_archE942ELNS1_3gpuE9ELNS1_3repE0EEENS1_48merge_mergepath_partition_config_static_selectorELNS0_4arch9wavefront6targetE0EEEvSO_.uses_vcc, 0
	.set _ZN7rocprim17ROCPRIM_400000_NS6detail17trampoline_kernelINS0_14default_configENS1_38merge_sort_block_merge_config_selectorIjN6thrust23THRUST_200600_302600_NS5tupleIffNS6_9null_typeES8_S8_S8_S8_S8_S8_S8_EEEEZZNS1_27merge_sort_block_merge_implIS3_NS6_6detail15normal_iteratorINS6_10device_ptrIjEEEENSD_INSE_IS9_EEEEjNS1_19radix_merge_compareILb0ELb1EjNS0_19identity_decomposerEEEEE10hipError_tT0_T1_T2_jT3_P12ihipStream_tbPNSt15iterator_traitsISN_E10value_typeEPNST_ISO_E10value_typeEPSP_NS1_7vsmem_tEENKUlT_SN_SO_SP_E_clISG_PjSI_PS9_EESM_S12_SN_SO_SP_EUlS12_E_NS1_11comp_targetILNS1_3genE5ELNS1_11target_archE942ELNS1_3gpuE9ELNS1_3repE0EEENS1_48merge_mergepath_partition_config_static_selectorELNS0_4arch9wavefront6targetE0EEEvSO_.uses_flat_scratch, 0
	.set _ZN7rocprim17ROCPRIM_400000_NS6detail17trampoline_kernelINS0_14default_configENS1_38merge_sort_block_merge_config_selectorIjN6thrust23THRUST_200600_302600_NS5tupleIffNS6_9null_typeES8_S8_S8_S8_S8_S8_S8_EEEEZZNS1_27merge_sort_block_merge_implIS3_NS6_6detail15normal_iteratorINS6_10device_ptrIjEEEENSD_INSE_IS9_EEEEjNS1_19radix_merge_compareILb0ELb1EjNS0_19identity_decomposerEEEEE10hipError_tT0_T1_T2_jT3_P12ihipStream_tbPNSt15iterator_traitsISN_E10value_typeEPNST_ISO_E10value_typeEPSP_NS1_7vsmem_tEENKUlT_SN_SO_SP_E_clISG_PjSI_PS9_EESM_S12_SN_SO_SP_EUlS12_E_NS1_11comp_targetILNS1_3genE5ELNS1_11target_archE942ELNS1_3gpuE9ELNS1_3repE0EEENS1_48merge_mergepath_partition_config_static_selectorELNS0_4arch9wavefront6targetE0EEEvSO_.has_dyn_sized_stack, 0
	.set _ZN7rocprim17ROCPRIM_400000_NS6detail17trampoline_kernelINS0_14default_configENS1_38merge_sort_block_merge_config_selectorIjN6thrust23THRUST_200600_302600_NS5tupleIffNS6_9null_typeES8_S8_S8_S8_S8_S8_S8_EEEEZZNS1_27merge_sort_block_merge_implIS3_NS6_6detail15normal_iteratorINS6_10device_ptrIjEEEENSD_INSE_IS9_EEEEjNS1_19radix_merge_compareILb0ELb1EjNS0_19identity_decomposerEEEEE10hipError_tT0_T1_T2_jT3_P12ihipStream_tbPNSt15iterator_traitsISN_E10value_typeEPNST_ISO_E10value_typeEPSP_NS1_7vsmem_tEENKUlT_SN_SO_SP_E_clISG_PjSI_PS9_EESM_S12_SN_SO_SP_EUlS12_E_NS1_11comp_targetILNS1_3genE5ELNS1_11target_archE942ELNS1_3gpuE9ELNS1_3repE0EEENS1_48merge_mergepath_partition_config_static_selectorELNS0_4arch9wavefront6targetE0EEEvSO_.has_recursion, 0
	.set _ZN7rocprim17ROCPRIM_400000_NS6detail17trampoline_kernelINS0_14default_configENS1_38merge_sort_block_merge_config_selectorIjN6thrust23THRUST_200600_302600_NS5tupleIffNS6_9null_typeES8_S8_S8_S8_S8_S8_S8_EEEEZZNS1_27merge_sort_block_merge_implIS3_NS6_6detail15normal_iteratorINS6_10device_ptrIjEEEENSD_INSE_IS9_EEEEjNS1_19radix_merge_compareILb0ELb1EjNS0_19identity_decomposerEEEEE10hipError_tT0_T1_T2_jT3_P12ihipStream_tbPNSt15iterator_traitsISN_E10value_typeEPNST_ISO_E10value_typeEPSP_NS1_7vsmem_tEENKUlT_SN_SO_SP_E_clISG_PjSI_PS9_EESM_S12_SN_SO_SP_EUlS12_E_NS1_11comp_targetILNS1_3genE5ELNS1_11target_archE942ELNS1_3gpuE9ELNS1_3repE0EEENS1_48merge_mergepath_partition_config_static_selectorELNS0_4arch9wavefront6targetE0EEEvSO_.has_indirect_call, 0
	.section	.AMDGPU.csdata,"",@progbits
; Kernel info:
; codeLenInByte = 0
; TotalNumSgprs: 0
; NumVgprs: 0
; ScratchSize: 0
; MemoryBound: 0
; FloatMode: 240
; IeeeMode: 1
; LDSByteSize: 0 bytes/workgroup (compile time only)
; SGPRBlocks: 0
; VGPRBlocks: 0
; NumSGPRsForWavesPerEU: 1
; NumVGPRsForWavesPerEU: 1
; Occupancy: 16
; WaveLimiterHint : 0
; COMPUTE_PGM_RSRC2:SCRATCH_EN: 0
; COMPUTE_PGM_RSRC2:USER_SGPR: 2
; COMPUTE_PGM_RSRC2:TRAP_HANDLER: 0
; COMPUTE_PGM_RSRC2:TGID_X_EN: 1
; COMPUTE_PGM_RSRC2:TGID_Y_EN: 0
; COMPUTE_PGM_RSRC2:TGID_Z_EN: 0
; COMPUTE_PGM_RSRC2:TIDIG_COMP_CNT: 0
	.section	.text._ZN7rocprim17ROCPRIM_400000_NS6detail17trampoline_kernelINS0_14default_configENS1_38merge_sort_block_merge_config_selectorIjN6thrust23THRUST_200600_302600_NS5tupleIffNS6_9null_typeES8_S8_S8_S8_S8_S8_S8_EEEEZZNS1_27merge_sort_block_merge_implIS3_NS6_6detail15normal_iteratorINS6_10device_ptrIjEEEENSD_INSE_IS9_EEEEjNS1_19radix_merge_compareILb0ELb1EjNS0_19identity_decomposerEEEEE10hipError_tT0_T1_T2_jT3_P12ihipStream_tbPNSt15iterator_traitsISN_E10value_typeEPNST_ISO_E10value_typeEPSP_NS1_7vsmem_tEENKUlT_SN_SO_SP_E_clISG_PjSI_PS9_EESM_S12_SN_SO_SP_EUlS12_E_NS1_11comp_targetILNS1_3genE4ELNS1_11target_archE910ELNS1_3gpuE8ELNS1_3repE0EEENS1_48merge_mergepath_partition_config_static_selectorELNS0_4arch9wavefront6targetE0EEEvSO_,"axG",@progbits,_ZN7rocprim17ROCPRIM_400000_NS6detail17trampoline_kernelINS0_14default_configENS1_38merge_sort_block_merge_config_selectorIjN6thrust23THRUST_200600_302600_NS5tupleIffNS6_9null_typeES8_S8_S8_S8_S8_S8_S8_EEEEZZNS1_27merge_sort_block_merge_implIS3_NS6_6detail15normal_iteratorINS6_10device_ptrIjEEEENSD_INSE_IS9_EEEEjNS1_19radix_merge_compareILb0ELb1EjNS0_19identity_decomposerEEEEE10hipError_tT0_T1_T2_jT3_P12ihipStream_tbPNSt15iterator_traitsISN_E10value_typeEPNST_ISO_E10value_typeEPSP_NS1_7vsmem_tEENKUlT_SN_SO_SP_E_clISG_PjSI_PS9_EESM_S12_SN_SO_SP_EUlS12_E_NS1_11comp_targetILNS1_3genE4ELNS1_11target_archE910ELNS1_3gpuE8ELNS1_3repE0EEENS1_48merge_mergepath_partition_config_static_selectorELNS0_4arch9wavefront6targetE0EEEvSO_,comdat
	.protected	_ZN7rocprim17ROCPRIM_400000_NS6detail17trampoline_kernelINS0_14default_configENS1_38merge_sort_block_merge_config_selectorIjN6thrust23THRUST_200600_302600_NS5tupleIffNS6_9null_typeES8_S8_S8_S8_S8_S8_S8_EEEEZZNS1_27merge_sort_block_merge_implIS3_NS6_6detail15normal_iteratorINS6_10device_ptrIjEEEENSD_INSE_IS9_EEEEjNS1_19radix_merge_compareILb0ELb1EjNS0_19identity_decomposerEEEEE10hipError_tT0_T1_T2_jT3_P12ihipStream_tbPNSt15iterator_traitsISN_E10value_typeEPNST_ISO_E10value_typeEPSP_NS1_7vsmem_tEENKUlT_SN_SO_SP_E_clISG_PjSI_PS9_EESM_S12_SN_SO_SP_EUlS12_E_NS1_11comp_targetILNS1_3genE4ELNS1_11target_archE910ELNS1_3gpuE8ELNS1_3repE0EEENS1_48merge_mergepath_partition_config_static_selectorELNS0_4arch9wavefront6targetE0EEEvSO_ ; -- Begin function _ZN7rocprim17ROCPRIM_400000_NS6detail17trampoline_kernelINS0_14default_configENS1_38merge_sort_block_merge_config_selectorIjN6thrust23THRUST_200600_302600_NS5tupleIffNS6_9null_typeES8_S8_S8_S8_S8_S8_S8_EEEEZZNS1_27merge_sort_block_merge_implIS3_NS6_6detail15normal_iteratorINS6_10device_ptrIjEEEENSD_INSE_IS9_EEEEjNS1_19radix_merge_compareILb0ELb1EjNS0_19identity_decomposerEEEEE10hipError_tT0_T1_T2_jT3_P12ihipStream_tbPNSt15iterator_traitsISN_E10value_typeEPNST_ISO_E10value_typeEPSP_NS1_7vsmem_tEENKUlT_SN_SO_SP_E_clISG_PjSI_PS9_EESM_S12_SN_SO_SP_EUlS12_E_NS1_11comp_targetILNS1_3genE4ELNS1_11target_archE910ELNS1_3gpuE8ELNS1_3repE0EEENS1_48merge_mergepath_partition_config_static_selectorELNS0_4arch9wavefront6targetE0EEEvSO_
	.globl	_ZN7rocprim17ROCPRIM_400000_NS6detail17trampoline_kernelINS0_14default_configENS1_38merge_sort_block_merge_config_selectorIjN6thrust23THRUST_200600_302600_NS5tupleIffNS6_9null_typeES8_S8_S8_S8_S8_S8_S8_EEEEZZNS1_27merge_sort_block_merge_implIS3_NS6_6detail15normal_iteratorINS6_10device_ptrIjEEEENSD_INSE_IS9_EEEEjNS1_19radix_merge_compareILb0ELb1EjNS0_19identity_decomposerEEEEE10hipError_tT0_T1_T2_jT3_P12ihipStream_tbPNSt15iterator_traitsISN_E10value_typeEPNST_ISO_E10value_typeEPSP_NS1_7vsmem_tEENKUlT_SN_SO_SP_E_clISG_PjSI_PS9_EESM_S12_SN_SO_SP_EUlS12_E_NS1_11comp_targetILNS1_3genE4ELNS1_11target_archE910ELNS1_3gpuE8ELNS1_3repE0EEENS1_48merge_mergepath_partition_config_static_selectorELNS0_4arch9wavefront6targetE0EEEvSO_
	.p2align	8
	.type	_ZN7rocprim17ROCPRIM_400000_NS6detail17trampoline_kernelINS0_14default_configENS1_38merge_sort_block_merge_config_selectorIjN6thrust23THRUST_200600_302600_NS5tupleIffNS6_9null_typeES8_S8_S8_S8_S8_S8_S8_EEEEZZNS1_27merge_sort_block_merge_implIS3_NS6_6detail15normal_iteratorINS6_10device_ptrIjEEEENSD_INSE_IS9_EEEEjNS1_19radix_merge_compareILb0ELb1EjNS0_19identity_decomposerEEEEE10hipError_tT0_T1_T2_jT3_P12ihipStream_tbPNSt15iterator_traitsISN_E10value_typeEPNST_ISO_E10value_typeEPSP_NS1_7vsmem_tEENKUlT_SN_SO_SP_E_clISG_PjSI_PS9_EESM_S12_SN_SO_SP_EUlS12_E_NS1_11comp_targetILNS1_3genE4ELNS1_11target_archE910ELNS1_3gpuE8ELNS1_3repE0EEENS1_48merge_mergepath_partition_config_static_selectorELNS0_4arch9wavefront6targetE0EEEvSO_,@function
_ZN7rocprim17ROCPRIM_400000_NS6detail17trampoline_kernelINS0_14default_configENS1_38merge_sort_block_merge_config_selectorIjN6thrust23THRUST_200600_302600_NS5tupleIffNS6_9null_typeES8_S8_S8_S8_S8_S8_S8_EEEEZZNS1_27merge_sort_block_merge_implIS3_NS6_6detail15normal_iteratorINS6_10device_ptrIjEEEENSD_INSE_IS9_EEEEjNS1_19radix_merge_compareILb0ELb1EjNS0_19identity_decomposerEEEEE10hipError_tT0_T1_T2_jT3_P12ihipStream_tbPNSt15iterator_traitsISN_E10value_typeEPNST_ISO_E10value_typeEPSP_NS1_7vsmem_tEENKUlT_SN_SO_SP_E_clISG_PjSI_PS9_EESM_S12_SN_SO_SP_EUlS12_E_NS1_11comp_targetILNS1_3genE4ELNS1_11target_archE910ELNS1_3gpuE8ELNS1_3repE0EEENS1_48merge_mergepath_partition_config_static_selectorELNS0_4arch9wavefront6targetE0EEEvSO_: ; @_ZN7rocprim17ROCPRIM_400000_NS6detail17trampoline_kernelINS0_14default_configENS1_38merge_sort_block_merge_config_selectorIjN6thrust23THRUST_200600_302600_NS5tupleIffNS6_9null_typeES8_S8_S8_S8_S8_S8_S8_EEEEZZNS1_27merge_sort_block_merge_implIS3_NS6_6detail15normal_iteratorINS6_10device_ptrIjEEEENSD_INSE_IS9_EEEEjNS1_19radix_merge_compareILb0ELb1EjNS0_19identity_decomposerEEEEE10hipError_tT0_T1_T2_jT3_P12ihipStream_tbPNSt15iterator_traitsISN_E10value_typeEPNST_ISO_E10value_typeEPSP_NS1_7vsmem_tEENKUlT_SN_SO_SP_E_clISG_PjSI_PS9_EESM_S12_SN_SO_SP_EUlS12_E_NS1_11comp_targetILNS1_3genE4ELNS1_11target_archE910ELNS1_3gpuE8ELNS1_3repE0EEENS1_48merge_mergepath_partition_config_static_selectorELNS0_4arch9wavefront6targetE0EEEvSO_
; %bb.0:
	.section	.rodata,"a",@progbits
	.p2align	6, 0x0
	.amdhsa_kernel _ZN7rocprim17ROCPRIM_400000_NS6detail17trampoline_kernelINS0_14default_configENS1_38merge_sort_block_merge_config_selectorIjN6thrust23THRUST_200600_302600_NS5tupleIffNS6_9null_typeES8_S8_S8_S8_S8_S8_S8_EEEEZZNS1_27merge_sort_block_merge_implIS3_NS6_6detail15normal_iteratorINS6_10device_ptrIjEEEENSD_INSE_IS9_EEEEjNS1_19radix_merge_compareILb0ELb1EjNS0_19identity_decomposerEEEEE10hipError_tT0_T1_T2_jT3_P12ihipStream_tbPNSt15iterator_traitsISN_E10value_typeEPNST_ISO_E10value_typeEPSP_NS1_7vsmem_tEENKUlT_SN_SO_SP_E_clISG_PjSI_PS9_EESM_S12_SN_SO_SP_EUlS12_E_NS1_11comp_targetILNS1_3genE4ELNS1_11target_archE910ELNS1_3gpuE8ELNS1_3repE0EEENS1_48merge_mergepath_partition_config_static_selectorELNS0_4arch9wavefront6targetE0EEEvSO_
		.amdhsa_group_segment_fixed_size 0
		.amdhsa_private_segment_fixed_size 0
		.amdhsa_kernarg_size 40
		.amdhsa_user_sgpr_count 2
		.amdhsa_user_sgpr_dispatch_ptr 0
		.amdhsa_user_sgpr_queue_ptr 0
		.amdhsa_user_sgpr_kernarg_segment_ptr 1
		.amdhsa_user_sgpr_dispatch_id 0
		.amdhsa_user_sgpr_private_segment_size 0
		.amdhsa_wavefront_size32 1
		.amdhsa_uses_dynamic_stack 0
		.amdhsa_enable_private_segment 0
		.amdhsa_system_sgpr_workgroup_id_x 1
		.amdhsa_system_sgpr_workgroup_id_y 0
		.amdhsa_system_sgpr_workgroup_id_z 0
		.amdhsa_system_sgpr_workgroup_info 0
		.amdhsa_system_vgpr_workitem_id 0
		.amdhsa_next_free_vgpr 1
		.amdhsa_next_free_sgpr 1
		.amdhsa_reserve_vcc 0
		.amdhsa_float_round_mode_32 0
		.amdhsa_float_round_mode_16_64 0
		.amdhsa_float_denorm_mode_32 3
		.amdhsa_float_denorm_mode_16_64 3
		.amdhsa_fp16_overflow 0
		.amdhsa_workgroup_processor_mode 1
		.amdhsa_memory_ordered 1
		.amdhsa_forward_progress 1
		.amdhsa_inst_pref_size 0
		.amdhsa_round_robin_scheduling 0
		.amdhsa_exception_fp_ieee_invalid_op 0
		.amdhsa_exception_fp_denorm_src 0
		.amdhsa_exception_fp_ieee_div_zero 0
		.amdhsa_exception_fp_ieee_overflow 0
		.amdhsa_exception_fp_ieee_underflow 0
		.amdhsa_exception_fp_ieee_inexact 0
		.amdhsa_exception_int_div_zero 0
	.end_amdhsa_kernel
	.section	.text._ZN7rocprim17ROCPRIM_400000_NS6detail17trampoline_kernelINS0_14default_configENS1_38merge_sort_block_merge_config_selectorIjN6thrust23THRUST_200600_302600_NS5tupleIffNS6_9null_typeES8_S8_S8_S8_S8_S8_S8_EEEEZZNS1_27merge_sort_block_merge_implIS3_NS6_6detail15normal_iteratorINS6_10device_ptrIjEEEENSD_INSE_IS9_EEEEjNS1_19radix_merge_compareILb0ELb1EjNS0_19identity_decomposerEEEEE10hipError_tT0_T1_T2_jT3_P12ihipStream_tbPNSt15iterator_traitsISN_E10value_typeEPNST_ISO_E10value_typeEPSP_NS1_7vsmem_tEENKUlT_SN_SO_SP_E_clISG_PjSI_PS9_EESM_S12_SN_SO_SP_EUlS12_E_NS1_11comp_targetILNS1_3genE4ELNS1_11target_archE910ELNS1_3gpuE8ELNS1_3repE0EEENS1_48merge_mergepath_partition_config_static_selectorELNS0_4arch9wavefront6targetE0EEEvSO_,"axG",@progbits,_ZN7rocprim17ROCPRIM_400000_NS6detail17trampoline_kernelINS0_14default_configENS1_38merge_sort_block_merge_config_selectorIjN6thrust23THRUST_200600_302600_NS5tupleIffNS6_9null_typeES8_S8_S8_S8_S8_S8_S8_EEEEZZNS1_27merge_sort_block_merge_implIS3_NS6_6detail15normal_iteratorINS6_10device_ptrIjEEEENSD_INSE_IS9_EEEEjNS1_19radix_merge_compareILb0ELb1EjNS0_19identity_decomposerEEEEE10hipError_tT0_T1_T2_jT3_P12ihipStream_tbPNSt15iterator_traitsISN_E10value_typeEPNST_ISO_E10value_typeEPSP_NS1_7vsmem_tEENKUlT_SN_SO_SP_E_clISG_PjSI_PS9_EESM_S12_SN_SO_SP_EUlS12_E_NS1_11comp_targetILNS1_3genE4ELNS1_11target_archE910ELNS1_3gpuE8ELNS1_3repE0EEENS1_48merge_mergepath_partition_config_static_selectorELNS0_4arch9wavefront6targetE0EEEvSO_,comdat
.Lfunc_end118:
	.size	_ZN7rocprim17ROCPRIM_400000_NS6detail17trampoline_kernelINS0_14default_configENS1_38merge_sort_block_merge_config_selectorIjN6thrust23THRUST_200600_302600_NS5tupleIffNS6_9null_typeES8_S8_S8_S8_S8_S8_S8_EEEEZZNS1_27merge_sort_block_merge_implIS3_NS6_6detail15normal_iteratorINS6_10device_ptrIjEEEENSD_INSE_IS9_EEEEjNS1_19radix_merge_compareILb0ELb1EjNS0_19identity_decomposerEEEEE10hipError_tT0_T1_T2_jT3_P12ihipStream_tbPNSt15iterator_traitsISN_E10value_typeEPNST_ISO_E10value_typeEPSP_NS1_7vsmem_tEENKUlT_SN_SO_SP_E_clISG_PjSI_PS9_EESM_S12_SN_SO_SP_EUlS12_E_NS1_11comp_targetILNS1_3genE4ELNS1_11target_archE910ELNS1_3gpuE8ELNS1_3repE0EEENS1_48merge_mergepath_partition_config_static_selectorELNS0_4arch9wavefront6targetE0EEEvSO_, .Lfunc_end118-_ZN7rocprim17ROCPRIM_400000_NS6detail17trampoline_kernelINS0_14default_configENS1_38merge_sort_block_merge_config_selectorIjN6thrust23THRUST_200600_302600_NS5tupleIffNS6_9null_typeES8_S8_S8_S8_S8_S8_S8_EEEEZZNS1_27merge_sort_block_merge_implIS3_NS6_6detail15normal_iteratorINS6_10device_ptrIjEEEENSD_INSE_IS9_EEEEjNS1_19radix_merge_compareILb0ELb1EjNS0_19identity_decomposerEEEEE10hipError_tT0_T1_T2_jT3_P12ihipStream_tbPNSt15iterator_traitsISN_E10value_typeEPNST_ISO_E10value_typeEPSP_NS1_7vsmem_tEENKUlT_SN_SO_SP_E_clISG_PjSI_PS9_EESM_S12_SN_SO_SP_EUlS12_E_NS1_11comp_targetILNS1_3genE4ELNS1_11target_archE910ELNS1_3gpuE8ELNS1_3repE0EEENS1_48merge_mergepath_partition_config_static_selectorELNS0_4arch9wavefront6targetE0EEEvSO_
                                        ; -- End function
	.set _ZN7rocprim17ROCPRIM_400000_NS6detail17trampoline_kernelINS0_14default_configENS1_38merge_sort_block_merge_config_selectorIjN6thrust23THRUST_200600_302600_NS5tupleIffNS6_9null_typeES8_S8_S8_S8_S8_S8_S8_EEEEZZNS1_27merge_sort_block_merge_implIS3_NS6_6detail15normal_iteratorINS6_10device_ptrIjEEEENSD_INSE_IS9_EEEEjNS1_19radix_merge_compareILb0ELb1EjNS0_19identity_decomposerEEEEE10hipError_tT0_T1_T2_jT3_P12ihipStream_tbPNSt15iterator_traitsISN_E10value_typeEPNST_ISO_E10value_typeEPSP_NS1_7vsmem_tEENKUlT_SN_SO_SP_E_clISG_PjSI_PS9_EESM_S12_SN_SO_SP_EUlS12_E_NS1_11comp_targetILNS1_3genE4ELNS1_11target_archE910ELNS1_3gpuE8ELNS1_3repE0EEENS1_48merge_mergepath_partition_config_static_selectorELNS0_4arch9wavefront6targetE0EEEvSO_.num_vgpr, 0
	.set _ZN7rocprim17ROCPRIM_400000_NS6detail17trampoline_kernelINS0_14default_configENS1_38merge_sort_block_merge_config_selectorIjN6thrust23THRUST_200600_302600_NS5tupleIffNS6_9null_typeES8_S8_S8_S8_S8_S8_S8_EEEEZZNS1_27merge_sort_block_merge_implIS3_NS6_6detail15normal_iteratorINS6_10device_ptrIjEEEENSD_INSE_IS9_EEEEjNS1_19radix_merge_compareILb0ELb1EjNS0_19identity_decomposerEEEEE10hipError_tT0_T1_T2_jT3_P12ihipStream_tbPNSt15iterator_traitsISN_E10value_typeEPNST_ISO_E10value_typeEPSP_NS1_7vsmem_tEENKUlT_SN_SO_SP_E_clISG_PjSI_PS9_EESM_S12_SN_SO_SP_EUlS12_E_NS1_11comp_targetILNS1_3genE4ELNS1_11target_archE910ELNS1_3gpuE8ELNS1_3repE0EEENS1_48merge_mergepath_partition_config_static_selectorELNS0_4arch9wavefront6targetE0EEEvSO_.num_agpr, 0
	.set _ZN7rocprim17ROCPRIM_400000_NS6detail17trampoline_kernelINS0_14default_configENS1_38merge_sort_block_merge_config_selectorIjN6thrust23THRUST_200600_302600_NS5tupleIffNS6_9null_typeES8_S8_S8_S8_S8_S8_S8_EEEEZZNS1_27merge_sort_block_merge_implIS3_NS6_6detail15normal_iteratorINS6_10device_ptrIjEEEENSD_INSE_IS9_EEEEjNS1_19radix_merge_compareILb0ELb1EjNS0_19identity_decomposerEEEEE10hipError_tT0_T1_T2_jT3_P12ihipStream_tbPNSt15iterator_traitsISN_E10value_typeEPNST_ISO_E10value_typeEPSP_NS1_7vsmem_tEENKUlT_SN_SO_SP_E_clISG_PjSI_PS9_EESM_S12_SN_SO_SP_EUlS12_E_NS1_11comp_targetILNS1_3genE4ELNS1_11target_archE910ELNS1_3gpuE8ELNS1_3repE0EEENS1_48merge_mergepath_partition_config_static_selectorELNS0_4arch9wavefront6targetE0EEEvSO_.numbered_sgpr, 0
	.set _ZN7rocprim17ROCPRIM_400000_NS6detail17trampoline_kernelINS0_14default_configENS1_38merge_sort_block_merge_config_selectorIjN6thrust23THRUST_200600_302600_NS5tupleIffNS6_9null_typeES8_S8_S8_S8_S8_S8_S8_EEEEZZNS1_27merge_sort_block_merge_implIS3_NS6_6detail15normal_iteratorINS6_10device_ptrIjEEEENSD_INSE_IS9_EEEEjNS1_19radix_merge_compareILb0ELb1EjNS0_19identity_decomposerEEEEE10hipError_tT0_T1_T2_jT3_P12ihipStream_tbPNSt15iterator_traitsISN_E10value_typeEPNST_ISO_E10value_typeEPSP_NS1_7vsmem_tEENKUlT_SN_SO_SP_E_clISG_PjSI_PS9_EESM_S12_SN_SO_SP_EUlS12_E_NS1_11comp_targetILNS1_3genE4ELNS1_11target_archE910ELNS1_3gpuE8ELNS1_3repE0EEENS1_48merge_mergepath_partition_config_static_selectorELNS0_4arch9wavefront6targetE0EEEvSO_.num_named_barrier, 0
	.set _ZN7rocprim17ROCPRIM_400000_NS6detail17trampoline_kernelINS0_14default_configENS1_38merge_sort_block_merge_config_selectorIjN6thrust23THRUST_200600_302600_NS5tupleIffNS6_9null_typeES8_S8_S8_S8_S8_S8_S8_EEEEZZNS1_27merge_sort_block_merge_implIS3_NS6_6detail15normal_iteratorINS6_10device_ptrIjEEEENSD_INSE_IS9_EEEEjNS1_19radix_merge_compareILb0ELb1EjNS0_19identity_decomposerEEEEE10hipError_tT0_T1_T2_jT3_P12ihipStream_tbPNSt15iterator_traitsISN_E10value_typeEPNST_ISO_E10value_typeEPSP_NS1_7vsmem_tEENKUlT_SN_SO_SP_E_clISG_PjSI_PS9_EESM_S12_SN_SO_SP_EUlS12_E_NS1_11comp_targetILNS1_3genE4ELNS1_11target_archE910ELNS1_3gpuE8ELNS1_3repE0EEENS1_48merge_mergepath_partition_config_static_selectorELNS0_4arch9wavefront6targetE0EEEvSO_.private_seg_size, 0
	.set _ZN7rocprim17ROCPRIM_400000_NS6detail17trampoline_kernelINS0_14default_configENS1_38merge_sort_block_merge_config_selectorIjN6thrust23THRUST_200600_302600_NS5tupleIffNS6_9null_typeES8_S8_S8_S8_S8_S8_S8_EEEEZZNS1_27merge_sort_block_merge_implIS3_NS6_6detail15normal_iteratorINS6_10device_ptrIjEEEENSD_INSE_IS9_EEEEjNS1_19radix_merge_compareILb0ELb1EjNS0_19identity_decomposerEEEEE10hipError_tT0_T1_T2_jT3_P12ihipStream_tbPNSt15iterator_traitsISN_E10value_typeEPNST_ISO_E10value_typeEPSP_NS1_7vsmem_tEENKUlT_SN_SO_SP_E_clISG_PjSI_PS9_EESM_S12_SN_SO_SP_EUlS12_E_NS1_11comp_targetILNS1_3genE4ELNS1_11target_archE910ELNS1_3gpuE8ELNS1_3repE0EEENS1_48merge_mergepath_partition_config_static_selectorELNS0_4arch9wavefront6targetE0EEEvSO_.uses_vcc, 0
	.set _ZN7rocprim17ROCPRIM_400000_NS6detail17trampoline_kernelINS0_14default_configENS1_38merge_sort_block_merge_config_selectorIjN6thrust23THRUST_200600_302600_NS5tupleIffNS6_9null_typeES8_S8_S8_S8_S8_S8_S8_EEEEZZNS1_27merge_sort_block_merge_implIS3_NS6_6detail15normal_iteratorINS6_10device_ptrIjEEEENSD_INSE_IS9_EEEEjNS1_19radix_merge_compareILb0ELb1EjNS0_19identity_decomposerEEEEE10hipError_tT0_T1_T2_jT3_P12ihipStream_tbPNSt15iterator_traitsISN_E10value_typeEPNST_ISO_E10value_typeEPSP_NS1_7vsmem_tEENKUlT_SN_SO_SP_E_clISG_PjSI_PS9_EESM_S12_SN_SO_SP_EUlS12_E_NS1_11comp_targetILNS1_3genE4ELNS1_11target_archE910ELNS1_3gpuE8ELNS1_3repE0EEENS1_48merge_mergepath_partition_config_static_selectorELNS0_4arch9wavefront6targetE0EEEvSO_.uses_flat_scratch, 0
	.set _ZN7rocprim17ROCPRIM_400000_NS6detail17trampoline_kernelINS0_14default_configENS1_38merge_sort_block_merge_config_selectorIjN6thrust23THRUST_200600_302600_NS5tupleIffNS6_9null_typeES8_S8_S8_S8_S8_S8_S8_EEEEZZNS1_27merge_sort_block_merge_implIS3_NS6_6detail15normal_iteratorINS6_10device_ptrIjEEEENSD_INSE_IS9_EEEEjNS1_19radix_merge_compareILb0ELb1EjNS0_19identity_decomposerEEEEE10hipError_tT0_T1_T2_jT3_P12ihipStream_tbPNSt15iterator_traitsISN_E10value_typeEPNST_ISO_E10value_typeEPSP_NS1_7vsmem_tEENKUlT_SN_SO_SP_E_clISG_PjSI_PS9_EESM_S12_SN_SO_SP_EUlS12_E_NS1_11comp_targetILNS1_3genE4ELNS1_11target_archE910ELNS1_3gpuE8ELNS1_3repE0EEENS1_48merge_mergepath_partition_config_static_selectorELNS0_4arch9wavefront6targetE0EEEvSO_.has_dyn_sized_stack, 0
	.set _ZN7rocprim17ROCPRIM_400000_NS6detail17trampoline_kernelINS0_14default_configENS1_38merge_sort_block_merge_config_selectorIjN6thrust23THRUST_200600_302600_NS5tupleIffNS6_9null_typeES8_S8_S8_S8_S8_S8_S8_EEEEZZNS1_27merge_sort_block_merge_implIS3_NS6_6detail15normal_iteratorINS6_10device_ptrIjEEEENSD_INSE_IS9_EEEEjNS1_19radix_merge_compareILb0ELb1EjNS0_19identity_decomposerEEEEE10hipError_tT0_T1_T2_jT3_P12ihipStream_tbPNSt15iterator_traitsISN_E10value_typeEPNST_ISO_E10value_typeEPSP_NS1_7vsmem_tEENKUlT_SN_SO_SP_E_clISG_PjSI_PS9_EESM_S12_SN_SO_SP_EUlS12_E_NS1_11comp_targetILNS1_3genE4ELNS1_11target_archE910ELNS1_3gpuE8ELNS1_3repE0EEENS1_48merge_mergepath_partition_config_static_selectorELNS0_4arch9wavefront6targetE0EEEvSO_.has_recursion, 0
	.set _ZN7rocprim17ROCPRIM_400000_NS6detail17trampoline_kernelINS0_14default_configENS1_38merge_sort_block_merge_config_selectorIjN6thrust23THRUST_200600_302600_NS5tupleIffNS6_9null_typeES8_S8_S8_S8_S8_S8_S8_EEEEZZNS1_27merge_sort_block_merge_implIS3_NS6_6detail15normal_iteratorINS6_10device_ptrIjEEEENSD_INSE_IS9_EEEEjNS1_19radix_merge_compareILb0ELb1EjNS0_19identity_decomposerEEEEE10hipError_tT0_T1_T2_jT3_P12ihipStream_tbPNSt15iterator_traitsISN_E10value_typeEPNST_ISO_E10value_typeEPSP_NS1_7vsmem_tEENKUlT_SN_SO_SP_E_clISG_PjSI_PS9_EESM_S12_SN_SO_SP_EUlS12_E_NS1_11comp_targetILNS1_3genE4ELNS1_11target_archE910ELNS1_3gpuE8ELNS1_3repE0EEENS1_48merge_mergepath_partition_config_static_selectorELNS0_4arch9wavefront6targetE0EEEvSO_.has_indirect_call, 0
	.section	.AMDGPU.csdata,"",@progbits
; Kernel info:
; codeLenInByte = 0
; TotalNumSgprs: 0
; NumVgprs: 0
; ScratchSize: 0
; MemoryBound: 0
; FloatMode: 240
; IeeeMode: 1
; LDSByteSize: 0 bytes/workgroup (compile time only)
; SGPRBlocks: 0
; VGPRBlocks: 0
; NumSGPRsForWavesPerEU: 1
; NumVGPRsForWavesPerEU: 1
; Occupancy: 16
; WaveLimiterHint : 0
; COMPUTE_PGM_RSRC2:SCRATCH_EN: 0
; COMPUTE_PGM_RSRC2:USER_SGPR: 2
; COMPUTE_PGM_RSRC2:TRAP_HANDLER: 0
; COMPUTE_PGM_RSRC2:TGID_X_EN: 1
; COMPUTE_PGM_RSRC2:TGID_Y_EN: 0
; COMPUTE_PGM_RSRC2:TGID_Z_EN: 0
; COMPUTE_PGM_RSRC2:TIDIG_COMP_CNT: 0
	.section	.text._ZN7rocprim17ROCPRIM_400000_NS6detail17trampoline_kernelINS0_14default_configENS1_38merge_sort_block_merge_config_selectorIjN6thrust23THRUST_200600_302600_NS5tupleIffNS6_9null_typeES8_S8_S8_S8_S8_S8_S8_EEEEZZNS1_27merge_sort_block_merge_implIS3_NS6_6detail15normal_iteratorINS6_10device_ptrIjEEEENSD_INSE_IS9_EEEEjNS1_19radix_merge_compareILb0ELb1EjNS0_19identity_decomposerEEEEE10hipError_tT0_T1_T2_jT3_P12ihipStream_tbPNSt15iterator_traitsISN_E10value_typeEPNST_ISO_E10value_typeEPSP_NS1_7vsmem_tEENKUlT_SN_SO_SP_E_clISG_PjSI_PS9_EESM_S12_SN_SO_SP_EUlS12_E_NS1_11comp_targetILNS1_3genE3ELNS1_11target_archE908ELNS1_3gpuE7ELNS1_3repE0EEENS1_48merge_mergepath_partition_config_static_selectorELNS0_4arch9wavefront6targetE0EEEvSO_,"axG",@progbits,_ZN7rocprim17ROCPRIM_400000_NS6detail17trampoline_kernelINS0_14default_configENS1_38merge_sort_block_merge_config_selectorIjN6thrust23THRUST_200600_302600_NS5tupleIffNS6_9null_typeES8_S8_S8_S8_S8_S8_S8_EEEEZZNS1_27merge_sort_block_merge_implIS3_NS6_6detail15normal_iteratorINS6_10device_ptrIjEEEENSD_INSE_IS9_EEEEjNS1_19radix_merge_compareILb0ELb1EjNS0_19identity_decomposerEEEEE10hipError_tT0_T1_T2_jT3_P12ihipStream_tbPNSt15iterator_traitsISN_E10value_typeEPNST_ISO_E10value_typeEPSP_NS1_7vsmem_tEENKUlT_SN_SO_SP_E_clISG_PjSI_PS9_EESM_S12_SN_SO_SP_EUlS12_E_NS1_11comp_targetILNS1_3genE3ELNS1_11target_archE908ELNS1_3gpuE7ELNS1_3repE0EEENS1_48merge_mergepath_partition_config_static_selectorELNS0_4arch9wavefront6targetE0EEEvSO_,comdat
	.protected	_ZN7rocprim17ROCPRIM_400000_NS6detail17trampoline_kernelINS0_14default_configENS1_38merge_sort_block_merge_config_selectorIjN6thrust23THRUST_200600_302600_NS5tupleIffNS6_9null_typeES8_S8_S8_S8_S8_S8_S8_EEEEZZNS1_27merge_sort_block_merge_implIS3_NS6_6detail15normal_iteratorINS6_10device_ptrIjEEEENSD_INSE_IS9_EEEEjNS1_19radix_merge_compareILb0ELb1EjNS0_19identity_decomposerEEEEE10hipError_tT0_T1_T2_jT3_P12ihipStream_tbPNSt15iterator_traitsISN_E10value_typeEPNST_ISO_E10value_typeEPSP_NS1_7vsmem_tEENKUlT_SN_SO_SP_E_clISG_PjSI_PS9_EESM_S12_SN_SO_SP_EUlS12_E_NS1_11comp_targetILNS1_3genE3ELNS1_11target_archE908ELNS1_3gpuE7ELNS1_3repE0EEENS1_48merge_mergepath_partition_config_static_selectorELNS0_4arch9wavefront6targetE0EEEvSO_ ; -- Begin function _ZN7rocprim17ROCPRIM_400000_NS6detail17trampoline_kernelINS0_14default_configENS1_38merge_sort_block_merge_config_selectorIjN6thrust23THRUST_200600_302600_NS5tupleIffNS6_9null_typeES8_S8_S8_S8_S8_S8_S8_EEEEZZNS1_27merge_sort_block_merge_implIS3_NS6_6detail15normal_iteratorINS6_10device_ptrIjEEEENSD_INSE_IS9_EEEEjNS1_19radix_merge_compareILb0ELb1EjNS0_19identity_decomposerEEEEE10hipError_tT0_T1_T2_jT3_P12ihipStream_tbPNSt15iterator_traitsISN_E10value_typeEPNST_ISO_E10value_typeEPSP_NS1_7vsmem_tEENKUlT_SN_SO_SP_E_clISG_PjSI_PS9_EESM_S12_SN_SO_SP_EUlS12_E_NS1_11comp_targetILNS1_3genE3ELNS1_11target_archE908ELNS1_3gpuE7ELNS1_3repE0EEENS1_48merge_mergepath_partition_config_static_selectorELNS0_4arch9wavefront6targetE0EEEvSO_
	.globl	_ZN7rocprim17ROCPRIM_400000_NS6detail17trampoline_kernelINS0_14default_configENS1_38merge_sort_block_merge_config_selectorIjN6thrust23THRUST_200600_302600_NS5tupleIffNS6_9null_typeES8_S8_S8_S8_S8_S8_S8_EEEEZZNS1_27merge_sort_block_merge_implIS3_NS6_6detail15normal_iteratorINS6_10device_ptrIjEEEENSD_INSE_IS9_EEEEjNS1_19radix_merge_compareILb0ELb1EjNS0_19identity_decomposerEEEEE10hipError_tT0_T1_T2_jT3_P12ihipStream_tbPNSt15iterator_traitsISN_E10value_typeEPNST_ISO_E10value_typeEPSP_NS1_7vsmem_tEENKUlT_SN_SO_SP_E_clISG_PjSI_PS9_EESM_S12_SN_SO_SP_EUlS12_E_NS1_11comp_targetILNS1_3genE3ELNS1_11target_archE908ELNS1_3gpuE7ELNS1_3repE0EEENS1_48merge_mergepath_partition_config_static_selectorELNS0_4arch9wavefront6targetE0EEEvSO_
	.p2align	8
	.type	_ZN7rocprim17ROCPRIM_400000_NS6detail17trampoline_kernelINS0_14default_configENS1_38merge_sort_block_merge_config_selectorIjN6thrust23THRUST_200600_302600_NS5tupleIffNS6_9null_typeES8_S8_S8_S8_S8_S8_S8_EEEEZZNS1_27merge_sort_block_merge_implIS3_NS6_6detail15normal_iteratorINS6_10device_ptrIjEEEENSD_INSE_IS9_EEEEjNS1_19radix_merge_compareILb0ELb1EjNS0_19identity_decomposerEEEEE10hipError_tT0_T1_T2_jT3_P12ihipStream_tbPNSt15iterator_traitsISN_E10value_typeEPNST_ISO_E10value_typeEPSP_NS1_7vsmem_tEENKUlT_SN_SO_SP_E_clISG_PjSI_PS9_EESM_S12_SN_SO_SP_EUlS12_E_NS1_11comp_targetILNS1_3genE3ELNS1_11target_archE908ELNS1_3gpuE7ELNS1_3repE0EEENS1_48merge_mergepath_partition_config_static_selectorELNS0_4arch9wavefront6targetE0EEEvSO_,@function
_ZN7rocprim17ROCPRIM_400000_NS6detail17trampoline_kernelINS0_14default_configENS1_38merge_sort_block_merge_config_selectorIjN6thrust23THRUST_200600_302600_NS5tupleIffNS6_9null_typeES8_S8_S8_S8_S8_S8_S8_EEEEZZNS1_27merge_sort_block_merge_implIS3_NS6_6detail15normal_iteratorINS6_10device_ptrIjEEEENSD_INSE_IS9_EEEEjNS1_19radix_merge_compareILb0ELb1EjNS0_19identity_decomposerEEEEE10hipError_tT0_T1_T2_jT3_P12ihipStream_tbPNSt15iterator_traitsISN_E10value_typeEPNST_ISO_E10value_typeEPSP_NS1_7vsmem_tEENKUlT_SN_SO_SP_E_clISG_PjSI_PS9_EESM_S12_SN_SO_SP_EUlS12_E_NS1_11comp_targetILNS1_3genE3ELNS1_11target_archE908ELNS1_3gpuE7ELNS1_3repE0EEENS1_48merge_mergepath_partition_config_static_selectorELNS0_4arch9wavefront6targetE0EEEvSO_: ; @_ZN7rocprim17ROCPRIM_400000_NS6detail17trampoline_kernelINS0_14default_configENS1_38merge_sort_block_merge_config_selectorIjN6thrust23THRUST_200600_302600_NS5tupleIffNS6_9null_typeES8_S8_S8_S8_S8_S8_S8_EEEEZZNS1_27merge_sort_block_merge_implIS3_NS6_6detail15normal_iteratorINS6_10device_ptrIjEEEENSD_INSE_IS9_EEEEjNS1_19radix_merge_compareILb0ELb1EjNS0_19identity_decomposerEEEEE10hipError_tT0_T1_T2_jT3_P12ihipStream_tbPNSt15iterator_traitsISN_E10value_typeEPNST_ISO_E10value_typeEPSP_NS1_7vsmem_tEENKUlT_SN_SO_SP_E_clISG_PjSI_PS9_EESM_S12_SN_SO_SP_EUlS12_E_NS1_11comp_targetILNS1_3genE3ELNS1_11target_archE908ELNS1_3gpuE7ELNS1_3repE0EEENS1_48merge_mergepath_partition_config_static_selectorELNS0_4arch9wavefront6targetE0EEEvSO_
; %bb.0:
	.section	.rodata,"a",@progbits
	.p2align	6, 0x0
	.amdhsa_kernel _ZN7rocprim17ROCPRIM_400000_NS6detail17trampoline_kernelINS0_14default_configENS1_38merge_sort_block_merge_config_selectorIjN6thrust23THRUST_200600_302600_NS5tupleIffNS6_9null_typeES8_S8_S8_S8_S8_S8_S8_EEEEZZNS1_27merge_sort_block_merge_implIS3_NS6_6detail15normal_iteratorINS6_10device_ptrIjEEEENSD_INSE_IS9_EEEEjNS1_19radix_merge_compareILb0ELb1EjNS0_19identity_decomposerEEEEE10hipError_tT0_T1_T2_jT3_P12ihipStream_tbPNSt15iterator_traitsISN_E10value_typeEPNST_ISO_E10value_typeEPSP_NS1_7vsmem_tEENKUlT_SN_SO_SP_E_clISG_PjSI_PS9_EESM_S12_SN_SO_SP_EUlS12_E_NS1_11comp_targetILNS1_3genE3ELNS1_11target_archE908ELNS1_3gpuE7ELNS1_3repE0EEENS1_48merge_mergepath_partition_config_static_selectorELNS0_4arch9wavefront6targetE0EEEvSO_
		.amdhsa_group_segment_fixed_size 0
		.amdhsa_private_segment_fixed_size 0
		.amdhsa_kernarg_size 40
		.amdhsa_user_sgpr_count 2
		.amdhsa_user_sgpr_dispatch_ptr 0
		.amdhsa_user_sgpr_queue_ptr 0
		.amdhsa_user_sgpr_kernarg_segment_ptr 1
		.amdhsa_user_sgpr_dispatch_id 0
		.amdhsa_user_sgpr_private_segment_size 0
		.amdhsa_wavefront_size32 1
		.amdhsa_uses_dynamic_stack 0
		.amdhsa_enable_private_segment 0
		.amdhsa_system_sgpr_workgroup_id_x 1
		.amdhsa_system_sgpr_workgroup_id_y 0
		.amdhsa_system_sgpr_workgroup_id_z 0
		.amdhsa_system_sgpr_workgroup_info 0
		.amdhsa_system_vgpr_workitem_id 0
		.amdhsa_next_free_vgpr 1
		.amdhsa_next_free_sgpr 1
		.amdhsa_reserve_vcc 0
		.amdhsa_float_round_mode_32 0
		.amdhsa_float_round_mode_16_64 0
		.amdhsa_float_denorm_mode_32 3
		.amdhsa_float_denorm_mode_16_64 3
		.amdhsa_fp16_overflow 0
		.amdhsa_workgroup_processor_mode 1
		.amdhsa_memory_ordered 1
		.amdhsa_forward_progress 1
		.amdhsa_inst_pref_size 0
		.amdhsa_round_robin_scheduling 0
		.amdhsa_exception_fp_ieee_invalid_op 0
		.amdhsa_exception_fp_denorm_src 0
		.amdhsa_exception_fp_ieee_div_zero 0
		.amdhsa_exception_fp_ieee_overflow 0
		.amdhsa_exception_fp_ieee_underflow 0
		.amdhsa_exception_fp_ieee_inexact 0
		.amdhsa_exception_int_div_zero 0
	.end_amdhsa_kernel
	.section	.text._ZN7rocprim17ROCPRIM_400000_NS6detail17trampoline_kernelINS0_14default_configENS1_38merge_sort_block_merge_config_selectorIjN6thrust23THRUST_200600_302600_NS5tupleIffNS6_9null_typeES8_S8_S8_S8_S8_S8_S8_EEEEZZNS1_27merge_sort_block_merge_implIS3_NS6_6detail15normal_iteratorINS6_10device_ptrIjEEEENSD_INSE_IS9_EEEEjNS1_19radix_merge_compareILb0ELb1EjNS0_19identity_decomposerEEEEE10hipError_tT0_T1_T2_jT3_P12ihipStream_tbPNSt15iterator_traitsISN_E10value_typeEPNST_ISO_E10value_typeEPSP_NS1_7vsmem_tEENKUlT_SN_SO_SP_E_clISG_PjSI_PS9_EESM_S12_SN_SO_SP_EUlS12_E_NS1_11comp_targetILNS1_3genE3ELNS1_11target_archE908ELNS1_3gpuE7ELNS1_3repE0EEENS1_48merge_mergepath_partition_config_static_selectorELNS0_4arch9wavefront6targetE0EEEvSO_,"axG",@progbits,_ZN7rocprim17ROCPRIM_400000_NS6detail17trampoline_kernelINS0_14default_configENS1_38merge_sort_block_merge_config_selectorIjN6thrust23THRUST_200600_302600_NS5tupleIffNS6_9null_typeES8_S8_S8_S8_S8_S8_S8_EEEEZZNS1_27merge_sort_block_merge_implIS3_NS6_6detail15normal_iteratorINS6_10device_ptrIjEEEENSD_INSE_IS9_EEEEjNS1_19radix_merge_compareILb0ELb1EjNS0_19identity_decomposerEEEEE10hipError_tT0_T1_T2_jT3_P12ihipStream_tbPNSt15iterator_traitsISN_E10value_typeEPNST_ISO_E10value_typeEPSP_NS1_7vsmem_tEENKUlT_SN_SO_SP_E_clISG_PjSI_PS9_EESM_S12_SN_SO_SP_EUlS12_E_NS1_11comp_targetILNS1_3genE3ELNS1_11target_archE908ELNS1_3gpuE7ELNS1_3repE0EEENS1_48merge_mergepath_partition_config_static_selectorELNS0_4arch9wavefront6targetE0EEEvSO_,comdat
.Lfunc_end119:
	.size	_ZN7rocprim17ROCPRIM_400000_NS6detail17trampoline_kernelINS0_14default_configENS1_38merge_sort_block_merge_config_selectorIjN6thrust23THRUST_200600_302600_NS5tupleIffNS6_9null_typeES8_S8_S8_S8_S8_S8_S8_EEEEZZNS1_27merge_sort_block_merge_implIS3_NS6_6detail15normal_iteratorINS6_10device_ptrIjEEEENSD_INSE_IS9_EEEEjNS1_19radix_merge_compareILb0ELb1EjNS0_19identity_decomposerEEEEE10hipError_tT0_T1_T2_jT3_P12ihipStream_tbPNSt15iterator_traitsISN_E10value_typeEPNST_ISO_E10value_typeEPSP_NS1_7vsmem_tEENKUlT_SN_SO_SP_E_clISG_PjSI_PS9_EESM_S12_SN_SO_SP_EUlS12_E_NS1_11comp_targetILNS1_3genE3ELNS1_11target_archE908ELNS1_3gpuE7ELNS1_3repE0EEENS1_48merge_mergepath_partition_config_static_selectorELNS0_4arch9wavefront6targetE0EEEvSO_, .Lfunc_end119-_ZN7rocprim17ROCPRIM_400000_NS6detail17trampoline_kernelINS0_14default_configENS1_38merge_sort_block_merge_config_selectorIjN6thrust23THRUST_200600_302600_NS5tupleIffNS6_9null_typeES8_S8_S8_S8_S8_S8_S8_EEEEZZNS1_27merge_sort_block_merge_implIS3_NS6_6detail15normal_iteratorINS6_10device_ptrIjEEEENSD_INSE_IS9_EEEEjNS1_19radix_merge_compareILb0ELb1EjNS0_19identity_decomposerEEEEE10hipError_tT0_T1_T2_jT3_P12ihipStream_tbPNSt15iterator_traitsISN_E10value_typeEPNST_ISO_E10value_typeEPSP_NS1_7vsmem_tEENKUlT_SN_SO_SP_E_clISG_PjSI_PS9_EESM_S12_SN_SO_SP_EUlS12_E_NS1_11comp_targetILNS1_3genE3ELNS1_11target_archE908ELNS1_3gpuE7ELNS1_3repE0EEENS1_48merge_mergepath_partition_config_static_selectorELNS0_4arch9wavefront6targetE0EEEvSO_
                                        ; -- End function
	.set _ZN7rocprim17ROCPRIM_400000_NS6detail17trampoline_kernelINS0_14default_configENS1_38merge_sort_block_merge_config_selectorIjN6thrust23THRUST_200600_302600_NS5tupleIffNS6_9null_typeES8_S8_S8_S8_S8_S8_S8_EEEEZZNS1_27merge_sort_block_merge_implIS3_NS6_6detail15normal_iteratorINS6_10device_ptrIjEEEENSD_INSE_IS9_EEEEjNS1_19radix_merge_compareILb0ELb1EjNS0_19identity_decomposerEEEEE10hipError_tT0_T1_T2_jT3_P12ihipStream_tbPNSt15iterator_traitsISN_E10value_typeEPNST_ISO_E10value_typeEPSP_NS1_7vsmem_tEENKUlT_SN_SO_SP_E_clISG_PjSI_PS9_EESM_S12_SN_SO_SP_EUlS12_E_NS1_11comp_targetILNS1_3genE3ELNS1_11target_archE908ELNS1_3gpuE7ELNS1_3repE0EEENS1_48merge_mergepath_partition_config_static_selectorELNS0_4arch9wavefront6targetE0EEEvSO_.num_vgpr, 0
	.set _ZN7rocprim17ROCPRIM_400000_NS6detail17trampoline_kernelINS0_14default_configENS1_38merge_sort_block_merge_config_selectorIjN6thrust23THRUST_200600_302600_NS5tupleIffNS6_9null_typeES8_S8_S8_S8_S8_S8_S8_EEEEZZNS1_27merge_sort_block_merge_implIS3_NS6_6detail15normal_iteratorINS6_10device_ptrIjEEEENSD_INSE_IS9_EEEEjNS1_19radix_merge_compareILb0ELb1EjNS0_19identity_decomposerEEEEE10hipError_tT0_T1_T2_jT3_P12ihipStream_tbPNSt15iterator_traitsISN_E10value_typeEPNST_ISO_E10value_typeEPSP_NS1_7vsmem_tEENKUlT_SN_SO_SP_E_clISG_PjSI_PS9_EESM_S12_SN_SO_SP_EUlS12_E_NS1_11comp_targetILNS1_3genE3ELNS1_11target_archE908ELNS1_3gpuE7ELNS1_3repE0EEENS1_48merge_mergepath_partition_config_static_selectorELNS0_4arch9wavefront6targetE0EEEvSO_.num_agpr, 0
	.set _ZN7rocprim17ROCPRIM_400000_NS6detail17trampoline_kernelINS0_14default_configENS1_38merge_sort_block_merge_config_selectorIjN6thrust23THRUST_200600_302600_NS5tupleIffNS6_9null_typeES8_S8_S8_S8_S8_S8_S8_EEEEZZNS1_27merge_sort_block_merge_implIS3_NS6_6detail15normal_iteratorINS6_10device_ptrIjEEEENSD_INSE_IS9_EEEEjNS1_19radix_merge_compareILb0ELb1EjNS0_19identity_decomposerEEEEE10hipError_tT0_T1_T2_jT3_P12ihipStream_tbPNSt15iterator_traitsISN_E10value_typeEPNST_ISO_E10value_typeEPSP_NS1_7vsmem_tEENKUlT_SN_SO_SP_E_clISG_PjSI_PS9_EESM_S12_SN_SO_SP_EUlS12_E_NS1_11comp_targetILNS1_3genE3ELNS1_11target_archE908ELNS1_3gpuE7ELNS1_3repE0EEENS1_48merge_mergepath_partition_config_static_selectorELNS0_4arch9wavefront6targetE0EEEvSO_.numbered_sgpr, 0
	.set _ZN7rocprim17ROCPRIM_400000_NS6detail17trampoline_kernelINS0_14default_configENS1_38merge_sort_block_merge_config_selectorIjN6thrust23THRUST_200600_302600_NS5tupleIffNS6_9null_typeES8_S8_S8_S8_S8_S8_S8_EEEEZZNS1_27merge_sort_block_merge_implIS3_NS6_6detail15normal_iteratorINS6_10device_ptrIjEEEENSD_INSE_IS9_EEEEjNS1_19radix_merge_compareILb0ELb1EjNS0_19identity_decomposerEEEEE10hipError_tT0_T1_T2_jT3_P12ihipStream_tbPNSt15iterator_traitsISN_E10value_typeEPNST_ISO_E10value_typeEPSP_NS1_7vsmem_tEENKUlT_SN_SO_SP_E_clISG_PjSI_PS9_EESM_S12_SN_SO_SP_EUlS12_E_NS1_11comp_targetILNS1_3genE3ELNS1_11target_archE908ELNS1_3gpuE7ELNS1_3repE0EEENS1_48merge_mergepath_partition_config_static_selectorELNS0_4arch9wavefront6targetE0EEEvSO_.num_named_barrier, 0
	.set _ZN7rocprim17ROCPRIM_400000_NS6detail17trampoline_kernelINS0_14default_configENS1_38merge_sort_block_merge_config_selectorIjN6thrust23THRUST_200600_302600_NS5tupleIffNS6_9null_typeES8_S8_S8_S8_S8_S8_S8_EEEEZZNS1_27merge_sort_block_merge_implIS3_NS6_6detail15normal_iteratorINS6_10device_ptrIjEEEENSD_INSE_IS9_EEEEjNS1_19radix_merge_compareILb0ELb1EjNS0_19identity_decomposerEEEEE10hipError_tT0_T1_T2_jT3_P12ihipStream_tbPNSt15iterator_traitsISN_E10value_typeEPNST_ISO_E10value_typeEPSP_NS1_7vsmem_tEENKUlT_SN_SO_SP_E_clISG_PjSI_PS9_EESM_S12_SN_SO_SP_EUlS12_E_NS1_11comp_targetILNS1_3genE3ELNS1_11target_archE908ELNS1_3gpuE7ELNS1_3repE0EEENS1_48merge_mergepath_partition_config_static_selectorELNS0_4arch9wavefront6targetE0EEEvSO_.private_seg_size, 0
	.set _ZN7rocprim17ROCPRIM_400000_NS6detail17trampoline_kernelINS0_14default_configENS1_38merge_sort_block_merge_config_selectorIjN6thrust23THRUST_200600_302600_NS5tupleIffNS6_9null_typeES8_S8_S8_S8_S8_S8_S8_EEEEZZNS1_27merge_sort_block_merge_implIS3_NS6_6detail15normal_iteratorINS6_10device_ptrIjEEEENSD_INSE_IS9_EEEEjNS1_19radix_merge_compareILb0ELb1EjNS0_19identity_decomposerEEEEE10hipError_tT0_T1_T2_jT3_P12ihipStream_tbPNSt15iterator_traitsISN_E10value_typeEPNST_ISO_E10value_typeEPSP_NS1_7vsmem_tEENKUlT_SN_SO_SP_E_clISG_PjSI_PS9_EESM_S12_SN_SO_SP_EUlS12_E_NS1_11comp_targetILNS1_3genE3ELNS1_11target_archE908ELNS1_3gpuE7ELNS1_3repE0EEENS1_48merge_mergepath_partition_config_static_selectorELNS0_4arch9wavefront6targetE0EEEvSO_.uses_vcc, 0
	.set _ZN7rocprim17ROCPRIM_400000_NS6detail17trampoline_kernelINS0_14default_configENS1_38merge_sort_block_merge_config_selectorIjN6thrust23THRUST_200600_302600_NS5tupleIffNS6_9null_typeES8_S8_S8_S8_S8_S8_S8_EEEEZZNS1_27merge_sort_block_merge_implIS3_NS6_6detail15normal_iteratorINS6_10device_ptrIjEEEENSD_INSE_IS9_EEEEjNS1_19radix_merge_compareILb0ELb1EjNS0_19identity_decomposerEEEEE10hipError_tT0_T1_T2_jT3_P12ihipStream_tbPNSt15iterator_traitsISN_E10value_typeEPNST_ISO_E10value_typeEPSP_NS1_7vsmem_tEENKUlT_SN_SO_SP_E_clISG_PjSI_PS9_EESM_S12_SN_SO_SP_EUlS12_E_NS1_11comp_targetILNS1_3genE3ELNS1_11target_archE908ELNS1_3gpuE7ELNS1_3repE0EEENS1_48merge_mergepath_partition_config_static_selectorELNS0_4arch9wavefront6targetE0EEEvSO_.uses_flat_scratch, 0
	.set _ZN7rocprim17ROCPRIM_400000_NS6detail17trampoline_kernelINS0_14default_configENS1_38merge_sort_block_merge_config_selectorIjN6thrust23THRUST_200600_302600_NS5tupleIffNS6_9null_typeES8_S8_S8_S8_S8_S8_S8_EEEEZZNS1_27merge_sort_block_merge_implIS3_NS6_6detail15normal_iteratorINS6_10device_ptrIjEEEENSD_INSE_IS9_EEEEjNS1_19radix_merge_compareILb0ELb1EjNS0_19identity_decomposerEEEEE10hipError_tT0_T1_T2_jT3_P12ihipStream_tbPNSt15iterator_traitsISN_E10value_typeEPNST_ISO_E10value_typeEPSP_NS1_7vsmem_tEENKUlT_SN_SO_SP_E_clISG_PjSI_PS9_EESM_S12_SN_SO_SP_EUlS12_E_NS1_11comp_targetILNS1_3genE3ELNS1_11target_archE908ELNS1_3gpuE7ELNS1_3repE0EEENS1_48merge_mergepath_partition_config_static_selectorELNS0_4arch9wavefront6targetE0EEEvSO_.has_dyn_sized_stack, 0
	.set _ZN7rocprim17ROCPRIM_400000_NS6detail17trampoline_kernelINS0_14default_configENS1_38merge_sort_block_merge_config_selectorIjN6thrust23THRUST_200600_302600_NS5tupleIffNS6_9null_typeES8_S8_S8_S8_S8_S8_S8_EEEEZZNS1_27merge_sort_block_merge_implIS3_NS6_6detail15normal_iteratorINS6_10device_ptrIjEEEENSD_INSE_IS9_EEEEjNS1_19radix_merge_compareILb0ELb1EjNS0_19identity_decomposerEEEEE10hipError_tT0_T1_T2_jT3_P12ihipStream_tbPNSt15iterator_traitsISN_E10value_typeEPNST_ISO_E10value_typeEPSP_NS1_7vsmem_tEENKUlT_SN_SO_SP_E_clISG_PjSI_PS9_EESM_S12_SN_SO_SP_EUlS12_E_NS1_11comp_targetILNS1_3genE3ELNS1_11target_archE908ELNS1_3gpuE7ELNS1_3repE0EEENS1_48merge_mergepath_partition_config_static_selectorELNS0_4arch9wavefront6targetE0EEEvSO_.has_recursion, 0
	.set _ZN7rocprim17ROCPRIM_400000_NS6detail17trampoline_kernelINS0_14default_configENS1_38merge_sort_block_merge_config_selectorIjN6thrust23THRUST_200600_302600_NS5tupleIffNS6_9null_typeES8_S8_S8_S8_S8_S8_S8_EEEEZZNS1_27merge_sort_block_merge_implIS3_NS6_6detail15normal_iteratorINS6_10device_ptrIjEEEENSD_INSE_IS9_EEEEjNS1_19radix_merge_compareILb0ELb1EjNS0_19identity_decomposerEEEEE10hipError_tT0_T1_T2_jT3_P12ihipStream_tbPNSt15iterator_traitsISN_E10value_typeEPNST_ISO_E10value_typeEPSP_NS1_7vsmem_tEENKUlT_SN_SO_SP_E_clISG_PjSI_PS9_EESM_S12_SN_SO_SP_EUlS12_E_NS1_11comp_targetILNS1_3genE3ELNS1_11target_archE908ELNS1_3gpuE7ELNS1_3repE0EEENS1_48merge_mergepath_partition_config_static_selectorELNS0_4arch9wavefront6targetE0EEEvSO_.has_indirect_call, 0
	.section	.AMDGPU.csdata,"",@progbits
; Kernel info:
; codeLenInByte = 0
; TotalNumSgprs: 0
; NumVgprs: 0
; ScratchSize: 0
; MemoryBound: 0
; FloatMode: 240
; IeeeMode: 1
; LDSByteSize: 0 bytes/workgroup (compile time only)
; SGPRBlocks: 0
; VGPRBlocks: 0
; NumSGPRsForWavesPerEU: 1
; NumVGPRsForWavesPerEU: 1
; Occupancy: 16
; WaveLimiterHint : 0
; COMPUTE_PGM_RSRC2:SCRATCH_EN: 0
; COMPUTE_PGM_RSRC2:USER_SGPR: 2
; COMPUTE_PGM_RSRC2:TRAP_HANDLER: 0
; COMPUTE_PGM_RSRC2:TGID_X_EN: 1
; COMPUTE_PGM_RSRC2:TGID_Y_EN: 0
; COMPUTE_PGM_RSRC2:TGID_Z_EN: 0
; COMPUTE_PGM_RSRC2:TIDIG_COMP_CNT: 0
	.section	.text._ZN7rocprim17ROCPRIM_400000_NS6detail17trampoline_kernelINS0_14default_configENS1_38merge_sort_block_merge_config_selectorIjN6thrust23THRUST_200600_302600_NS5tupleIffNS6_9null_typeES8_S8_S8_S8_S8_S8_S8_EEEEZZNS1_27merge_sort_block_merge_implIS3_NS6_6detail15normal_iteratorINS6_10device_ptrIjEEEENSD_INSE_IS9_EEEEjNS1_19radix_merge_compareILb0ELb1EjNS0_19identity_decomposerEEEEE10hipError_tT0_T1_T2_jT3_P12ihipStream_tbPNSt15iterator_traitsISN_E10value_typeEPNST_ISO_E10value_typeEPSP_NS1_7vsmem_tEENKUlT_SN_SO_SP_E_clISG_PjSI_PS9_EESM_S12_SN_SO_SP_EUlS12_E_NS1_11comp_targetILNS1_3genE2ELNS1_11target_archE906ELNS1_3gpuE6ELNS1_3repE0EEENS1_48merge_mergepath_partition_config_static_selectorELNS0_4arch9wavefront6targetE0EEEvSO_,"axG",@progbits,_ZN7rocprim17ROCPRIM_400000_NS6detail17trampoline_kernelINS0_14default_configENS1_38merge_sort_block_merge_config_selectorIjN6thrust23THRUST_200600_302600_NS5tupleIffNS6_9null_typeES8_S8_S8_S8_S8_S8_S8_EEEEZZNS1_27merge_sort_block_merge_implIS3_NS6_6detail15normal_iteratorINS6_10device_ptrIjEEEENSD_INSE_IS9_EEEEjNS1_19radix_merge_compareILb0ELb1EjNS0_19identity_decomposerEEEEE10hipError_tT0_T1_T2_jT3_P12ihipStream_tbPNSt15iterator_traitsISN_E10value_typeEPNST_ISO_E10value_typeEPSP_NS1_7vsmem_tEENKUlT_SN_SO_SP_E_clISG_PjSI_PS9_EESM_S12_SN_SO_SP_EUlS12_E_NS1_11comp_targetILNS1_3genE2ELNS1_11target_archE906ELNS1_3gpuE6ELNS1_3repE0EEENS1_48merge_mergepath_partition_config_static_selectorELNS0_4arch9wavefront6targetE0EEEvSO_,comdat
	.protected	_ZN7rocprim17ROCPRIM_400000_NS6detail17trampoline_kernelINS0_14default_configENS1_38merge_sort_block_merge_config_selectorIjN6thrust23THRUST_200600_302600_NS5tupleIffNS6_9null_typeES8_S8_S8_S8_S8_S8_S8_EEEEZZNS1_27merge_sort_block_merge_implIS3_NS6_6detail15normal_iteratorINS6_10device_ptrIjEEEENSD_INSE_IS9_EEEEjNS1_19radix_merge_compareILb0ELb1EjNS0_19identity_decomposerEEEEE10hipError_tT0_T1_T2_jT3_P12ihipStream_tbPNSt15iterator_traitsISN_E10value_typeEPNST_ISO_E10value_typeEPSP_NS1_7vsmem_tEENKUlT_SN_SO_SP_E_clISG_PjSI_PS9_EESM_S12_SN_SO_SP_EUlS12_E_NS1_11comp_targetILNS1_3genE2ELNS1_11target_archE906ELNS1_3gpuE6ELNS1_3repE0EEENS1_48merge_mergepath_partition_config_static_selectorELNS0_4arch9wavefront6targetE0EEEvSO_ ; -- Begin function _ZN7rocprim17ROCPRIM_400000_NS6detail17trampoline_kernelINS0_14default_configENS1_38merge_sort_block_merge_config_selectorIjN6thrust23THRUST_200600_302600_NS5tupleIffNS6_9null_typeES8_S8_S8_S8_S8_S8_S8_EEEEZZNS1_27merge_sort_block_merge_implIS3_NS6_6detail15normal_iteratorINS6_10device_ptrIjEEEENSD_INSE_IS9_EEEEjNS1_19radix_merge_compareILb0ELb1EjNS0_19identity_decomposerEEEEE10hipError_tT0_T1_T2_jT3_P12ihipStream_tbPNSt15iterator_traitsISN_E10value_typeEPNST_ISO_E10value_typeEPSP_NS1_7vsmem_tEENKUlT_SN_SO_SP_E_clISG_PjSI_PS9_EESM_S12_SN_SO_SP_EUlS12_E_NS1_11comp_targetILNS1_3genE2ELNS1_11target_archE906ELNS1_3gpuE6ELNS1_3repE0EEENS1_48merge_mergepath_partition_config_static_selectorELNS0_4arch9wavefront6targetE0EEEvSO_
	.globl	_ZN7rocprim17ROCPRIM_400000_NS6detail17trampoline_kernelINS0_14default_configENS1_38merge_sort_block_merge_config_selectorIjN6thrust23THRUST_200600_302600_NS5tupleIffNS6_9null_typeES8_S8_S8_S8_S8_S8_S8_EEEEZZNS1_27merge_sort_block_merge_implIS3_NS6_6detail15normal_iteratorINS6_10device_ptrIjEEEENSD_INSE_IS9_EEEEjNS1_19radix_merge_compareILb0ELb1EjNS0_19identity_decomposerEEEEE10hipError_tT0_T1_T2_jT3_P12ihipStream_tbPNSt15iterator_traitsISN_E10value_typeEPNST_ISO_E10value_typeEPSP_NS1_7vsmem_tEENKUlT_SN_SO_SP_E_clISG_PjSI_PS9_EESM_S12_SN_SO_SP_EUlS12_E_NS1_11comp_targetILNS1_3genE2ELNS1_11target_archE906ELNS1_3gpuE6ELNS1_3repE0EEENS1_48merge_mergepath_partition_config_static_selectorELNS0_4arch9wavefront6targetE0EEEvSO_
	.p2align	8
	.type	_ZN7rocprim17ROCPRIM_400000_NS6detail17trampoline_kernelINS0_14default_configENS1_38merge_sort_block_merge_config_selectorIjN6thrust23THRUST_200600_302600_NS5tupleIffNS6_9null_typeES8_S8_S8_S8_S8_S8_S8_EEEEZZNS1_27merge_sort_block_merge_implIS3_NS6_6detail15normal_iteratorINS6_10device_ptrIjEEEENSD_INSE_IS9_EEEEjNS1_19radix_merge_compareILb0ELb1EjNS0_19identity_decomposerEEEEE10hipError_tT0_T1_T2_jT3_P12ihipStream_tbPNSt15iterator_traitsISN_E10value_typeEPNST_ISO_E10value_typeEPSP_NS1_7vsmem_tEENKUlT_SN_SO_SP_E_clISG_PjSI_PS9_EESM_S12_SN_SO_SP_EUlS12_E_NS1_11comp_targetILNS1_3genE2ELNS1_11target_archE906ELNS1_3gpuE6ELNS1_3repE0EEENS1_48merge_mergepath_partition_config_static_selectorELNS0_4arch9wavefront6targetE0EEEvSO_,@function
_ZN7rocprim17ROCPRIM_400000_NS6detail17trampoline_kernelINS0_14default_configENS1_38merge_sort_block_merge_config_selectorIjN6thrust23THRUST_200600_302600_NS5tupleIffNS6_9null_typeES8_S8_S8_S8_S8_S8_S8_EEEEZZNS1_27merge_sort_block_merge_implIS3_NS6_6detail15normal_iteratorINS6_10device_ptrIjEEEENSD_INSE_IS9_EEEEjNS1_19radix_merge_compareILb0ELb1EjNS0_19identity_decomposerEEEEE10hipError_tT0_T1_T2_jT3_P12ihipStream_tbPNSt15iterator_traitsISN_E10value_typeEPNST_ISO_E10value_typeEPSP_NS1_7vsmem_tEENKUlT_SN_SO_SP_E_clISG_PjSI_PS9_EESM_S12_SN_SO_SP_EUlS12_E_NS1_11comp_targetILNS1_3genE2ELNS1_11target_archE906ELNS1_3gpuE6ELNS1_3repE0EEENS1_48merge_mergepath_partition_config_static_selectorELNS0_4arch9wavefront6targetE0EEEvSO_: ; @_ZN7rocprim17ROCPRIM_400000_NS6detail17trampoline_kernelINS0_14default_configENS1_38merge_sort_block_merge_config_selectorIjN6thrust23THRUST_200600_302600_NS5tupleIffNS6_9null_typeES8_S8_S8_S8_S8_S8_S8_EEEEZZNS1_27merge_sort_block_merge_implIS3_NS6_6detail15normal_iteratorINS6_10device_ptrIjEEEENSD_INSE_IS9_EEEEjNS1_19radix_merge_compareILb0ELb1EjNS0_19identity_decomposerEEEEE10hipError_tT0_T1_T2_jT3_P12ihipStream_tbPNSt15iterator_traitsISN_E10value_typeEPNST_ISO_E10value_typeEPSP_NS1_7vsmem_tEENKUlT_SN_SO_SP_E_clISG_PjSI_PS9_EESM_S12_SN_SO_SP_EUlS12_E_NS1_11comp_targetILNS1_3genE2ELNS1_11target_archE906ELNS1_3gpuE6ELNS1_3repE0EEENS1_48merge_mergepath_partition_config_static_selectorELNS0_4arch9wavefront6targetE0EEEvSO_
; %bb.0:
	.section	.rodata,"a",@progbits
	.p2align	6, 0x0
	.amdhsa_kernel _ZN7rocprim17ROCPRIM_400000_NS6detail17trampoline_kernelINS0_14default_configENS1_38merge_sort_block_merge_config_selectorIjN6thrust23THRUST_200600_302600_NS5tupleIffNS6_9null_typeES8_S8_S8_S8_S8_S8_S8_EEEEZZNS1_27merge_sort_block_merge_implIS3_NS6_6detail15normal_iteratorINS6_10device_ptrIjEEEENSD_INSE_IS9_EEEEjNS1_19radix_merge_compareILb0ELb1EjNS0_19identity_decomposerEEEEE10hipError_tT0_T1_T2_jT3_P12ihipStream_tbPNSt15iterator_traitsISN_E10value_typeEPNST_ISO_E10value_typeEPSP_NS1_7vsmem_tEENKUlT_SN_SO_SP_E_clISG_PjSI_PS9_EESM_S12_SN_SO_SP_EUlS12_E_NS1_11comp_targetILNS1_3genE2ELNS1_11target_archE906ELNS1_3gpuE6ELNS1_3repE0EEENS1_48merge_mergepath_partition_config_static_selectorELNS0_4arch9wavefront6targetE0EEEvSO_
		.amdhsa_group_segment_fixed_size 0
		.amdhsa_private_segment_fixed_size 0
		.amdhsa_kernarg_size 40
		.amdhsa_user_sgpr_count 2
		.amdhsa_user_sgpr_dispatch_ptr 0
		.amdhsa_user_sgpr_queue_ptr 0
		.amdhsa_user_sgpr_kernarg_segment_ptr 1
		.amdhsa_user_sgpr_dispatch_id 0
		.amdhsa_user_sgpr_private_segment_size 0
		.amdhsa_wavefront_size32 1
		.amdhsa_uses_dynamic_stack 0
		.amdhsa_enable_private_segment 0
		.amdhsa_system_sgpr_workgroup_id_x 1
		.amdhsa_system_sgpr_workgroup_id_y 0
		.amdhsa_system_sgpr_workgroup_id_z 0
		.amdhsa_system_sgpr_workgroup_info 0
		.amdhsa_system_vgpr_workitem_id 0
		.amdhsa_next_free_vgpr 1
		.amdhsa_next_free_sgpr 1
		.amdhsa_reserve_vcc 0
		.amdhsa_float_round_mode_32 0
		.amdhsa_float_round_mode_16_64 0
		.amdhsa_float_denorm_mode_32 3
		.amdhsa_float_denorm_mode_16_64 3
		.amdhsa_fp16_overflow 0
		.amdhsa_workgroup_processor_mode 1
		.amdhsa_memory_ordered 1
		.amdhsa_forward_progress 1
		.amdhsa_inst_pref_size 0
		.amdhsa_round_robin_scheduling 0
		.amdhsa_exception_fp_ieee_invalid_op 0
		.amdhsa_exception_fp_denorm_src 0
		.amdhsa_exception_fp_ieee_div_zero 0
		.amdhsa_exception_fp_ieee_overflow 0
		.amdhsa_exception_fp_ieee_underflow 0
		.amdhsa_exception_fp_ieee_inexact 0
		.amdhsa_exception_int_div_zero 0
	.end_amdhsa_kernel
	.section	.text._ZN7rocprim17ROCPRIM_400000_NS6detail17trampoline_kernelINS0_14default_configENS1_38merge_sort_block_merge_config_selectorIjN6thrust23THRUST_200600_302600_NS5tupleIffNS6_9null_typeES8_S8_S8_S8_S8_S8_S8_EEEEZZNS1_27merge_sort_block_merge_implIS3_NS6_6detail15normal_iteratorINS6_10device_ptrIjEEEENSD_INSE_IS9_EEEEjNS1_19radix_merge_compareILb0ELb1EjNS0_19identity_decomposerEEEEE10hipError_tT0_T1_T2_jT3_P12ihipStream_tbPNSt15iterator_traitsISN_E10value_typeEPNST_ISO_E10value_typeEPSP_NS1_7vsmem_tEENKUlT_SN_SO_SP_E_clISG_PjSI_PS9_EESM_S12_SN_SO_SP_EUlS12_E_NS1_11comp_targetILNS1_3genE2ELNS1_11target_archE906ELNS1_3gpuE6ELNS1_3repE0EEENS1_48merge_mergepath_partition_config_static_selectorELNS0_4arch9wavefront6targetE0EEEvSO_,"axG",@progbits,_ZN7rocprim17ROCPRIM_400000_NS6detail17trampoline_kernelINS0_14default_configENS1_38merge_sort_block_merge_config_selectorIjN6thrust23THRUST_200600_302600_NS5tupleIffNS6_9null_typeES8_S8_S8_S8_S8_S8_S8_EEEEZZNS1_27merge_sort_block_merge_implIS3_NS6_6detail15normal_iteratorINS6_10device_ptrIjEEEENSD_INSE_IS9_EEEEjNS1_19radix_merge_compareILb0ELb1EjNS0_19identity_decomposerEEEEE10hipError_tT0_T1_T2_jT3_P12ihipStream_tbPNSt15iterator_traitsISN_E10value_typeEPNST_ISO_E10value_typeEPSP_NS1_7vsmem_tEENKUlT_SN_SO_SP_E_clISG_PjSI_PS9_EESM_S12_SN_SO_SP_EUlS12_E_NS1_11comp_targetILNS1_3genE2ELNS1_11target_archE906ELNS1_3gpuE6ELNS1_3repE0EEENS1_48merge_mergepath_partition_config_static_selectorELNS0_4arch9wavefront6targetE0EEEvSO_,comdat
.Lfunc_end120:
	.size	_ZN7rocprim17ROCPRIM_400000_NS6detail17trampoline_kernelINS0_14default_configENS1_38merge_sort_block_merge_config_selectorIjN6thrust23THRUST_200600_302600_NS5tupleIffNS6_9null_typeES8_S8_S8_S8_S8_S8_S8_EEEEZZNS1_27merge_sort_block_merge_implIS3_NS6_6detail15normal_iteratorINS6_10device_ptrIjEEEENSD_INSE_IS9_EEEEjNS1_19radix_merge_compareILb0ELb1EjNS0_19identity_decomposerEEEEE10hipError_tT0_T1_T2_jT3_P12ihipStream_tbPNSt15iterator_traitsISN_E10value_typeEPNST_ISO_E10value_typeEPSP_NS1_7vsmem_tEENKUlT_SN_SO_SP_E_clISG_PjSI_PS9_EESM_S12_SN_SO_SP_EUlS12_E_NS1_11comp_targetILNS1_3genE2ELNS1_11target_archE906ELNS1_3gpuE6ELNS1_3repE0EEENS1_48merge_mergepath_partition_config_static_selectorELNS0_4arch9wavefront6targetE0EEEvSO_, .Lfunc_end120-_ZN7rocprim17ROCPRIM_400000_NS6detail17trampoline_kernelINS0_14default_configENS1_38merge_sort_block_merge_config_selectorIjN6thrust23THRUST_200600_302600_NS5tupleIffNS6_9null_typeES8_S8_S8_S8_S8_S8_S8_EEEEZZNS1_27merge_sort_block_merge_implIS3_NS6_6detail15normal_iteratorINS6_10device_ptrIjEEEENSD_INSE_IS9_EEEEjNS1_19radix_merge_compareILb0ELb1EjNS0_19identity_decomposerEEEEE10hipError_tT0_T1_T2_jT3_P12ihipStream_tbPNSt15iterator_traitsISN_E10value_typeEPNST_ISO_E10value_typeEPSP_NS1_7vsmem_tEENKUlT_SN_SO_SP_E_clISG_PjSI_PS9_EESM_S12_SN_SO_SP_EUlS12_E_NS1_11comp_targetILNS1_3genE2ELNS1_11target_archE906ELNS1_3gpuE6ELNS1_3repE0EEENS1_48merge_mergepath_partition_config_static_selectorELNS0_4arch9wavefront6targetE0EEEvSO_
                                        ; -- End function
	.set _ZN7rocprim17ROCPRIM_400000_NS6detail17trampoline_kernelINS0_14default_configENS1_38merge_sort_block_merge_config_selectorIjN6thrust23THRUST_200600_302600_NS5tupleIffNS6_9null_typeES8_S8_S8_S8_S8_S8_S8_EEEEZZNS1_27merge_sort_block_merge_implIS3_NS6_6detail15normal_iteratorINS6_10device_ptrIjEEEENSD_INSE_IS9_EEEEjNS1_19radix_merge_compareILb0ELb1EjNS0_19identity_decomposerEEEEE10hipError_tT0_T1_T2_jT3_P12ihipStream_tbPNSt15iterator_traitsISN_E10value_typeEPNST_ISO_E10value_typeEPSP_NS1_7vsmem_tEENKUlT_SN_SO_SP_E_clISG_PjSI_PS9_EESM_S12_SN_SO_SP_EUlS12_E_NS1_11comp_targetILNS1_3genE2ELNS1_11target_archE906ELNS1_3gpuE6ELNS1_3repE0EEENS1_48merge_mergepath_partition_config_static_selectorELNS0_4arch9wavefront6targetE0EEEvSO_.num_vgpr, 0
	.set _ZN7rocprim17ROCPRIM_400000_NS6detail17trampoline_kernelINS0_14default_configENS1_38merge_sort_block_merge_config_selectorIjN6thrust23THRUST_200600_302600_NS5tupleIffNS6_9null_typeES8_S8_S8_S8_S8_S8_S8_EEEEZZNS1_27merge_sort_block_merge_implIS3_NS6_6detail15normal_iteratorINS6_10device_ptrIjEEEENSD_INSE_IS9_EEEEjNS1_19radix_merge_compareILb0ELb1EjNS0_19identity_decomposerEEEEE10hipError_tT0_T1_T2_jT3_P12ihipStream_tbPNSt15iterator_traitsISN_E10value_typeEPNST_ISO_E10value_typeEPSP_NS1_7vsmem_tEENKUlT_SN_SO_SP_E_clISG_PjSI_PS9_EESM_S12_SN_SO_SP_EUlS12_E_NS1_11comp_targetILNS1_3genE2ELNS1_11target_archE906ELNS1_3gpuE6ELNS1_3repE0EEENS1_48merge_mergepath_partition_config_static_selectorELNS0_4arch9wavefront6targetE0EEEvSO_.num_agpr, 0
	.set _ZN7rocprim17ROCPRIM_400000_NS6detail17trampoline_kernelINS0_14default_configENS1_38merge_sort_block_merge_config_selectorIjN6thrust23THRUST_200600_302600_NS5tupleIffNS6_9null_typeES8_S8_S8_S8_S8_S8_S8_EEEEZZNS1_27merge_sort_block_merge_implIS3_NS6_6detail15normal_iteratorINS6_10device_ptrIjEEEENSD_INSE_IS9_EEEEjNS1_19radix_merge_compareILb0ELb1EjNS0_19identity_decomposerEEEEE10hipError_tT0_T1_T2_jT3_P12ihipStream_tbPNSt15iterator_traitsISN_E10value_typeEPNST_ISO_E10value_typeEPSP_NS1_7vsmem_tEENKUlT_SN_SO_SP_E_clISG_PjSI_PS9_EESM_S12_SN_SO_SP_EUlS12_E_NS1_11comp_targetILNS1_3genE2ELNS1_11target_archE906ELNS1_3gpuE6ELNS1_3repE0EEENS1_48merge_mergepath_partition_config_static_selectorELNS0_4arch9wavefront6targetE0EEEvSO_.numbered_sgpr, 0
	.set _ZN7rocprim17ROCPRIM_400000_NS6detail17trampoline_kernelINS0_14default_configENS1_38merge_sort_block_merge_config_selectorIjN6thrust23THRUST_200600_302600_NS5tupleIffNS6_9null_typeES8_S8_S8_S8_S8_S8_S8_EEEEZZNS1_27merge_sort_block_merge_implIS3_NS6_6detail15normal_iteratorINS6_10device_ptrIjEEEENSD_INSE_IS9_EEEEjNS1_19radix_merge_compareILb0ELb1EjNS0_19identity_decomposerEEEEE10hipError_tT0_T1_T2_jT3_P12ihipStream_tbPNSt15iterator_traitsISN_E10value_typeEPNST_ISO_E10value_typeEPSP_NS1_7vsmem_tEENKUlT_SN_SO_SP_E_clISG_PjSI_PS9_EESM_S12_SN_SO_SP_EUlS12_E_NS1_11comp_targetILNS1_3genE2ELNS1_11target_archE906ELNS1_3gpuE6ELNS1_3repE0EEENS1_48merge_mergepath_partition_config_static_selectorELNS0_4arch9wavefront6targetE0EEEvSO_.num_named_barrier, 0
	.set _ZN7rocprim17ROCPRIM_400000_NS6detail17trampoline_kernelINS0_14default_configENS1_38merge_sort_block_merge_config_selectorIjN6thrust23THRUST_200600_302600_NS5tupleIffNS6_9null_typeES8_S8_S8_S8_S8_S8_S8_EEEEZZNS1_27merge_sort_block_merge_implIS3_NS6_6detail15normal_iteratorINS6_10device_ptrIjEEEENSD_INSE_IS9_EEEEjNS1_19radix_merge_compareILb0ELb1EjNS0_19identity_decomposerEEEEE10hipError_tT0_T1_T2_jT3_P12ihipStream_tbPNSt15iterator_traitsISN_E10value_typeEPNST_ISO_E10value_typeEPSP_NS1_7vsmem_tEENKUlT_SN_SO_SP_E_clISG_PjSI_PS9_EESM_S12_SN_SO_SP_EUlS12_E_NS1_11comp_targetILNS1_3genE2ELNS1_11target_archE906ELNS1_3gpuE6ELNS1_3repE0EEENS1_48merge_mergepath_partition_config_static_selectorELNS0_4arch9wavefront6targetE0EEEvSO_.private_seg_size, 0
	.set _ZN7rocprim17ROCPRIM_400000_NS6detail17trampoline_kernelINS0_14default_configENS1_38merge_sort_block_merge_config_selectorIjN6thrust23THRUST_200600_302600_NS5tupleIffNS6_9null_typeES8_S8_S8_S8_S8_S8_S8_EEEEZZNS1_27merge_sort_block_merge_implIS3_NS6_6detail15normal_iteratorINS6_10device_ptrIjEEEENSD_INSE_IS9_EEEEjNS1_19radix_merge_compareILb0ELb1EjNS0_19identity_decomposerEEEEE10hipError_tT0_T1_T2_jT3_P12ihipStream_tbPNSt15iterator_traitsISN_E10value_typeEPNST_ISO_E10value_typeEPSP_NS1_7vsmem_tEENKUlT_SN_SO_SP_E_clISG_PjSI_PS9_EESM_S12_SN_SO_SP_EUlS12_E_NS1_11comp_targetILNS1_3genE2ELNS1_11target_archE906ELNS1_3gpuE6ELNS1_3repE0EEENS1_48merge_mergepath_partition_config_static_selectorELNS0_4arch9wavefront6targetE0EEEvSO_.uses_vcc, 0
	.set _ZN7rocprim17ROCPRIM_400000_NS6detail17trampoline_kernelINS0_14default_configENS1_38merge_sort_block_merge_config_selectorIjN6thrust23THRUST_200600_302600_NS5tupleIffNS6_9null_typeES8_S8_S8_S8_S8_S8_S8_EEEEZZNS1_27merge_sort_block_merge_implIS3_NS6_6detail15normal_iteratorINS6_10device_ptrIjEEEENSD_INSE_IS9_EEEEjNS1_19radix_merge_compareILb0ELb1EjNS0_19identity_decomposerEEEEE10hipError_tT0_T1_T2_jT3_P12ihipStream_tbPNSt15iterator_traitsISN_E10value_typeEPNST_ISO_E10value_typeEPSP_NS1_7vsmem_tEENKUlT_SN_SO_SP_E_clISG_PjSI_PS9_EESM_S12_SN_SO_SP_EUlS12_E_NS1_11comp_targetILNS1_3genE2ELNS1_11target_archE906ELNS1_3gpuE6ELNS1_3repE0EEENS1_48merge_mergepath_partition_config_static_selectorELNS0_4arch9wavefront6targetE0EEEvSO_.uses_flat_scratch, 0
	.set _ZN7rocprim17ROCPRIM_400000_NS6detail17trampoline_kernelINS0_14default_configENS1_38merge_sort_block_merge_config_selectorIjN6thrust23THRUST_200600_302600_NS5tupleIffNS6_9null_typeES8_S8_S8_S8_S8_S8_S8_EEEEZZNS1_27merge_sort_block_merge_implIS3_NS6_6detail15normal_iteratorINS6_10device_ptrIjEEEENSD_INSE_IS9_EEEEjNS1_19radix_merge_compareILb0ELb1EjNS0_19identity_decomposerEEEEE10hipError_tT0_T1_T2_jT3_P12ihipStream_tbPNSt15iterator_traitsISN_E10value_typeEPNST_ISO_E10value_typeEPSP_NS1_7vsmem_tEENKUlT_SN_SO_SP_E_clISG_PjSI_PS9_EESM_S12_SN_SO_SP_EUlS12_E_NS1_11comp_targetILNS1_3genE2ELNS1_11target_archE906ELNS1_3gpuE6ELNS1_3repE0EEENS1_48merge_mergepath_partition_config_static_selectorELNS0_4arch9wavefront6targetE0EEEvSO_.has_dyn_sized_stack, 0
	.set _ZN7rocprim17ROCPRIM_400000_NS6detail17trampoline_kernelINS0_14default_configENS1_38merge_sort_block_merge_config_selectorIjN6thrust23THRUST_200600_302600_NS5tupleIffNS6_9null_typeES8_S8_S8_S8_S8_S8_S8_EEEEZZNS1_27merge_sort_block_merge_implIS3_NS6_6detail15normal_iteratorINS6_10device_ptrIjEEEENSD_INSE_IS9_EEEEjNS1_19radix_merge_compareILb0ELb1EjNS0_19identity_decomposerEEEEE10hipError_tT0_T1_T2_jT3_P12ihipStream_tbPNSt15iterator_traitsISN_E10value_typeEPNST_ISO_E10value_typeEPSP_NS1_7vsmem_tEENKUlT_SN_SO_SP_E_clISG_PjSI_PS9_EESM_S12_SN_SO_SP_EUlS12_E_NS1_11comp_targetILNS1_3genE2ELNS1_11target_archE906ELNS1_3gpuE6ELNS1_3repE0EEENS1_48merge_mergepath_partition_config_static_selectorELNS0_4arch9wavefront6targetE0EEEvSO_.has_recursion, 0
	.set _ZN7rocprim17ROCPRIM_400000_NS6detail17trampoline_kernelINS0_14default_configENS1_38merge_sort_block_merge_config_selectorIjN6thrust23THRUST_200600_302600_NS5tupleIffNS6_9null_typeES8_S8_S8_S8_S8_S8_S8_EEEEZZNS1_27merge_sort_block_merge_implIS3_NS6_6detail15normal_iteratorINS6_10device_ptrIjEEEENSD_INSE_IS9_EEEEjNS1_19radix_merge_compareILb0ELb1EjNS0_19identity_decomposerEEEEE10hipError_tT0_T1_T2_jT3_P12ihipStream_tbPNSt15iterator_traitsISN_E10value_typeEPNST_ISO_E10value_typeEPSP_NS1_7vsmem_tEENKUlT_SN_SO_SP_E_clISG_PjSI_PS9_EESM_S12_SN_SO_SP_EUlS12_E_NS1_11comp_targetILNS1_3genE2ELNS1_11target_archE906ELNS1_3gpuE6ELNS1_3repE0EEENS1_48merge_mergepath_partition_config_static_selectorELNS0_4arch9wavefront6targetE0EEEvSO_.has_indirect_call, 0
	.section	.AMDGPU.csdata,"",@progbits
; Kernel info:
; codeLenInByte = 0
; TotalNumSgprs: 0
; NumVgprs: 0
; ScratchSize: 0
; MemoryBound: 0
; FloatMode: 240
; IeeeMode: 1
; LDSByteSize: 0 bytes/workgroup (compile time only)
; SGPRBlocks: 0
; VGPRBlocks: 0
; NumSGPRsForWavesPerEU: 1
; NumVGPRsForWavesPerEU: 1
; Occupancy: 16
; WaveLimiterHint : 0
; COMPUTE_PGM_RSRC2:SCRATCH_EN: 0
; COMPUTE_PGM_RSRC2:USER_SGPR: 2
; COMPUTE_PGM_RSRC2:TRAP_HANDLER: 0
; COMPUTE_PGM_RSRC2:TGID_X_EN: 1
; COMPUTE_PGM_RSRC2:TGID_Y_EN: 0
; COMPUTE_PGM_RSRC2:TGID_Z_EN: 0
; COMPUTE_PGM_RSRC2:TIDIG_COMP_CNT: 0
	.section	.text._ZN7rocprim17ROCPRIM_400000_NS6detail17trampoline_kernelINS0_14default_configENS1_38merge_sort_block_merge_config_selectorIjN6thrust23THRUST_200600_302600_NS5tupleIffNS6_9null_typeES8_S8_S8_S8_S8_S8_S8_EEEEZZNS1_27merge_sort_block_merge_implIS3_NS6_6detail15normal_iteratorINS6_10device_ptrIjEEEENSD_INSE_IS9_EEEEjNS1_19radix_merge_compareILb0ELb1EjNS0_19identity_decomposerEEEEE10hipError_tT0_T1_T2_jT3_P12ihipStream_tbPNSt15iterator_traitsISN_E10value_typeEPNST_ISO_E10value_typeEPSP_NS1_7vsmem_tEENKUlT_SN_SO_SP_E_clISG_PjSI_PS9_EESM_S12_SN_SO_SP_EUlS12_E_NS1_11comp_targetILNS1_3genE9ELNS1_11target_archE1100ELNS1_3gpuE3ELNS1_3repE0EEENS1_48merge_mergepath_partition_config_static_selectorELNS0_4arch9wavefront6targetE0EEEvSO_,"axG",@progbits,_ZN7rocprim17ROCPRIM_400000_NS6detail17trampoline_kernelINS0_14default_configENS1_38merge_sort_block_merge_config_selectorIjN6thrust23THRUST_200600_302600_NS5tupleIffNS6_9null_typeES8_S8_S8_S8_S8_S8_S8_EEEEZZNS1_27merge_sort_block_merge_implIS3_NS6_6detail15normal_iteratorINS6_10device_ptrIjEEEENSD_INSE_IS9_EEEEjNS1_19radix_merge_compareILb0ELb1EjNS0_19identity_decomposerEEEEE10hipError_tT0_T1_T2_jT3_P12ihipStream_tbPNSt15iterator_traitsISN_E10value_typeEPNST_ISO_E10value_typeEPSP_NS1_7vsmem_tEENKUlT_SN_SO_SP_E_clISG_PjSI_PS9_EESM_S12_SN_SO_SP_EUlS12_E_NS1_11comp_targetILNS1_3genE9ELNS1_11target_archE1100ELNS1_3gpuE3ELNS1_3repE0EEENS1_48merge_mergepath_partition_config_static_selectorELNS0_4arch9wavefront6targetE0EEEvSO_,comdat
	.protected	_ZN7rocprim17ROCPRIM_400000_NS6detail17trampoline_kernelINS0_14default_configENS1_38merge_sort_block_merge_config_selectorIjN6thrust23THRUST_200600_302600_NS5tupleIffNS6_9null_typeES8_S8_S8_S8_S8_S8_S8_EEEEZZNS1_27merge_sort_block_merge_implIS3_NS6_6detail15normal_iteratorINS6_10device_ptrIjEEEENSD_INSE_IS9_EEEEjNS1_19radix_merge_compareILb0ELb1EjNS0_19identity_decomposerEEEEE10hipError_tT0_T1_T2_jT3_P12ihipStream_tbPNSt15iterator_traitsISN_E10value_typeEPNST_ISO_E10value_typeEPSP_NS1_7vsmem_tEENKUlT_SN_SO_SP_E_clISG_PjSI_PS9_EESM_S12_SN_SO_SP_EUlS12_E_NS1_11comp_targetILNS1_3genE9ELNS1_11target_archE1100ELNS1_3gpuE3ELNS1_3repE0EEENS1_48merge_mergepath_partition_config_static_selectorELNS0_4arch9wavefront6targetE0EEEvSO_ ; -- Begin function _ZN7rocprim17ROCPRIM_400000_NS6detail17trampoline_kernelINS0_14default_configENS1_38merge_sort_block_merge_config_selectorIjN6thrust23THRUST_200600_302600_NS5tupleIffNS6_9null_typeES8_S8_S8_S8_S8_S8_S8_EEEEZZNS1_27merge_sort_block_merge_implIS3_NS6_6detail15normal_iteratorINS6_10device_ptrIjEEEENSD_INSE_IS9_EEEEjNS1_19radix_merge_compareILb0ELb1EjNS0_19identity_decomposerEEEEE10hipError_tT0_T1_T2_jT3_P12ihipStream_tbPNSt15iterator_traitsISN_E10value_typeEPNST_ISO_E10value_typeEPSP_NS1_7vsmem_tEENKUlT_SN_SO_SP_E_clISG_PjSI_PS9_EESM_S12_SN_SO_SP_EUlS12_E_NS1_11comp_targetILNS1_3genE9ELNS1_11target_archE1100ELNS1_3gpuE3ELNS1_3repE0EEENS1_48merge_mergepath_partition_config_static_selectorELNS0_4arch9wavefront6targetE0EEEvSO_
	.globl	_ZN7rocprim17ROCPRIM_400000_NS6detail17trampoline_kernelINS0_14default_configENS1_38merge_sort_block_merge_config_selectorIjN6thrust23THRUST_200600_302600_NS5tupleIffNS6_9null_typeES8_S8_S8_S8_S8_S8_S8_EEEEZZNS1_27merge_sort_block_merge_implIS3_NS6_6detail15normal_iteratorINS6_10device_ptrIjEEEENSD_INSE_IS9_EEEEjNS1_19radix_merge_compareILb0ELb1EjNS0_19identity_decomposerEEEEE10hipError_tT0_T1_T2_jT3_P12ihipStream_tbPNSt15iterator_traitsISN_E10value_typeEPNST_ISO_E10value_typeEPSP_NS1_7vsmem_tEENKUlT_SN_SO_SP_E_clISG_PjSI_PS9_EESM_S12_SN_SO_SP_EUlS12_E_NS1_11comp_targetILNS1_3genE9ELNS1_11target_archE1100ELNS1_3gpuE3ELNS1_3repE0EEENS1_48merge_mergepath_partition_config_static_selectorELNS0_4arch9wavefront6targetE0EEEvSO_
	.p2align	8
	.type	_ZN7rocprim17ROCPRIM_400000_NS6detail17trampoline_kernelINS0_14default_configENS1_38merge_sort_block_merge_config_selectorIjN6thrust23THRUST_200600_302600_NS5tupleIffNS6_9null_typeES8_S8_S8_S8_S8_S8_S8_EEEEZZNS1_27merge_sort_block_merge_implIS3_NS6_6detail15normal_iteratorINS6_10device_ptrIjEEEENSD_INSE_IS9_EEEEjNS1_19radix_merge_compareILb0ELb1EjNS0_19identity_decomposerEEEEE10hipError_tT0_T1_T2_jT3_P12ihipStream_tbPNSt15iterator_traitsISN_E10value_typeEPNST_ISO_E10value_typeEPSP_NS1_7vsmem_tEENKUlT_SN_SO_SP_E_clISG_PjSI_PS9_EESM_S12_SN_SO_SP_EUlS12_E_NS1_11comp_targetILNS1_3genE9ELNS1_11target_archE1100ELNS1_3gpuE3ELNS1_3repE0EEENS1_48merge_mergepath_partition_config_static_selectorELNS0_4arch9wavefront6targetE0EEEvSO_,@function
_ZN7rocprim17ROCPRIM_400000_NS6detail17trampoline_kernelINS0_14default_configENS1_38merge_sort_block_merge_config_selectorIjN6thrust23THRUST_200600_302600_NS5tupleIffNS6_9null_typeES8_S8_S8_S8_S8_S8_S8_EEEEZZNS1_27merge_sort_block_merge_implIS3_NS6_6detail15normal_iteratorINS6_10device_ptrIjEEEENSD_INSE_IS9_EEEEjNS1_19radix_merge_compareILb0ELb1EjNS0_19identity_decomposerEEEEE10hipError_tT0_T1_T2_jT3_P12ihipStream_tbPNSt15iterator_traitsISN_E10value_typeEPNST_ISO_E10value_typeEPSP_NS1_7vsmem_tEENKUlT_SN_SO_SP_E_clISG_PjSI_PS9_EESM_S12_SN_SO_SP_EUlS12_E_NS1_11comp_targetILNS1_3genE9ELNS1_11target_archE1100ELNS1_3gpuE3ELNS1_3repE0EEENS1_48merge_mergepath_partition_config_static_selectorELNS0_4arch9wavefront6targetE0EEEvSO_: ; @_ZN7rocprim17ROCPRIM_400000_NS6detail17trampoline_kernelINS0_14default_configENS1_38merge_sort_block_merge_config_selectorIjN6thrust23THRUST_200600_302600_NS5tupleIffNS6_9null_typeES8_S8_S8_S8_S8_S8_S8_EEEEZZNS1_27merge_sort_block_merge_implIS3_NS6_6detail15normal_iteratorINS6_10device_ptrIjEEEENSD_INSE_IS9_EEEEjNS1_19radix_merge_compareILb0ELb1EjNS0_19identity_decomposerEEEEE10hipError_tT0_T1_T2_jT3_P12ihipStream_tbPNSt15iterator_traitsISN_E10value_typeEPNST_ISO_E10value_typeEPSP_NS1_7vsmem_tEENKUlT_SN_SO_SP_E_clISG_PjSI_PS9_EESM_S12_SN_SO_SP_EUlS12_E_NS1_11comp_targetILNS1_3genE9ELNS1_11target_archE1100ELNS1_3gpuE3ELNS1_3repE0EEENS1_48merge_mergepath_partition_config_static_selectorELNS0_4arch9wavefront6targetE0EEEvSO_
; %bb.0:
	.section	.rodata,"a",@progbits
	.p2align	6, 0x0
	.amdhsa_kernel _ZN7rocprim17ROCPRIM_400000_NS6detail17trampoline_kernelINS0_14default_configENS1_38merge_sort_block_merge_config_selectorIjN6thrust23THRUST_200600_302600_NS5tupleIffNS6_9null_typeES8_S8_S8_S8_S8_S8_S8_EEEEZZNS1_27merge_sort_block_merge_implIS3_NS6_6detail15normal_iteratorINS6_10device_ptrIjEEEENSD_INSE_IS9_EEEEjNS1_19radix_merge_compareILb0ELb1EjNS0_19identity_decomposerEEEEE10hipError_tT0_T1_T2_jT3_P12ihipStream_tbPNSt15iterator_traitsISN_E10value_typeEPNST_ISO_E10value_typeEPSP_NS1_7vsmem_tEENKUlT_SN_SO_SP_E_clISG_PjSI_PS9_EESM_S12_SN_SO_SP_EUlS12_E_NS1_11comp_targetILNS1_3genE9ELNS1_11target_archE1100ELNS1_3gpuE3ELNS1_3repE0EEENS1_48merge_mergepath_partition_config_static_selectorELNS0_4arch9wavefront6targetE0EEEvSO_
		.amdhsa_group_segment_fixed_size 0
		.amdhsa_private_segment_fixed_size 0
		.amdhsa_kernarg_size 40
		.amdhsa_user_sgpr_count 2
		.amdhsa_user_sgpr_dispatch_ptr 0
		.amdhsa_user_sgpr_queue_ptr 0
		.amdhsa_user_sgpr_kernarg_segment_ptr 1
		.amdhsa_user_sgpr_dispatch_id 0
		.amdhsa_user_sgpr_private_segment_size 0
		.amdhsa_wavefront_size32 1
		.amdhsa_uses_dynamic_stack 0
		.amdhsa_enable_private_segment 0
		.amdhsa_system_sgpr_workgroup_id_x 1
		.amdhsa_system_sgpr_workgroup_id_y 0
		.amdhsa_system_sgpr_workgroup_id_z 0
		.amdhsa_system_sgpr_workgroup_info 0
		.amdhsa_system_vgpr_workitem_id 0
		.amdhsa_next_free_vgpr 1
		.amdhsa_next_free_sgpr 1
		.amdhsa_reserve_vcc 0
		.amdhsa_float_round_mode_32 0
		.amdhsa_float_round_mode_16_64 0
		.amdhsa_float_denorm_mode_32 3
		.amdhsa_float_denorm_mode_16_64 3
		.amdhsa_fp16_overflow 0
		.amdhsa_workgroup_processor_mode 1
		.amdhsa_memory_ordered 1
		.amdhsa_forward_progress 1
		.amdhsa_inst_pref_size 0
		.amdhsa_round_robin_scheduling 0
		.amdhsa_exception_fp_ieee_invalid_op 0
		.amdhsa_exception_fp_denorm_src 0
		.amdhsa_exception_fp_ieee_div_zero 0
		.amdhsa_exception_fp_ieee_overflow 0
		.amdhsa_exception_fp_ieee_underflow 0
		.amdhsa_exception_fp_ieee_inexact 0
		.amdhsa_exception_int_div_zero 0
	.end_amdhsa_kernel
	.section	.text._ZN7rocprim17ROCPRIM_400000_NS6detail17trampoline_kernelINS0_14default_configENS1_38merge_sort_block_merge_config_selectorIjN6thrust23THRUST_200600_302600_NS5tupleIffNS6_9null_typeES8_S8_S8_S8_S8_S8_S8_EEEEZZNS1_27merge_sort_block_merge_implIS3_NS6_6detail15normal_iteratorINS6_10device_ptrIjEEEENSD_INSE_IS9_EEEEjNS1_19radix_merge_compareILb0ELb1EjNS0_19identity_decomposerEEEEE10hipError_tT0_T1_T2_jT3_P12ihipStream_tbPNSt15iterator_traitsISN_E10value_typeEPNST_ISO_E10value_typeEPSP_NS1_7vsmem_tEENKUlT_SN_SO_SP_E_clISG_PjSI_PS9_EESM_S12_SN_SO_SP_EUlS12_E_NS1_11comp_targetILNS1_3genE9ELNS1_11target_archE1100ELNS1_3gpuE3ELNS1_3repE0EEENS1_48merge_mergepath_partition_config_static_selectorELNS0_4arch9wavefront6targetE0EEEvSO_,"axG",@progbits,_ZN7rocprim17ROCPRIM_400000_NS6detail17trampoline_kernelINS0_14default_configENS1_38merge_sort_block_merge_config_selectorIjN6thrust23THRUST_200600_302600_NS5tupleIffNS6_9null_typeES8_S8_S8_S8_S8_S8_S8_EEEEZZNS1_27merge_sort_block_merge_implIS3_NS6_6detail15normal_iteratorINS6_10device_ptrIjEEEENSD_INSE_IS9_EEEEjNS1_19radix_merge_compareILb0ELb1EjNS0_19identity_decomposerEEEEE10hipError_tT0_T1_T2_jT3_P12ihipStream_tbPNSt15iterator_traitsISN_E10value_typeEPNST_ISO_E10value_typeEPSP_NS1_7vsmem_tEENKUlT_SN_SO_SP_E_clISG_PjSI_PS9_EESM_S12_SN_SO_SP_EUlS12_E_NS1_11comp_targetILNS1_3genE9ELNS1_11target_archE1100ELNS1_3gpuE3ELNS1_3repE0EEENS1_48merge_mergepath_partition_config_static_selectorELNS0_4arch9wavefront6targetE0EEEvSO_,comdat
.Lfunc_end121:
	.size	_ZN7rocprim17ROCPRIM_400000_NS6detail17trampoline_kernelINS0_14default_configENS1_38merge_sort_block_merge_config_selectorIjN6thrust23THRUST_200600_302600_NS5tupleIffNS6_9null_typeES8_S8_S8_S8_S8_S8_S8_EEEEZZNS1_27merge_sort_block_merge_implIS3_NS6_6detail15normal_iteratorINS6_10device_ptrIjEEEENSD_INSE_IS9_EEEEjNS1_19radix_merge_compareILb0ELb1EjNS0_19identity_decomposerEEEEE10hipError_tT0_T1_T2_jT3_P12ihipStream_tbPNSt15iterator_traitsISN_E10value_typeEPNST_ISO_E10value_typeEPSP_NS1_7vsmem_tEENKUlT_SN_SO_SP_E_clISG_PjSI_PS9_EESM_S12_SN_SO_SP_EUlS12_E_NS1_11comp_targetILNS1_3genE9ELNS1_11target_archE1100ELNS1_3gpuE3ELNS1_3repE0EEENS1_48merge_mergepath_partition_config_static_selectorELNS0_4arch9wavefront6targetE0EEEvSO_, .Lfunc_end121-_ZN7rocprim17ROCPRIM_400000_NS6detail17trampoline_kernelINS0_14default_configENS1_38merge_sort_block_merge_config_selectorIjN6thrust23THRUST_200600_302600_NS5tupleIffNS6_9null_typeES8_S8_S8_S8_S8_S8_S8_EEEEZZNS1_27merge_sort_block_merge_implIS3_NS6_6detail15normal_iteratorINS6_10device_ptrIjEEEENSD_INSE_IS9_EEEEjNS1_19radix_merge_compareILb0ELb1EjNS0_19identity_decomposerEEEEE10hipError_tT0_T1_T2_jT3_P12ihipStream_tbPNSt15iterator_traitsISN_E10value_typeEPNST_ISO_E10value_typeEPSP_NS1_7vsmem_tEENKUlT_SN_SO_SP_E_clISG_PjSI_PS9_EESM_S12_SN_SO_SP_EUlS12_E_NS1_11comp_targetILNS1_3genE9ELNS1_11target_archE1100ELNS1_3gpuE3ELNS1_3repE0EEENS1_48merge_mergepath_partition_config_static_selectorELNS0_4arch9wavefront6targetE0EEEvSO_
                                        ; -- End function
	.set _ZN7rocprim17ROCPRIM_400000_NS6detail17trampoline_kernelINS0_14default_configENS1_38merge_sort_block_merge_config_selectorIjN6thrust23THRUST_200600_302600_NS5tupleIffNS6_9null_typeES8_S8_S8_S8_S8_S8_S8_EEEEZZNS1_27merge_sort_block_merge_implIS3_NS6_6detail15normal_iteratorINS6_10device_ptrIjEEEENSD_INSE_IS9_EEEEjNS1_19radix_merge_compareILb0ELb1EjNS0_19identity_decomposerEEEEE10hipError_tT0_T1_T2_jT3_P12ihipStream_tbPNSt15iterator_traitsISN_E10value_typeEPNST_ISO_E10value_typeEPSP_NS1_7vsmem_tEENKUlT_SN_SO_SP_E_clISG_PjSI_PS9_EESM_S12_SN_SO_SP_EUlS12_E_NS1_11comp_targetILNS1_3genE9ELNS1_11target_archE1100ELNS1_3gpuE3ELNS1_3repE0EEENS1_48merge_mergepath_partition_config_static_selectorELNS0_4arch9wavefront6targetE0EEEvSO_.num_vgpr, 0
	.set _ZN7rocprim17ROCPRIM_400000_NS6detail17trampoline_kernelINS0_14default_configENS1_38merge_sort_block_merge_config_selectorIjN6thrust23THRUST_200600_302600_NS5tupleIffNS6_9null_typeES8_S8_S8_S8_S8_S8_S8_EEEEZZNS1_27merge_sort_block_merge_implIS3_NS6_6detail15normal_iteratorINS6_10device_ptrIjEEEENSD_INSE_IS9_EEEEjNS1_19radix_merge_compareILb0ELb1EjNS0_19identity_decomposerEEEEE10hipError_tT0_T1_T2_jT3_P12ihipStream_tbPNSt15iterator_traitsISN_E10value_typeEPNST_ISO_E10value_typeEPSP_NS1_7vsmem_tEENKUlT_SN_SO_SP_E_clISG_PjSI_PS9_EESM_S12_SN_SO_SP_EUlS12_E_NS1_11comp_targetILNS1_3genE9ELNS1_11target_archE1100ELNS1_3gpuE3ELNS1_3repE0EEENS1_48merge_mergepath_partition_config_static_selectorELNS0_4arch9wavefront6targetE0EEEvSO_.num_agpr, 0
	.set _ZN7rocprim17ROCPRIM_400000_NS6detail17trampoline_kernelINS0_14default_configENS1_38merge_sort_block_merge_config_selectorIjN6thrust23THRUST_200600_302600_NS5tupleIffNS6_9null_typeES8_S8_S8_S8_S8_S8_S8_EEEEZZNS1_27merge_sort_block_merge_implIS3_NS6_6detail15normal_iteratorINS6_10device_ptrIjEEEENSD_INSE_IS9_EEEEjNS1_19radix_merge_compareILb0ELb1EjNS0_19identity_decomposerEEEEE10hipError_tT0_T1_T2_jT3_P12ihipStream_tbPNSt15iterator_traitsISN_E10value_typeEPNST_ISO_E10value_typeEPSP_NS1_7vsmem_tEENKUlT_SN_SO_SP_E_clISG_PjSI_PS9_EESM_S12_SN_SO_SP_EUlS12_E_NS1_11comp_targetILNS1_3genE9ELNS1_11target_archE1100ELNS1_3gpuE3ELNS1_3repE0EEENS1_48merge_mergepath_partition_config_static_selectorELNS0_4arch9wavefront6targetE0EEEvSO_.numbered_sgpr, 0
	.set _ZN7rocprim17ROCPRIM_400000_NS6detail17trampoline_kernelINS0_14default_configENS1_38merge_sort_block_merge_config_selectorIjN6thrust23THRUST_200600_302600_NS5tupleIffNS6_9null_typeES8_S8_S8_S8_S8_S8_S8_EEEEZZNS1_27merge_sort_block_merge_implIS3_NS6_6detail15normal_iteratorINS6_10device_ptrIjEEEENSD_INSE_IS9_EEEEjNS1_19radix_merge_compareILb0ELb1EjNS0_19identity_decomposerEEEEE10hipError_tT0_T1_T2_jT3_P12ihipStream_tbPNSt15iterator_traitsISN_E10value_typeEPNST_ISO_E10value_typeEPSP_NS1_7vsmem_tEENKUlT_SN_SO_SP_E_clISG_PjSI_PS9_EESM_S12_SN_SO_SP_EUlS12_E_NS1_11comp_targetILNS1_3genE9ELNS1_11target_archE1100ELNS1_3gpuE3ELNS1_3repE0EEENS1_48merge_mergepath_partition_config_static_selectorELNS0_4arch9wavefront6targetE0EEEvSO_.num_named_barrier, 0
	.set _ZN7rocprim17ROCPRIM_400000_NS6detail17trampoline_kernelINS0_14default_configENS1_38merge_sort_block_merge_config_selectorIjN6thrust23THRUST_200600_302600_NS5tupleIffNS6_9null_typeES8_S8_S8_S8_S8_S8_S8_EEEEZZNS1_27merge_sort_block_merge_implIS3_NS6_6detail15normal_iteratorINS6_10device_ptrIjEEEENSD_INSE_IS9_EEEEjNS1_19radix_merge_compareILb0ELb1EjNS0_19identity_decomposerEEEEE10hipError_tT0_T1_T2_jT3_P12ihipStream_tbPNSt15iterator_traitsISN_E10value_typeEPNST_ISO_E10value_typeEPSP_NS1_7vsmem_tEENKUlT_SN_SO_SP_E_clISG_PjSI_PS9_EESM_S12_SN_SO_SP_EUlS12_E_NS1_11comp_targetILNS1_3genE9ELNS1_11target_archE1100ELNS1_3gpuE3ELNS1_3repE0EEENS1_48merge_mergepath_partition_config_static_selectorELNS0_4arch9wavefront6targetE0EEEvSO_.private_seg_size, 0
	.set _ZN7rocprim17ROCPRIM_400000_NS6detail17trampoline_kernelINS0_14default_configENS1_38merge_sort_block_merge_config_selectorIjN6thrust23THRUST_200600_302600_NS5tupleIffNS6_9null_typeES8_S8_S8_S8_S8_S8_S8_EEEEZZNS1_27merge_sort_block_merge_implIS3_NS6_6detail15normal_iteratorINS6_10device_ptrIjEEEENSD_INSE_IS9_EEEEjNS1_19radix_merge_compareILb0ELb1EjNS0_19identity_decomposerEEEEE10hipError_tT0_T1_T2_jT3_P12ihipStream_tbPNSt15iterator_traitsISN_E10value_typeEPNST_ISO_E10value_typeEPSP_NS1_7vsmem_tEENKUlT_SN_SO_SP_E_clISG_PjSI_PS9_EESM_S12_SN_SO_SP_EUlS12_E_NS1_11comp_targetILNS1_3genE9ELNS1_11target_archE1100ELNS1_3gpuE3ELNS1_3repE0EEENS1_48merge_mergepath_partition_config_static_selectorELNS0_4arch9wavefront6targetE0EEEvSO_.uses_vcc, 0
	.set _ZN7rocprim17ROCPRIM_400000_NS6detail17trampoline_kernelINS0_14default_configENS1_38merge_sort_block_merge_config_selectorIjN6thrust23THRUST_200600_302600_NS5tupleIffNS6_9null_typeES8_S8_S8_S8_S8_S8_S8_EEEEZZNS1_27merge_sort_block_merge_implIS3_NS6_6detail15normal_iteratorINS6_10device_ptrIjEEEENSD_INSE_IS9_EEEEjNS1_19radix_merge_compareILb0ELb1EjNS0_19identity_decomposerEEEEE10hipError_tT0_T1_T2_jT3_P12ihipStream_tbPNSt15iterator_traitsISN_E10value_typeEPNST_ISO_E10value_typeEPSP_NS1_7vsmem_tEENKUlT_SN_SO_SP_E_clISG_PjSI_PS9_EESM_S12_SN_SO_SP_EUlS12_E_NS1_11comp_targetILNS1_3genE9ELNS1_11target_archE1100ELNS1_3gpuE3ELNS1_3repE0EEENS1_48merge_mergepath_partition_config_static_selectorELNS0_4arch9wavefront6targetE0EEEvSO_.uses_flat_scratch, 0
	.set _ZN7rocprim17ROCPRIM_400000_NS6detail17trampoline_kernelINS0_14default_configENS1_38merge_sort_block_merge_config_selectorIjN6thrust23THRUST_200600_302600_NS5tupleIffNS6_9null_typeES8_S8_S8_S8_S8_S8_S8_EEEEZZNS1_27merge_sort_block_merge_implIS3_NS6_6detail15normal_iteratorINS6_10device_ptrIjEEEENSD_INSE_IS9_EEEEjNS1_19radix_merge_compareILb0ELb1EjNS0_19identity_decomposerEEEEE10hipError_tT0_T1_T2_jT3_P12ihipStream_tbPNSt15iterator_traitsISN_E10value_typeEPNST_ISO_E10value_typeEPSP_NS1_7vsmem_tEENKUlT_SN_SO_SP_E_clISG_PjSI_PS9_EESM_S12_SN_SO_SP_EUlS12_E_NS1_11comp_targetILNS1_3genE9ELNS1_11target_archE1100ELNS1_3gpuE3ELNS1_3repE0EEENS1_48merge_mergepath_partition_config_static_selectorELNS0_4arch9wavefront6targetE0EEEvSO_.has_dyn_sized_stack, 0
	.set _ZN7rocprim17ROCPRIM_400000_NS6detail17trampoline_kernelINS0_14default_configENS1_38merge_sort_block_merge_config_selectorIjN6thrust23THRUST_200600_302600_NS5tupleIffNS6_9null_typeES8_S8_S8_S8_S8_S8_S8_EEEEZZNS1_27merge_sort_block_merge_implIS3_NS6_6detail15normal_iteratorINS6_10device_ptrIjEEEENSD_INSE_IS9_EEEEjNS1_19radix_merge_compareILb0ELb1EjNS0_19identity_decomposerEEEEE10hipError_tT0_T1_T2_jT3_P12ihipStream_tbPNSt15iterator_traitsISN_E10value_typeEPNST_ISO_E10value_typeEPSP_NS1_7vsmem_tEENKUlT_SN_SO_SP_E_clISG_PjSI_PS9_EESM_S12_SN_SO_SP_EUlS12_E_NS1_11comp_targetILNS1_3genE9ELNS1_11target_archE1100ELNS1_3gpuE3ELNS1_3repE0EEENS1_48merge_mergepath_partition_config_static_selectorELNS0_4arch9wavefront6targetE0EEEvSO_.has_recursion, 0
	.set _ZN7rocprim17ROCPRIM_400000_NS6detail17trampoline_kernelINS0_14default_configENS1_38merge_sort_block_merge_config_selectorIjN6thrust23THRUST_200600_302600_NS5tupleIffNS6_9null_typeES8_S8_S8_S8_S8_S8_S8_EEEEZZNS1_27merge_sort_block_merge_implIS3_NS6_6detail15normal_iteratorINS6_10device_ptrIjEEEENSD_INSE_IS9_EEEEjNS1_19radix_merge_compareILb0ELb1EjNS0_19identity_decomposerEEEEE10hipError_tT0_T1_T2_jT3_P12ihipStream_tbPNSt15iterator_traitsISN_E10value_typeEPNST_ISO_E10value_typeEPSP_NS1_7vsmem_tEENKUlT_SN_SO_SP_E_clISG_PjSI_PS9_EESM_S12_SN_SO_SP_EUlS12_E_NS1_11comp_targetILNS1_3genE9ELNS1_11target_archE1100ELNS1_3gpuE3ELNS1_3repE0EEENS1_48merge_mergepath_partition_config_static_selectorELNS0_4arch9wavefront6targetE0EEEvSO_.has_indirect_call, 0
	.section	.AMDGPU.csdata,"",@progbits
; Kernel info:
; codeLenInByte = 0
; TotalNumSgprs: 0
; NumVgprs: 0
; ScratchSize: 0
; MemoryBound: 0
; FloatMode: 240
; IeeeMode: 1
; LDSByteSize: 0 bytes/workgroup (compile time only)
; SGPRBlocks: 0
; VGPRBlocks: 0
; NumSGPRsForWavesPerEU: 1
; NumVGPRsForWavesPerEU: 1
; Occupancy: 16
; WaveLimiterHint : 0
; COMPUTE_PGM_RSRC2:SCRATCH_EN: 0
; COMPUTE_PGM_RSRC2:USER_SGPR: 2
; COMPUTE_PGM_RSRC2:TRAP_HANDLER: 0
; COMPUTE_PGM_RSRC2:TGID_X_EN: 1
; COMPUTE_PGM_RSRC2:TGID_Y_EN: 0
; COMPUTE_PGM_RSRC2:TGID_Z_EN: 0
; COMPUTE_PGM_RSRC2:TIDIG_COMP_CNT: 0
	.section	.text._ZN7rocprim17ROCPRIM_400000_NS6detail17trampoline_kernelINS0_14default_configENS1_38merge_sort_block_merge_config_selectorIjN6thrust23THRUST_200600_302600_NS5tupleIffNS6_9null_typeES8_S8_S8_S8_S8_S8_S8_EEEEZZNS1_27merge_sort_block_merge_implIS3_NS6_6detail15normal_iteratorINS6_10device_ptrIjEEEENSD_INSE_IS9_EEEEjNS1_19radix_merge_compareILb0ELb1EjNS0_19identity_decomposerEEEEE10hipError_tT0_T1_T2_jT3_P12ihipStream_tbPNSt15iterator_traitsISN_E10value_typeEPNST_ISO_E10value_typeEPSP_NS1_7vsmem_tEENKUlT_SN_SO_SP_E_clISG_PjSI_PS9_EESM_S12_SN_SO_SP_EUlS12_E_NS1_11comp_targetILNS1_3genE8ELNS1_11target_archE1030ELNS1_3gpuE2ELNS1_3repE0EEENS1_48merge_mergepath_partition_config_static_selectorELNS0_4arch9wavefront6targetE0EEEvSO_,"axG",@progbits,_ZN7rocprim17ROCPRIM_400000_NS6detail17trampoline_kernelINS0_14default_configENS1_38merge_sort_block_merge_config_selectorIjN6thrust23THRUST_200600_302600_NS5tupleIffNS6_9null_typeES8_S8_S8_S8_S8_S8_S8_EEEEZZNS1_27merge_sort_block_merge_implIS3_NS6_6detail15normal_iteratorINS6_10device_ptrIjEEEENSD_INSE_IS9_EEEEjNS1_19radix_merge_compareILb0ELb1EjNS0_19identity_decomposerEEEEE10hipError_tT0_T1_T2_jT3_P12ihipStream_tbPNSt15iterator_traitsISN_E10value_typeEPNST_ISO_E10value_typeEPSP_NS1_7vsmem_tEENKUlT_SN_SO_SP_E_clISG_PjSI_PS9_EESM_S12_SN_SO_SP_EUlS12_E_NS1_11comp_targetILNS1_3genE8ELNS1_11target_archE1030ELNS1_3gpuE2ELNS1_3repE0EEENS1_48merge_mergepath_partition_config_static_selectorELNS0_4arch9wavefront6targetE0EEEvSO_,comdat
	.protected	_ZN7rocprim17ROCPRIM_400000_NS6detail17trampoline_kernelINS0_14default_configENS1_38merge_sort_block_merge_config_selectorIjN6thrust23THRUST_200600_302600_NS5tupleIffNS6_9null_typeES8_S8_S8_S8_S8_S8_S8_EEEEZZNS1_27merge_sort_block_merge_implIS3_NS6_6detail15normal_iteratorINS6_10device_ptrIjEEEENSD_INSE_IS9_EEEEjNS1_19radix_merge_compareILb0ELb1EjNS0_19identity_decomposerEEEEE10hipError_tT0_T1_T2_jT3_P12ihipStream_tbPNSt15iterator_traitsISN_E10value_typeEPNST_ISO_E10value_typeEPSP_NS1_7vsmem_tEENKUlT_SN_SO_SP_E_clISG_PjSI_PS9_EESM_S12_SN_SO_SP_EUlS12_E_NS1_11comp_targetILNS1_3genE8ELNS1_11target_archE1030ELNS1_3gpuE2ELNS1_3repE0EEENS1_48merge_mergepath_partition_config_static_selectorELNS0_4arch9wavefront6targetE0EEEvSO_ ; -- Begin function _ZN7rocprim17ROCPRIM_400000_NS6detail17trampoline_kernelINS0_14default_configENS1_38merge_sort_block_merge_config_selectorIjN6thrust23THRUST_200600_302600_NS5tupleIffNS6_9null_typeES8_S8_S8_S8_S8_S8_S8_EEEEZZNS1_27merge_sort_block_merge_implIS3_NS6_6detail15normal_iteratorINS6_10device_ptrIjEEEENSD_INSE_IS9_EEEEjNS1_19radix_merge_compareILb0ELb1EjNS0_19identity_decomposerEEEEE10hipError_tT0_T1_T2_jT3_P12ihipStream_tbPNSt15iterator_traitsISN_E10value_typeEPNST_ISO_E10value_typeEPSP_NS1_7vsmem_tEENKUlT_SN_SO_SP_E_clISG_PjSI_PS9_EESM_S12_SN_SO_SP_EUlS12_E_NS1_11comp_targetILNS1_3genE8ELNS1_11target_archE1030ELNS1_3gpuE2ELNS1_3repE0EEENS1_48merge_mergepath_partition_config_static_selectorELNS0_4arch9wavefront6targetE0EEEvSO_
	.globl	_ZN7rocprim17ROCPRIM_400000_NS6detail17trampoline_kernelINS0_14default_configENS1_38merge_sort_block_merge_config_selectorIjN6thrust23THRUST_200600_302600_NS5tupleIffNS6_9null_typeES8_S8_S8_S8_S8_S8_S8_EEEEZZNS1_27merge_sort_block_merge_implIS3_NS6_6detail15normal_iteratorINS6_10device_ptrIjEEEENSD_INSE_IS9_EEEEjNS1_19radix_merge_compareILb0ELb1EjNS0_19identity_decomposerEEEEE10hipError_tT0_T1_T2_jT3_P12ihipStream_tbPNSt15iterator_traitsISN_E10value_typeEPNST_ISO_E10value_typeEPSP_NS1_7vsmem_tEENKUlT_SN_SO_SP_E_clISG_PjSI_PS9_EESM_S12_SN_SO_SP_EUlS12_E_NS1_11comp_targetILNS1_3genE8ELNS1_11target_archE1030ELNS1_3gpuE2ELNS1_3repE0EEENS1_48merge_mergepath_partition_config_static_selectorELNS0_4arch9wavefront6targetE0EEEvSO_
	.p2align	8
	.type	_ZN7rocprim17ROCPRIM_400000_NS6detail17trampoline_kernelINS0_14default_configENS1_38merge_sort_block_merge_config_selectorIjN6thrust23THRUST_200600_302600_NS5tupleIffNS6_9null_typeES8_S8_S8_S8_S8_S8_S8_EEEEZZNS1_27merge_sort_block_merge_implIS3_NS6_6detail15normal_iteratorINS6_10device_ptrIjEEEENSD_INSE_IS9_EEEEjNS1_19radix_merge_compareILb0ELb1EjNS0_19identity_decomposerEEEEE10hipError_tT0_T1_T2_jT3_P12ihipStream_tbPNSt15iterator_traitsISN_E10value_typeEPNST_ISO_E10value_typeEPSP_NS1_7vsmem_tEENKUlT_SN_SO_SP_E_clISG_PjSI_PS9_EESM_S12_SN_SO_SP_EUlS12_E_NS1_11comp_targetILNS1_3genE8ELNS1_11target_archE1030ELNS1_3gpuE2ELNS1_3repE0EEENS1_48merge_mergepath_partition_config_static_selectorELNS0_4arch9wavefront6targetE0EEEvSO_,@function
_ZN7rocprim17ROCPRIM_400000_NS6detail17trampoline_kernelINS0_14default_configENS1_38merge_sort_block_merge_config_selectorIjN6thrust23THRUST_200600_302600_NS5tupleIffNS6_9null_typeES8_S8_S8_S8_S8_S8_S8_EEEEZZNS1_27merge_sort_block_merge_implIS3_NS6_6detail15normal_iteratorINS6_10device_ptrIjEEEENSD_INSE_IS9_EEEEjNS1_19radix_merge_compareILb0ELb1EjNS0_19identity_decomposerEEEEE10hipError_tT0_T1_T2_jT3_P12ihipStream_tbPNSt15iterator_traitsISN_E10value_typeEPNST_ISO_E10value_typeEPSP_NS1_7vsmem_tEENKUlT_SN_SO_SP_E_clISG_PjSI_PS9_EESM_S12_SN_SO_SP_EUlS12_E_NS1_11comp_targetILNS1_3genE8ELNS1_11target_archE1030ELNS1_3gpuE2ELNS1_3repE0EEENS1_48merge_mergepath_partition_config_static_selectorELNS0_4arch9wavefront6targetE0EEEvSO_: ; @_ZN7rocprim17ROCPRIM_400000_NS6detail17trampoline_kernelINS0_14default_configENS1_38merge_sort_block_merge_config_selectorIjN6thrust23THRUST_200600_302600_NS5tupleIffNS6_9null_typeES8_S8_S8_S8_S8_S8_S8_EEEEZZNS1_27merge_sort_block_merge_implIS3_NS6_6detail15normal_iteratorINS6_10device_ptrIjEEEENSD_INSE_IS9_EEEEjNS1_19radix_merge_compareILb0ELb1EjNS0_19identity_decomposerEEEEE10hipError_tT0_T1_T2_jT3_P12ihipStream_tbPNSt15iterator_traitsISN_E10value_typeEPNST_ISO_E10value_typeEPSP_NS1_7vsmem_tEENKUlT_SN_SO_SP_E_clISG_PjSI_PS9_EESM_S12_SN_SO_SP_EUlS12_E_NS1_11comp_targetILNS1_3genE8ELNS1_11target_archE1030ELNS1_3gpuE2ELNS1_3repE0EEENS1_48merge_mergepath_partition_config_static_selectorELNS0_4arch9wavefront6targetE0EEEvSO_
; %bb.0:
	.section	.rodata,"a",@progbits
	.p2align	6, 0x0
	.amdhsa_kernel _ZN7rocprim17ROCPRIM_400000_NS6detail17trampoline_kernelINS0_14default_configENS1_38merge_sort_block_merge_config_selectorIjN6thrust23THRUST_200600_302600_NS5tupleIffNS6_9null_typeES8_S8_S8_S8_S8_S8_S8_EEEEZZNS1_27merge_sort_block_merge_implIS3_NS6_6detail15normal_iteratorINS6_10device_ptrIjEEEENSD_INSE_IS9_EEEEjNS1_19radix_merge_compareILb0ELb1EjNS0_19identity_decomposerEEEEE10hipError_tT0_T1_T2_jT3_P12ihipStream_tbPNSt15iterator_traitsISN_E10value_typeEPNST_ISO_E10value_typeEPSP_NS1_7vsmem_tEENKUlT_SN_SO_SP_E_clISG_PjSI_PS9_EESM_S12_SN_SO_SP_EUlS12_E_NS1_11comp_targetILNS1_3genE8ELNS1_11target_archE1030ELNS1_3gpuE2ELNS1_3repE0EEENS1_48merge_mergepath_partition_config_static_selectorELNS0_4arch9wavefront6targetE0EEEvSO_
		.amdhsa_group_segment_fixed_size 0
		.amdhsa_private_segment_fixed_size 0
		.amdhsa_kernarg_size 40
		.amdhsa_user_sgpr_count 2
		.amdhsa_user_sgpr_dispatch_ptr 0
		.amdhsa_user_sgpr_queue_ptr 0
		.amdhsa_user_sgpr_kernarg_segment_ptr 1
		.amdhsa_user_sgpr_dispatch_id 0
		.amdhsa_user_sgpr_private_segment_size 0
		.amdhsa_wavefront_size32 1
		.amdhsa_uses_dynamic_stack 0
		.amdhsa_enable_private_segment 0
		.amdhsa_system_sgpr_workgroup_id_x 1
		.amdhsa_system_sgpr_workgroup_id_y 0
		.amdhsa_system_sgpr_workgroup_id_z 0
		.amdhsa_system_sgpr_workgroup_info 0
		.amdhsa_system_vgpr_workitem_id 0
		.amdhsa_next_free_vgpr 1
		.amdhsa_next_free_sgpr 1
		.amdhsa_reserve_vcc 0
		.amdhsa_float_round_mode_32 0
		.amdhsa_float_round_mode_16_64 0
		.amdhsa_float_denorm_mode_32 3
		.amdhsa_float_denorm_mode_16_64 3
		.amdhsa_fp16_overflow 0
		.amdhsa_workgroup_processor_mode 1
		.amdhsa_memory_ordered 1
		.amdhsa_forward_progress 1
		.amdhsa_inst_pref_size 0
		.amdhsa_round_robin_scheduling 0
		.amdhsa_exception_fp_ieee_invalid_op 0
		.amdhsa_exception_fp_denorm_src 0
		.amdhsa_exception_fp_ieee_div_zero 0
		.amdhsa_exception_fp_ieee_overflow 0
		.amdhsa_exception_fp_ieee_underflow 0
		.amdhsa_exception_fp_ieee_inexact 0
		.amdhsa_exception_int_div_zero 0
	.end_amdhsa_kernel
	.section	.text._ZN7rocprim17ROCPRIM_400000_NS6detail17trampoline_kernelINS0_14default_configENS1_38merge_sort_block_merge_config_selectorIjN6thrust23THRUST_200600_302600_NS5tupleIffNS6_9null_typeES8_S8_S8_S8_S8_S8_S8_EEEEZZNS1_27merge_sort_block_merge_implIS3_NS6_6detail15normal_iteratorINS6_10device_ptrIjEEEENSD_INSE_IS9_EEEEjNS1_19radix_merge_compareILb0ELb1EjNS0_19identity_decomposerEEEEE10hipError_tT0_T1_T2_jT3_P12ihipStream_tbPNSt15iterator_traitsISN_E10value_typeEPNST_ISO_E10value_typeEPSP_NS1_7vsmem_tEENKUlT_SN_SO_SP_E_clISG_PjSI_PS9_EESM_S12_SN_SO_SP_EUlS12_E_NS1_11comp_targetILNS1_3genE8ELNS1_11target_archE1030ELNS1_3gpuE2ELNS1_3repE0EEENS1_48merge_mergepath_partition_config_static_selectorELNS0_4arch9wavefront6targetE0EEEvSO_,"axG",@progbits,_ZN7rocprim17ROCPRIM_400000_NS6detail17trampoline_kernelINS0_14default_configENS1_38merge_sort_block_merge_config_selectorIjN6thrust23THRUST_200600_302600_NS5tupleIffNS6_9null_typeES8_S8_S8_S8_S8_S8_S8_EEEEZZNS1_27merge_sort_block_merge_implIS3_NS6_6detail15normal_iteratorINS6_10device_ptrIjEEEENSD_INSE_IS9_EEEEjNS1_19radix_merge_compareILb0ELb1EjNS0_19identity_decomposerEEEEE10hipError_tT0_T1_T2_jT3_P12ihipStream_tbPNSt15iterator_traitsISN_E10value_typeEPNST_ISO_E10value_typeEPSP_NS1_7vsmem_tEENKUlT_SN_SO_SP_E_clISG_PjSI_PS9_EESM_S12_SN_SO_SP_EUlS12_E_NS1_11comp_targetILNS1_3genE8ELNS1_11target_archE1030ELNS1_3gpuE2ELNS1_3repE0EEENS1_48merge_mergepath_partition_config_static_selectorELNS0_4arch9wavefront6targetE0EEEvSO_,comdat
.Lfunc_end122:
	.size	_ZN7rocprim17ROCPRIM_400000_NS6detail17trampoline_kernelINS0_14default_configENS1_38merge_sort_block_merge_config_selectorIjN6thrust23THRUST_200600_302600_NS5tupleIffNS6_9null_typeES8_S8_S8_S8_S8_S8_S8_EEEEZZNS1_27merge_sort_block_merge_implIS3_NS6_6detail15normal_iteratorINS6_10device_ptrIjEEEENSD_INSE_IS9_EEEEjNS1_19radix_merge_compareILb0ELb1EjNS0_19identity_decomposerEEEEE10hipError_tT0_T1_T2_jT3_P12ihipStream_tbPNSt15iterator_traitsISN_E10value_typeEPNST_ISO_E10value_typeEPSP_NS1_7vsmem_tEENKUlT_SN_SO_SP_E_clISG_PjSI_PS9_EESM_S12_SN_SO_SP_EUlS12_E_NS1_11comp_targetILNS1_3genE8ELNS1_11target_archE1030ELNS1_3gpuE2ELNS1_3repE0EEENS1_48merge_mergepath_partition_config_static_selectorELNS0_4arch9wavefront6targetE0EEEvSO_, .Lfunc_end122-_ZN7rocprim17ROCPRIM_400000_NS6detail17trampoline_kernelINS0_14default_configENS1_38merge_sort_block_merge_config_selectorIjN6thrust23THRUST_200600_302600_NS5tupleIffNS6_9null_typeES8_S8_S8_S8_S8_S8_S8_EEEEZZNS1_27merge_sort_block_merge_implIS3_NS6_6detail15normal_iteratorINS6_10device_ptrIjEEEENSD_INSE_IS9_EEEEjNS1_19radix_merge_compareILb0ELb1EjNS0_19identity_decomposerEEEEE10hipError_tT0_T1_T2_jT3_P12ihipStream_tbPNSt15iterator_traitsISN_E10value_typeEPNST_ISO_E10value_typeEPSP_NS1_7vsmem_tEENKUlT_SN_SO_SP_E_clISG_PjSI_PS9_EESM_S12_SN_SO_SP_EUlS12_E_NS1_11comp_targetILNS1_3genE8ELNS1_11target_archE1030ELNS1_3gpuE2ELNS1_3repE0EEENS1_48merge_mergepath_partition_config_static_selectorELNS0_4arch9wavefront6targetE0EEEvSO_
                                        ; -- End function
	.set _ZN7rocprim17ROCPRIM_400000_NS6detail17trampoline_kernelINS0_14default_configENS1_38merge_sort_block_merge_config_selectorIjN6thrust23THRUST_200600_302600_NS5tupleIffNS6_9null_typeES8_S8_S8_S8_S8_S8_S8_EEEEZZNS1_27merge_sort_block_merge_implIS3_NS6_6detail15normal_iteratorINS6_10device_ptrIjEEEENSD_INSE_IS9_EEEEjNS1_19radix_merge_compareILb0ELb1EjNS0_19identity_decomposerEEEEE10hipError_tT0_T1_T2_jT3_P12ihipStream_tbPNSt15iterator_traitsISN_E10value_typeEPNST_ISO_E10value_typeEPSP_NS1_7vsmem_tEENKUlT_SN_SO_SP_E_clISG_PjSI_PS9_EESM_S12_SN_SO_SP_EUlS12_E_NS1_11comp_targetILNS1_3genE8ELNS1_11target_archE1030ELNS1_3gpuE2ELNS1_3repE0EEENS1_48merge_mergepath_partition_config_static_selectorELNS0_4arch9wavefront6targetE0EEEvSO_.num_vgpr, 0
	.set _ZN7rocprim17ROCPRIM_400000_NS6detail17trampoline_kernelINS0_14default_configENS1_38merge_sort_block_merge_config_selectorIjN6thrust23THRUST_200600_302600_NS5tupleIffNS6_9null_typeES8_S8_S8_S8_S8_S8_S8_EEEEZZNS1_27merge_sort_block_merge_implIS3_NS6_6detail15normal_iteratorINS6_10device_ptrIjEEEENSD_INSE_IS9_EEEEjNS1_19radix_merge_compareILb0ELb1EjNS0_19identity_decomposerEEEEE10hipError_tT0_T1_T2_jT3_P12ihipStream_tbPNSt15iterator_traitsISN_E10value_typeEPNST_ISO_E10value_typeEPSP_NS1_7vsmem_tEENKUlT_SN_SO_SP_E_clISG_PjSI_PS9_EESM_S12_SN_SO_SP_EUlS12_E_NS1_11comp_targetILNS1_3genE8ELNS1_11target_archE1030ELNS1_3gpuE2ELNS1_3repE0EEENS1_48merge_mergepath_partition_config_static_selectorELNS0_4arch9wavefront6targetE0EEEvSO_.num_agpr, 0
	.set _ZN7rocprim17ROCPRIM_400000_NS6detail17trampoline_kernelINS0_14default_configENS1_38merge_sort_block_merge_config_selectorIjN6thrust23THRUST_200600_302600_NS5tupleIffNS6_9null_typeES8_S8_S8_S8_S8_S8_S8_EEEEZZNS1_27merge_sort_block_merge_implIS3_NS6_6detail15normal_iteratorINS6_10device_ptrIjEEEENSD_INSE_IS9_EEEEjNS1_19radix_merge_compareILb0ELb1EjNS0_19identity_decomposerEEEEE10hipError_tT0_T1_T2_jT3_P12ihipStream_tbPNSt15iterator_traitsISN_E10value_typeEPNST_ISO_E10value_typeEPSP_NS1_7vsmem_tEENKUlT_SN_SO_SP_E_clISG_PjSI_PS9_EESM_S12_SN_SO_SP_EUlS12_E_NS1_11comp_targetILNS1_3genE8ELNS1_11target_archE1030ELNS1_3gpuE2ELNS1_3repE0EEENS1_48merge_mergepath_partition_config_static_selectorELNS0_4arch9wavefront6targetE0EEEvSO_.numbered_sgpr, 0
	.set _ZN7rocprim17ROCPRIM_400000_NS6detail17trampoline_kernelINS0_14default_configENS1_38merge_sort_block_merge_config_selectorIjN6thrust23THRUST_200600_302600_NS5tupleIffNS6_9null_typeES8_S8_S8_S8_S8_S8_S8_EEEEZZNS1_27merge_sort_block_merge_implIS3_NS6_6detail15normal_iteratorINS6_10device_ptrIjEEEENSD_INSE_IS9_EEEEjNS1_19radix_merge_compareILb0ELb1EjNS0_19identity_decomposerEEEEE10hipError_tT0_T1_T2_jT3_P12ihipStream_tbPNSt15iterator_traitsISN_E10value_typeEPNST_ISO_E10value_typeEPSP_NS1_7vsmem_tEENKUlT_SN_SO_SP_E_clISG_PjSI_PS9_EESM_S12_SN_SO_SP_EUlS12_E_NS1_11comp_targetILNS1_3genE8ELNS1_11target_archE1030ELNS1_3gpuE2ELNS1_3repE0EEENS1_48merge_mergepath_partition_config_static_selectorELNS0_4arch9wavefront6targetE0EEEvSO_.num_named_barrier, 0
	.set _ZN7rocprim17ROCPRIM_400000_NS6detail17trampoline_kernelINS0_14default_configENS1_38merge_sort_block_merge_config_selectorIjN6thrust23THRUST_200600_302600_NS5tupleIffNS6_9null_typeES8_S8_S8_S8_S8_S8_S8_EEEEZZNS1_27merge_sort_block_merge_implIS3_NS6_6detail15normal_iteratorINS6_10device_ptrIjEEEENSD_INSE_IS9_EEEEjNS1_19radix_merge_compareILb0ELb1EjNS0_19identity_decomposerEEEEE10hipError_tT0_T1_T2_jT3_P12ihipStream_tbPNSt15iterator_traitsISN_E10value_typeEPNST_ISO_E10value_typeEPSP_NS1_7vsmem_tEENKUlT_SN_SO_SP_E_clISG_PjSI_PS9_EESM_S12_SN_SO_SP_EUlS12_E_NS1_11comp_targetILNS1_3genE8ELNS1_11target_archE1030ELNS1_3gpuE2ELNS1_3repE0EEENS1_48merge_mergepath_partition_config_static_selectorELNS0_4arch9wavefront6targetE0EEEvSO_.private_seg_size, 0
	.set _ZN7rocprim17ROCPRIM_400000_NS6detail17trampoline_kernelINS0_14default_configENS1_38merge_sort_block_merge_config_selectorIjN6thrust23THRUST_200600_302600_NS5tupleIffNS6_9null_typeES8_S8_S8_S8_S8_S8_S8_EEEEZZNS1_27merge_sort_block_merge_implIS3_NS6_6detail15normal_iteratorINS6_10device_ptrIjEEEENSD_INSE_IS9_EEEEjNS1_19radix_merge_compareILb0ELb1EjNS0_19identity_decomposerEEEEE10hipError_tT0_T1_T2_jT3_P12ihipStream_tbPNSt15iterator_traitsISN_E10value_typeEPNST_ISO_E10value_typeEPSP_NS1_7vsmem_tEENKUlT_SN_SO_SP_E_clISG_PjSI_PS9_EESM_S12_SN_SO_SP_EUlS12_E_NS1_11comp_targetILNS1_3genE8ELNS1_11target_archE1030ELNS1_3gpuE2ELNS1_3repE0EEENS1_48merge_mergepath_partition_config_static_selectorELNS0_4arch9wavefront6targetE0EEEvSO_.uses_vcc, 0
	.set _ZN7rocprim17ROCPRIM_400000_NS6detail17trampoline_kernelINS0_14default_configENS1_38merge_sort_block_merge_config_selectorIjN6thrust23THRUST_200600_302600_NS5tupleIffNS6_9null_typeES8_S8_S8_S8_S8_S8_S8_EEEEZZNS1_27merge_sort_block_merge_implIS3_NS6_6detail15normal_iteratorINS6_10device_ptrIjEEEENSD_INSE_IS9_EEEEjNS1_19radix_merge_compareILb0ELb1EjNS0_19identity_decomposerEEEEE10hipError_tT0_T1_T2_jT3_P12ihipStream_tbPNSt15iterator_traitsISN_E10value_typeEPNST_ISO_E10value_typeEPSP_NS1_7vsmem_tEENKUlT_SN_SO_SP_E_clISG_PjSI_PS9_EESM_S12_SN_SO_SP_EUlS12_E_NS1_11comp_targetILNS1_3genE8ELNS1_11target_archE1030ELNS1_3gpuE2ELNS1_3repE0EEENS1_48merge_mergepath_partition_config_static_selectorELNS0_4arch9wavefront6targetE0EEEvSO_.uses_flat_scratch, 0
	.set _ZN7rocprim17ROCPRIM_400000_NS6detail17trampoline_kernelINS0_14default_configENS1_38merge_sort_block_merge_config_selectorIjN6thrust23THRUST_200600_302600_NS5tupleIffNS6_9null_typeES8_S8_S8_S8_S8_S8_S8_EEEEZZNS1_27merge_sort_block_merge_implIS3_NS6_6detail15normal_iteratorINS6_10device_ptrIjEEEENSD_INSE_IS9_EEEEjNS1_19radix_merge_compareILb0ELb1EjNS0_19identity_decomposerEEEEE10hipError_tT0_T1_T2_jT3_P12ihipStream_tbPNSt15iterator_traitsISN_E10value_typeEPNST_ISO_E10value_typeEPSP_NS1_7vsmem_tEENKUlT_SN_SO_SP_E_clISG_PjSI_PS9_EESM_S12_SN_SO_SP_EUlS12_E_NS1_11comp_targetILNS1_3genE8ELNS1_11target_archE1030ELNS1_3gpuE2ELNS1_3repE0EEENS1_48merge_mergepath_partition_config_static_selectorELNS0_4arch9wavefront6targetE0EEEvSO_.has_dyn_sized_stack, 0
	.set _ZN7rocprim17ROCPRIM_400000_NS6detail17trampoline_kernelINS0_14default_configENS1_38merge_sort_block_merge_config_selectorIjN6thrust23THRUST_200600_302600_NS5tupleIffNS6_9null_typeES8_S8_S8_S8_S8_S8_S8_EEEEZZNS1_27merge_sort_block_merge_implIS3_NS6_6detail15normal_iteratorINS6_10device_ptrIjEEEENSD_INSE_IS9_EEEEjNS1_19radix_merge_compareILb0ELb1EjNS0_19identity_decomposerEEEEE10hipError_tT0_T1_T2_jT3_P12ihipStream_tbPNSt15iterator_traitsISN_E10value_typeEPNST_ISO_E10value_typeEPSP_NS1_7vsmem_tEENKUlT_SN_SO_SP_E_clISG_PjSI_PS9_EESM_S12_SN_SO_SP_EUlS12_E_NS1_11comp_targetILNS1_3genE8ELNS1_11target_archE1030ELNS1_3gpuE2ELNS1_3repE0EEENS1_48merge_mergepath_partition_config_static_selectorELNS0_4arch9wavefront6targetE0EEEvSO_.has_recursion, 0
	.set _ZN7rocprim17ROCPRIM_400000_NS6detail17trampoline_kernelINS0_14default_configENS1_38merge_sort_block_merge_config_selectorIjN6thrust23THRUST_200600_302600_NS5tupleIffNS6_9null_typeES8_S8_S8_S8_S8_S8_S8_EEEEZZNS1_27merge_sort_block_merge_implIS3_NS6_6detail15normal_iteratorINS6_10device_ptrIjEEEENSD_INSE_IS9_EEEEjNS1_19radix_merge_compareILb0ELb1EjNS0_19identity_decomposerEEEEE10hipError_tT0_T1_T2_jT3_P12ihipStream_tbPNSt15iterator_traitsISN_E10value_typeEPNST_ISO_E10value_typeEPSP_NS1_7vsmem_tEENKUlT_SN_SO_SP_E_clISG_PjSI_PS9_EESM_S12_SN_SO_SP_EUlS12_E_NS1_11comp_targetILNS1_3genE8ELNS1_11target_archE1030ELNS1_3gpuE2ELNS1_3repE0EEENS1_48merge_mergepath_partition_config_static_selectorELNS0_4arch9wavefront6targetE0EEEvSO_.has_indirect_call, 0
	.section	.AMDGPU.csdata,"",@progbits
; Kernel info:
; codeLenInByte = 0
; TotalNumSgprs: 0
; NumVgprs: 0
; ScratchSize: 0
; MemoryBound: 0
; FloatMode: 240
; IeeeMode: 1
; LDSByteSize: 0 bytes/workgroup (compile time only)
; SGPRBlocks: 0
; VGPRBlocks: 0
; NumSGPRsForWavesPerEU: 1
; NumVGPRsForWavesPerEU: 1
; Occupancy: 16
; WaveLimiterHint : 0
; COMPUTE_PGM_RSRC2:SCRATCH_EN: 0
; COMPUTE_PGM_RSRC2:USER_SGPR: 2
; COMPUTE_PGM_RSRC2:TRAP_HANDLER: 0
; COMPUTE_PGM_RSRC2:TGID_X_EN: 1
; COMPUTE_PGM_RSRC2:TGID_Y_EN: 0
; COMPUTE_PGM_RSRC2:TGID_Z_EN: 0
; COMPUTE_PGM_RSRC2:TIDIG_COMP_CNT: 0
	.section	.text._ZN7rocprim17ROCPRIM_400000_NS6detail17trampoline_kernelINS0_14default_configENS1_38merge_sort_block_merge_config_selectorIjN6thrust23THRUST_200600_302600_NS5tupleIffNS6_9null_typeES8_S8_S8_S8_S8_S8_S8_EEEEZZNS1_27merge_sort_block_merge_implIS3_NS6_6detail15normal_iteratorINS6_10device_ptrIjEEEENSD_INSE_IS9_EEEEjNS1_19radix_merge_compareILb0ELb1EjNS0_19identity_decomposerEEEEE10hipError_tT0_T1_T2_jT3_P12ihipStream_tbPNSt15iterator_traitsISN_E10value_typeEPNST_ISO_E10value_typeEPSP_NS1_7vsmem_tEENKUlT_SN_SO_SP_E_clISG_PjSI_PS9_EESM_S12_SN_SO_SP_EUlS12_E0_NS1_11comp_targetILNS1_3genE0ELNS1_11target_archE4294967295ELNS1_3gpuE0ELNS1_3repE0EEENS1_38merge_mergepath_config_static_selectorELNS0_4arch9wavefront6targetE0EEEvSO_,"axG",@progbits,_ZN7rocprim17ROCPRIM_400000_NS6detail17trampoline_kernelINS0_14default_configENS1_38merge_sort_block_merge_config_selectorIjN6thrust23THRUST_200600_302600_NS5tupleIffNS6_9null_typeES8_S8_S8_S8_S8_S8_S8_EEEEZZNS1_27merge_sort_block_merge_implIS3_NS6_6detail15normal_iteratorINS6_10device_ptrIjEEEENSD_INSE_IS9_EEEEjNS1_19radix_merge_compareILb0ELb1EjNS0_19identity_decomposerEEEEE10hipError_tT0_T1_T2_jT3_P12ihipStream_tbPNSt15iterator_traitsISN_E10value_typeEPNST_ISO_E10value_typeEPSP_NS1_7vsmem_tEENKUlT_SN_SO_SP_E_clISG_PjSI_PS9_EESM_S12_SN_SO_SP_EUlS12_E0_NS1_11comp_targetILNS1_3genE0ELNS1_11target_archE4294967295ELNS1_3gpuE0ELNS1_3repE0EEENS1_38merge_mergepath_config_static_selectorELNS0_4arch9wavefront6targetE0EEEvSO_,comdat
	.protected	_ZN7rocprim17ROCPRIM_400000_NS6detail17trampoline_kernelINS0_14default_configENS1_38merge_sort_block_merge_config_selectorIjN6thrust23THRUST_200600_302600_NS5tupleIffNS6_9null_typeES8_S8_S8_S8_S8_S8_S8_EEEEZZNS1_27merge_sort_block_merge_implIS3_NS6_6detail15normal_iteratorINS6_10device_ptrIjEEEENSD_INSE_IS9_EEEEjNS1_19radix_merge_compareILb0ELb1EjNS0_19identity_decomposerEEEEE10hipError_tT0_T1_T2_jT3_P12ihipStream_tbPNSt15iterator_traitsISN_E10value_typeEPNST_ISO_E10value_typeEPSP_NS1_7vsmem_tEENKUlT_SN_SO_SP_E_clISG_PjSI_PS9_EESM_S12_SN_SO_SP_EUlS12_E0_NS1_11comp_targetILNS1_3genE0ELNS1_11target_archE4294967295ELNS1_3gpuE0ELNS1_3repE0EEENS1_38merge_mergepath_config_static_selectorELNS0_4arch9wavefront6targetE0EEEvSO_ ; -- Begin function _ZN7rocprim17ROCPRIM_400000_NS6detail17trampoline_kernelINS0_14default_configENS1_38merge_sort_block_merge_config_selectorIjN6thrust23THRUST_200600_302600_NS5tupleIffNS6_9null_typeES8_S8_S8_S8_S8_S8_S8_EEEEZZNS1_27merge_sort_block_merge_implIS3_NS6_6detail15normal_iteratorINS6_10device_ptrIjEEEENSD_INSE_IS9_EEEEjNS1_19radix_merge_compareILb0ELb1EjNS0_19identity_decomposerEEEEE10hipError_tT0_T1_T2_jT3_P12ihipStream_tbPNSt15iterator_traitsISN_E10value_typeEPNST_ISO_E10value_typeEPSP_NS1_7vsmem_tEENKUlT_SN_SO_SP_E_clISG_PjSI_PS9_EESM_S12_SN_SO_SP_EUlS12_E0_NS1_11comp_targetILNS1_3genE0ELNS1_11target_archE4294967295ELNS1_3gpuE0ELNS1_3repE0EEENS1_38merge_mergepath_config_static_selectorELNS0_4arch9wavefront6targetE0EEEvSO_
	.globl	_ZN7rocprim17ROCPRIM_400000_NS6detail17trampoline_kernelINS0_14default_configENS1_38merge_sort_block_merge_config_selectorIjN6thrust23THRUST_200600_302600_NS5tupleIffNS6_9null_typeES8_S8_S8_S8_S8_S8_S8_EEEEZZNS1_27merge_sort_block_merge_implIS3_NS6_6detail15normal_iteratorINS6_10device_ptrIjEEEENSD_INSE_IS9_EEEEjNS1_19radix_merge_compareILb0ELb1EjNS0_19identity_decomposerEEEEE10hipError_tT0_T1_T2_jT3_P12ihipStream_tbPNSt15iterator_traitsISN_E10value_typeEPNST_ISO_E10value_typeEPSP_NS1_7vsmem_tEENKUlT_SN_SO_SP_E_clISG_PjSI_PS9_EESM_S12_SN_SO_SP_EUlS12_E0_NS1_11comp_targetILNS1_3genE0ELNS1_11target_archE4294967295ELNS1_3gpuE0ELNS1_3repE0EEENS1_38merge_mergepath_config_static_selectorELNS0_4arch9wavefront6targetE0EEEvSO_
	.p2align	8
	.type	_ZN7rocprim17ROCPRIM_400000_NS6detail17trampoline_kernelINS0_14default_configENS1_38merge_sort_block_merge_config_selectorIjN6thrust23THRUST_200600_302600_NS5tupleIffNS6_9null_typeES8_S8_S8_S8_S8_S8_S8_EEEEZZNS1_27merge_sort_block_merge_implIS3_NS6_6detail15normal_iteratorINS6_10device_ptrIjEEEENSD_INSE_IS9_EEEEjNS1_19radix_merge_compareILb0ELb1EjNS0_19identity_decomposerEEEEE10hipError_tT0_T1_T2_jT3_P12ihipStream_tbPNSt15iterator_traitsISN_E10value_typeEPNST_ISO_E10value_typeEPSP_NS1_7vsmem_tEENKUlT_SN_SO_SP_E_clISG_PjSI_PS9_EESM_S12_SN_SO_SP_EUlS12_E0_NS1_11comp_targetILNS1_3genE0ELNS1_11target_archE4294967295ELNS1_3gpuE0ELNS1_3repE0EEENS1_38merge_mergepath_config_static_selectorELNS0_4arch9wavefront6targetE0EEEvSO_,@function
_ZN7rocprim17ROCPRIM_400000_NS6detail17trampoline_kernelINS0_14default_configENS1_38merge_sort_block_merge_config_selectorIjN6thrust23THRUST_200600_302600_NS5tupleIffNS6_9null_typeES8_S8_S8_S8_S8_S8_S8_EEEEZZNS1_27merge_sort_block_merge_implIS3_NS6_6detail15normal_iteratorINS6_10device_ptrIjEEEENSD_INSE_IS9_EEEEjNS1_19radix_merge_compareILb0ELb1EjNS0_19identity_decomposerEEEEE10hipError_tT0_T1_T2_jT3_P12ihipStream_tbPNSt15iterator_traitsISN_E10value_typeEPNST_ISO_E10value_typeEPSP_NS1_7vsmem_tEENKUlT_SN_SO_SP_E_clISG_PjSI_PS9_EESM_S12_SN_SO_SP_EUlS12_E0_NS1_11comp_targetILNS1_3genE0ELNS1_11target_archE4294967295ELNS1_3gpuE0ELNS1_3repE0EEENS1_38merge_mergepath_config_static_selectorELNS0_4arch9wavefront6targetE0EEEvSO_: ; @_ZN7rocprim17ROCPRIM_400000_NS6detail17trampoline_kernelINS0_14default_configENS1_38merge_sort_block_merge_config_selectorIjN6thrust23THRUST_200600_302600_NS5tupleIffNS6_9null_typeES8_S8_S8_S8_S8_S8_S8_EEEEZZNS1_27merge_sort_block_merge_implIS3_NS6_6detail15normal_iteratorINS6_10device_ptrIjEEEENSD_INSE_IS9_EEEEjNS1_19radix_merge_compareILb0ELb1EjNS0_19identity_decomposerEEEEE10hipError_tT0_T1_T2_jT3_P12ihipStream_tbPNSt15iterator_traitsISN_E10value_typeEPNST_ISO_E10value_typeEPSP_NS1_7vsmem_tEENKUlT_SN_SO_SP_E_clISG_PjSI_PS9_EESM_S12_SN_SO_SP_EUlS12_E0_NS1_11comp_targetILNS1_3genE0ELNS1_11target_archE4294967295ELNS1_3gpuE0ELNS1_3repE0EEENS1_38merge_mergepath_config_static_selectorELNS0_4arch9wavefront6targetE0EEEvSO_
; %bb.0:
	.section	.rodata,"a",@progbits
	.p2align	6, 0x0
	.amdhsa_kernel _ZN7rocprim17ROCPRIM_400000_NS6detail17trampoline_kernelINS0_14default_configENS1_38merge_sort_block_merge_config_selectorIjN6thrust23THRUST_200600_302600_NS5tupleIffNS6_9null_typeES8_S8_S8_S8_S8_S8_S8_EEEEZZNS1_27merge_sort_block_merge_implIS3_NS6_6detail15normal_iteratorINS6_10device_ptrIjEEEENSD_INSE_IS9_EEEEjNS1_19radix_merge_compareILb0ELb1EjNS0_19identity_decomposerEEEEE10hipError_tT0_T1_T2_jT3_P12ihipStream_tbPNSt15iterator_traitsISN_E10value_typeEPNST_ISO_E10value_typeEPSP_NS1_7vsmem_tEENKUlT_SN_SO_SP_E_clISG_PjSI_PS9_EESM_S12_SN_SO_SP_EUlS12_E0_NS1_11comp_targetILNS1_3genE0ELNS1_11target_archE4294967295ELNS1_3gpuE0ELNS1_3repE0EEENS1_38merge_mergepath_config_static_selectorELNS0_4arch9wavefront6targetE0EEEvSO_
		.amdhsa_group_segment_fixed_size 0
		.amdhsa_private_segment_fixed_size 0
		.amdhsa_kernarg_size 64
		.amdhsa_user_sgpr_count 2
		.amdhsa_user_sgpr_dispatch_ptr 0
		.amdhsa_user_sgpr_queue_ptr 0
		.amdhsa_user_sgpr_kernarg_segment_ptr 1
		.amdhsa_user_sgpr_dispatch_id 0
		.amdhsa_user_sgpr_private_segment_size 0
		.amdhsa_wavefront_size32 1
		.amdhsa_uses_dynamic_stack 0
		.amdhsa_enable_private_segment 0
		.amdhsa_system_sgpr_workgroup_id_x 1
		.amdhsa_system_sgpr_workgroup_id_y 0
		.amdhsa_system_sgpr_workgroup_id_z 0
		.amdhsa_system_sgpr_workgroup_info 0
		.amdhsa_system_vgpr_workitem_id 0
		.amdhsa_next_free_vgpr 1
		.amdhsa_next_free_sgpr 1
		.amdhsa_reserve_vcc 0
		.amdhsa_float_round_mode_32 0
		.amdhsa_float_round_mode_16_64 0
		.amdhsa_float_denorm_mode_32 3
		.amdhsa_float_denorm_mode_16_64 3
		.amdhsa_fp16_overflow 0
		.amdhsa_workgroup_processor_mode 1
		.amdhsa_memory_ordered 1
		.amdhsa_forward_progress 1
		.amdhsa_inst_pref_size 0
		.amdhsa_round_robin_scheduling 0
		.amdhsa_exception_fp_ieee_invalid_op 0
		.amdhsa_exception_fp_denorm_src 0
		.amdhsa_exception_fp_ieee_div_zero 0
		.amdhsa_exception_fp_ieee_overflow 0
		.amdhsa_exception_fp_ieee_underflow 0
		.amdhsa_exception_fp_ieee_inexact 0
		.amdhsa_exception_int_div_zero 0
	.end_amdhsa_kernel
	.section	.text._ZN7rocprim17ROCPRIM_400000_NS6detail17trampoline_kernelINS0_14default_configENS1_38merge_sort_block_merge_config_selectorIjN6thrust23THRUST_200600_302600_NS5tupleIffNS6_9null_typeES8_S8_S8_S8_S8_S8_S8_EEEEZZNS1_27merge_sort_block_merge_implIS3_NS6_6detail15normal_iteratorINS6_10device_ptrIjEEEENSD_INSE_IS9_EEEEjNS1_19radix_merge_compareILb0ELb1EjNS0_19identity_decomposerEEEEE10hipError_tT0_T1_T2_jT3_P12ihipStream_tbPNSt15iterator_traitsISN_E10value_typeEPNST_ISO_E10value_typeEPSP_NS1_7vsmem_tEENKUlT_SN_SO_SP_E_clISG_PjSI_PS9_EESM_S12_SN_SO_SP_EUlS12_E0_NS1_11comp_targetILNS1_3genE0ELNS1_11target_archE4294967295ELNS1_3gpuE0ELNS1_3repE0EEENS1_38merge_mergepath_config_static_selectorELNS0_4arch9wavefront6targetE0EEEvSO_,"axG",@progbits,_ZN7rocprim17ROCPRIM_400000_NS6detail17trampoline_kernelINS0_14default_configENS1_38merge_sort_block_merge_config_selectorIjN6thrust23THRUST_200600_302600_NS5tupleIffNS6_9null_typeES8_S8_S8_S8_S8_S8_S8_EEEEZZNS1_27merge_sort_block_merge_implIS3_NS6_6detail15normal_iteratorINS6_10device_ptrIjEEEENSD_INSE_IS9_EEEEjNS1_19radix_merge_compareILb0ELb1EjNS0_19identity_decomposerEEEEE10hipError_tT0_T1_T2_jT3_P12ihipStream_tbPNSt15iterator_traitsISN_E10value_typeEPNST_ISO_E10value_typeEPSP_NS1_7vsmem_tEENKUlT_SN_SO_SP_E_clISG_PjSI_PS9_EESM_S12_SN_SO_SP_EUlS12_E0_NS1_11comp_targetILNS1_3genE0ELNS1_11target_archE4294967295ELNS1_3gpuE0ELNS1_3repE0EEENS1_38merge_mergepath_config_static_selectorELNS0_4arch9wavefront6targetE0EEEvSO_,comdat
.Lfunc_end123:
	.size	_ZN7rocprim17ROCPRIM_400000_NS6detail17trampoline_kernelINS0_14default_configENS1_38merge_sort_block_merge_config_selectorIjN6thrust23THRUST_200600_302600_NS5tupleIffNS6_9null_typeES8_S8_S8_S8_S8_S8_S8_EEEEZZNS1_27merge_sort_block_merge_implIS3_NS6_6detail15normal_iteratorINS6_10device_ptrIjEEEENSD_INSE_IS9_EEEEjNS1_19radix_merge_compareILb0ELb1EjNS0_19identity_decomposerEEEEE10hipError_tT0_T1_T2_jT3_P12ihipStream_tbPNSt15iterator_traitsISN_E10value_typeEPNST_ISO_E10value_typeEPSP_NS1_7vsmem_tEENKUlT_SN_SO_SP_E_clISG_PjSI_PS9_EESM_S12_SN_SO_SP_EUlS12_E0_NS1_11comp_targetILNS1_3genE0ELNS1_11target_archE4294967295ELNS1_3gpuE0ELNS1_3repE0EEENS1_38merge_mergepath_config_static_selectorELNS0_4arch9wavefront6targetE0EEEvSO_, .Lfunc_end123-_ZN7rocprim17ROCPRIM_400000_NS6detail17trampoline_kernelINS0_14default_configENS1_38merge_sort_block_merge_config_selectorIjN6thrust23THRUST_200600_302600_NS5tupleIffNS6_9null_typeES8_S8_S8_S8_S8_S8_S8_EEEEZZNS1_27merge_sort_block_merge_implIS3_NS6_6detail15normal_iteratorINS6_10device_ptrIjEEEENSD_INSE_IS9_EEEEjNS1_19radix_merge_compareILb0ELb1EjNS0_19identity_decomposerEEEEE10hipError_tT0_T1_T2_jT3_P12ihipStream_tbPNSt15iterator_traitsISN_E10value_typeEPNST_ISO_E10value_typeEPSP_NS1_7vsmem_tEENKUlT_SN_SO_SP_E_clISG_PjSI_PS9_EESM_S12_SN_SO_SP_EUlS12_E0_NS1_11comp_targetILNS1_3genE0ELNS1_11target_archE4294967295ELNS1_3gpuE0ELNS1_3repE0EEENS1_38merge_mergepath_config_static_selectorELNS0_4arch9wavefront6targetE0EEEvSO_
                                        ; -- End function
	.set _ZN7rocprim17ROCPRIM_400000_NS6detail17trampoline_kernelINS0_14default_configENS1_38merge_sort_block_merge_config_selectorIjN6thrust23THRUST_200600_302600_NS5tupleIffNS6_9null_typeES8_S8_S8_S8_S8_S8_S8_EEEEZZNS1_27merge_sort_block_merge_implIS3_NS6_6detail15normal_iteratorINS6_10device_ptrIjEEEENSD_INSE_IS9_EEEEjNS1_19radix_merge_compareILb0ELb1EjNS0_19identity_decomposerEEEEE10hipError_tT0_T1_T2_jT3_P12ihipStream_tbPNSt15iterator_traitsISN_E10value_typeEPNST_ISO_E10value_typeEPSP_NS1_7vsmem_tEENKUlT_SN_SO_SP_E_clISG_PjSI_PS9_EESM_S12_SN_SO_SP_EUlS12_E0_NS1_11comp_targetILNS1_3genE0ELNS1_11target_archE4294967295ELNS1_3gpuE0ELNS1_3repE0EEENS1_38merge_mergepath_config_static_selectorELNS0_4arch9wavefront6targetE0EEEvSO_.num_vgpr, 0
	.set _ZN7rocprim17ROCPRIM_400000_NS6detail17trampoline_kernelINS0_14default_configENS1_38merge_sort_block_merge_config_selectorIjN6thrust23THRUST_200600_302600_NS5tupleIffNS6_9null_typeES8_S8_S8_S8_S8_S8_S8_EEEEZZNS1_27merge_sort_block_merge_implIS3_NS6_6detail15normal_iteratorINS6_10device_ptrIjEEEENSD_INSE_IS9_EEEEjNS1_19radix_merge_compareILb0ELb1EjNS0_19identity_decomposerEEEEE10hipError_tT0_T1_T2_jT3_P12ihipStream_tbPNSt15iterator_traitsISN_E10value_typeEPNST_ISO_E10value_typeEPSP_NS1_7vsmem_tEENKUlT_SN_SO_SP_E_clISG_PjSI_PS9_EESM_S12_SN_SO_SP_EUlS12_E0_NS1_11comp_targetILNS1_3genE0ELNS1_11target_archE4294967295ELNS1_3gpuE0ELNS1_3repE0EEENS1_38merge_mergepath_config_static_selectorELNS0_4arch9wavefront6targetE0EEEvSO_.num_agpr, 0
	.set _ZN7rocprim17ROCPRIM_400000_NS6detail17trampoline_kernelINS0_14default_configENS1_38merge_sort_block_merge_config_selectorIjN6thrust23THRUST_200600_302600_NS5tupleIffNS6_9null_typeES8_S8_S8_S8_S8_S8_S8_EEEEZZNS1_27merge_sort_block_merge_implIS3_NS6_6detail15normal_iteratorINS6_10device_ptrIjEEEENSD_INSE_IS9_EEEEjNS1_19radix_merge_compareILb0ELb1EjNS0_19identity_decomposerEEEEE10hipError_tT0_T1_T2_jT3_P12ihipStream_tbPNSt15iterator_traitsISN_E10value_typeEPNST_ISO_E10value_typeEPSP_NS1_7vsmem_tEENKUlT_SN_SO_SP_E_clISG_PjSI_PS9_EESM_S12_SN_SO_SP_EUlS12_E0_NS1_11comp_targetILNS1_3genE0ELNS1_11target_archE4294967295ELNS1_3gpuE0ELNS1_3repE0EEENS1_38merge_mergepath_config_static_selectorELNS0_4arch9wavefront6targetE0EEEvSO_.numbered_sgpr, 0
	.set _ZN7rocprim17ROCPRIM_400000_NS6detail17trampoline_kernelINS0_14default_configENS1_38merge_sort_block_merge_config_selectorIjN6thrust23THRUST_200600_302600_NS5tupleIffNS6_9null_typeES8_S8_S8_S8_S8_S8_S8_EEEEZZNS1_27merge_sort_block_merge_implIS3_NS6_6detail15normal_iteratorINS6_10device_ptrIjEEEENSD_INSE_IS9_EEEEjNS1_19radix_merge_compareILb0ELb1EjNS0_19identity_decomposerEEEEE10hipError_tT0_T1_T2_jT3_P12ihipStream_tbPNSt15iterator_traitsISN_E10value_typeEPNST_ISO_E10value_typeEPSP_NS1_7vsmem_tEENKUlT_SN_SO_SP_E_clISG_PjSI_PS9_EESM_S12_SN_SO_SP_EUlS12_E0_NS1_11comp_targetILNS1_3genE0ELNS1_11target_archE4294967295ELNS1_3gpuE0ELNS1_3repE0EEENS1_38merge_mergepath_config_static_selectorELNS0_4arch9wavefront6targetE0EEEvSO_.num_named_barrier, 0
	.set _ZN7rocprim17ROCPRIM_400000_NS6detail17trampoline_kernelINS0_14default_configENS1_38merge_sort_block_merge_config_selectorIjN6thrust23THRUST_200600_302600_NS5tupleIffNS6_9null_typeES8_S8_S8_S8_S8_S8_S8_EEEEZZNS1_27merge_sort_block_merge_implIS3_NS6_6detail15normal_iteratorINS6_10device_ptrIjEEEENSD_INSE_IS9_EEEEjNS1_19radix_merge_compareILb0ELb1EjNS0_19identity_decomposerEEEEE10hipError_tT0_T1_T2_jT3_P12ihipStream_tbPNSt15iterator_traitsISN_E10value_typeEPNST_ISO_E10value_typeEPSP_NS1_7vsmem_tEENKUlT_SN_SO_SP_E_clISG_PjSI_PS9_EESM_S12_SN_SO_SP_EUlS12_E0_NS1_11comp_targetILNS1_3genE0ELNS1_11target_archE4294967295ELNS1_3gpuE0ELNS1_3repE0EEENS1_38merge_mergepath_config_static_selectorELNS0_4arch9wavefront6targetE0EEEvSO_.private_seg_size, 0
	.set _ZN7rocprim17ROCPRIM_400000_NS6detail17trampoline_kernelINS0_14default_configENS1_38merge_sort_block_merge_config_selectorIjN6thrust23THRUST_200600_302600_NS5tupleIffNS6_9null_typeES8_S8_S8_S8_S8_S8_S8_EEEEZZNS1_27merge_sort_block_merge_implIS3_NS6_6detail15normal_iteratorINS6_10device_ptrIjEEEENSD_INSE_IS9_EEEEjNS1_19radix_merge_compareILb0ELb1EjNS0_19identity_decomposerEEEEE10hipError_tT0_T1_T2_jT3_P12ihipStream_tbPNSt15iterator_traitsISN_E10value_typeEPNST_ISO_E10value_typeEPSP_NS1_7vsmem_tEENKUlT_SN_SO_SP_E_clISG_PjSI_PS9_EESM_S12_SN_SO_SP_EUlS12_E0_NS1_11comp_targetILNS1_3genE0ELNS1_11target_archE4294967295ELNS1_3gpuE0ELNS1_3repE0EEENS1_38merge_mergepath_config_static_selectorELNS0_4arch9wavefront6targetE0EEEvSO_.uses_vcc, 0
	.set _ZN7rocprim17ROCPRIM_400000_NS6detail17trampoline_kernelINS0_14default_configENS1_38merge_sort_block_merge_config_selectorIjN6thrust23THRUST_200600_302600_NS5tupleIffNS6_9null_typeES8_S8_S8_S8_S8_S8_S8_EEEEZZNS1_27merge_sort_block_merge_implIS3_NS6_6detail15normal_iteratorINS6_10device_ptrIjEEEENSD_INSE_IS9_EEEEjNS1_19radix_merge_compareILb0ELb1EjNS0_19identity_decomposerEEEEE10hipError_tT0_T1_T2_jT3_P12ihipStream_tbPNSt15iterator_traitsISN_E10value_typeEPNST_ISO_E10value_typeEPSP_NS1_7vsmem_tEENKUlT_SN_SO_SP_E_clISG_PjSI_PS9_EESM_S12_SN_SO_SP_EUlS12_E0_NS1_11comp_targetILNS1_3genE0ELNS1_11target_archE4294967295ELNS1_3gpuE0ELNS1_3repE0EEENS1_38merge_mergepath_config_static_selectorELNS0_4arch9wavefront6targetE0EEEvSO_.uses_flat_scratch, 0
	.set _ZN7rocprim17ROCPRIM_400000_NS6detail17trampoline_kernelINS0_14default_configENS1_38merge_sort_block_merge_config_selectorIjN6thrust23THRUST_200600_302600_NS5tupleIffNS6_9null_typeES8_S8_S8_S8_S8_S8_S8_EEEEZZNS1_27merge_sort_block_merge_implIS3_NS6_6detail15normal_iteratorINS6_10device_ptrIjEEEENSD_INSE_IS9_EEEEjNS1_19radix_merge_compareILb0ELb1EjNS0_19identity_decomposerEEEEE10hipError_tT0_T1_T2_jT3_P12ihipStream_tbPNSt15iterator_traitsISN_E10value_typeEPNST_ISO_E10value_typeEPSP_NS1_7vsmem_tEENKUlT_SN_SO_SP_E_clISG_PjSI_PS9_EESM_S12_SN_SO_SP_EUlS12_E0_NS1_11comp_targetILNS1_3genE0ELNS1_11target_archE4294967295ELNS1_3gpuE0ELNS1_3repE0EEENS1_38merge_mergepath_config_static_selectorELNS0_4arch9wavefront6targetE0EEEvSO_.has_dyn_sized_stack, 0
	.set _ZN7rocprim17ROCPRIM_400000_NS6detail17trampoline_kernelINS0_14default_configENS1_38merge_sort_block_merge_config_selectorIjN6thrust23THRUST_200600_302600_NS5tupleIffNS6_9null_typeES8_S8_S8_S8_S8_S8_S8_EEEEZZNS1_27merge_sort_block_merge_implIS3_NS6_6detail15normal_iteratorINS6_10device_ptrIjEEEENSD_INSE_IS9_EEEEjNS1_19radix_merge_compareILb0ELb1EjNS0_19identity_decomposerEEEEE10hipError_tT0_T1_T2_jT3_P12ihipStream_tbPNSt15iterator_traitsISN_E10value_typeEPNST_ISO_E10value_typeEPSP_NS1_7vsmem_tEENKUlT_SN_SO_SP_E_clISG_PjSI_PS9_EESM_S12_SN_SO_SP_EUlS12_E0_NS1_11comp_targetILNS1_3genE0ELNS1_11target_archE4294967295ELNS1_3gpuE0ELNS1_3repE0EEENS1_38merge_mergepath_config_static_selectorELNS0_4arch9wavefront6targetE0EEEvSO_.has_recursion, 0
	.set _ZN7rocprim17ROCPRIM_400000_NS6detail17trampoline_kernelINS0_14default_configENS1_38merge_sort_block_merge_config_selectorIjN6thrust23THRUST_200600_302600_NS5tupleIffNS6_9null_typeES8_S8_S8_S8_S8_S8_S8_EEEEZZNS1_27merge_sort_block_merge_implIS3_NS6_6detail15normal_iteratorINS6_10device_ptrIjEEEENSD_INSE_IS9_EEEEjNS1_19radix_merge_compareILb0ELb1EjNS0_19identity_decomposerEEEEE10hipError_tT0_T1_T2_jT3_P12ihipStream_tbPNSt15iterator_traitsISN_E10value_typeEPNST_ISO_E10value_typeEPSP_NS1_7vsmem_tEENKUlT_SN_SO_SP_E_clISG_PjSI_PS9_EESM_S12_SN_SO_SP_EUlS12_E0_NS1_11comp_targetILNS1_3genE0ELNS1_11target_archE4294967295ELNS1_3gpuE0ELNS1_3repE0EEENS1_38merge_mergepath_config_static_selectorELNS0_4arch9wavefront6targetE0EEEvSO_.has_indirect_call, 0
	.section	.AMDGPU.csdata,"",@progbits
; Kernel info:
; codeLenInByte = 0
; TotalNumSgprs: 0
; NumVgprs: 0
; ScratchSize: 0
; MemoryBound: 0
; FloatMode: 240
; IeeeMode: 1
; LDSByteSize: 0 bytes/workgroup (compile time only)
; SGPRBlocks: 0
; VGPRBlocks: 0
; NumSGPRsForWavesPerEU: 1
; NumVGPRsForWavesPerEU: 1
; Occupancy: 16
; WaveLimiterHint : 0
; COMPUTE_PGM_RSRC2:SCRATCH_EN: 0
; COMPUTE_PGM_RSRC2:USER_SGPR: 2
; COMPUTE_PGM_RSRC2:TRAP_HANDLER: 0
; COMPUTE_PGM_RSRC2:TGID_X_EN: 1
; COMPUTE_PGM_RSRC2:TGID_Y_EN: 0
; COMPUTE_PGM_RSRC2:TGID_Z_EN: 0
; COMPUTE_PGM_RSRC2:TIDIG_COMP_CNT: 0
	.section	.text._ZN7rocprim17ROCPRIM_400000_NS6detail17trampoline_kernelINS0_14default_configENS1_38merge_sort_block_merge_config_selectorIjN6thrust23THRUST_200600_302600_NS5tupleIffNS6_9null_typeES8_S8_S8_S8_S8_S8_S8_EEEEZZNS1_27merge_sort_block_merge_implIS3_NS6_6detail15normal_iteratorINS6_10device_ptrIjEEEENSD_INSE_IS9_EEEEjNS1_19radix_merge_compareILb0ELb1EjNS0_19identity_decomposerEEEEE10hipError_tT0_T1_T2_jT3_P12ihipStream_tbPNSt15iterator_traitsISN_E10value_typeEPNST_ISO_E10value_typeEPSP_NS1_7vsmem_tEENKUlT_SN_SO_SP_E_clISG_PjSI_PS9_EESM_S12_SN_SO_SP_EUlS12_E0_NS1_11comp_targetILNS1_3genE10ELNS1_11target_archE1201ELNS1_3gpuE5ELNS1_3repE0EEENS1_38merge_mergepath_config_static_selectorELNS0_4arch9wavefront6targetE0EEEvSO_,"axG",@progbits,_ZN7rocprim17ROCPRIM_400000_NS6detail17trampoline_kernelINS0_14default_configENS1_38merge_sort_block_merge_config_selectorIjN6thrust23THRUST_200600_302600_NS5tupleIffNS6_9null_typeES8_S8_S8_S8_S8_S8_S8_EEEEZZNS1_27merge_sort_block_merge_implIS3_NS6_6detail15normal_iteratorINS6_10device_ptrIjEEEENSD_INSE_IS9_EEEEjNS1_19radix_merge_compareILb0ELb1EjNS0_19identity_decomposerEEEEE10hipError_tT0_T1_T2_jT3_P12ihipStream_tbPNSt15iterator_traitsISN_E10value_typeEPNST_ISO_E10value_typeEPSP_NS1_7vsmem_tEENKUlT_SN_SO_SP_E_clISG_PjSI_PS9_EESM_S12_SN_SO_SP_EUlS12_E0_NS1_11comp_targetILNS1_3genE10ELNS1_11target_archE1201ELNS1_3gpuE5ELNS1_3repE0EEENS1_38merge_mergepath_config_static_selectorELNS0_4arch9wavefront6targetE0EEEvSO_,comdat
	.protected	_ZN7rocprim17ROCPRIM_400000_NS6detail17trampoline_kernelINS0_14default_configENS1_38merge_sort_block_merge_config_selectorIjN6thrust23THRUST_200600_302600_NS5tupleIffNS6_9null_typeES8_S8_S8_S8_S8_S8_S8_EEEEZZNS1_27merge_sort_block_merge_implIS3_NS6_6detail15normal_iteratorINS6_10device_ptrIjEEEENSD_INSE_IS9_EEEEjNS1_19radix_merge_compareILb0ELb1EjNS0_19identity_decomposerEEEEE10hipError_tT0_T1_T2_jT3_P12ihipStream_tbPNSt15iterator_traitsISN_E10value_typeEPNST_ISO_E10value_typeEPSP_NS1_7vsmem_tEENKUlT_SN_SO_SP_E_clISG_PjSI_PS9_EESM_S12_SN_SO_SP_EUlS12_E0_NS1_11comp_targetILNS1_3genE10ELNS1_11target_archE1201ELNS1_3gpuE5ELNS1_3repE0EEENS1_38merge_mergepath_config_static_selectorELNS0_4arch9wavefront6targetE0EEEvSO_ ; -- Begin function _ZN7rocprim17ROCPRIM_400000_NS6detail17trampoline_kernelINS0_14default_configENS1_38merge_sort_block_merge_config_selectorIjN6thrust23THRUST_200600_302600_NS5tupleIffNS6_9null_typeES8_S8_S8_S8_S8_S8_S8_EEEEZZNS1_27merge_sort_block_merge_implIS3_NS6_6detail15normal_iteratorINS6_10device_ptrIjEEEENSD_INSE_IS9_EEEEjNS1_19radix_merge_compareILb0ELb1EjNS0_19identity_decomposerEEEEE10hipError_tT0_T1_T2_jT3_P12ihipStream_tbPNSt15iterator_traitsISN_E10value_typeEPNST_ISO_E10value_typeEPSP_NS1_7vsmem_tEENKUlT_SN_SO_SP_E_clISG_PjSI_PS9_EESM_S12_SN_SO_SP_EUlS12_E0_NS1_11comp_targetILNS1_3genE10ELNS1_11target_archE1201ELNS1_3gpuE5ELNS1_3repE0EEENS1_38merge_mergepath_config_static_selectorELNS0_4arch9wavefront6targetE0EEEvSO_
	.globl	_ZN7rocprim17ROCPRIM_400000_NS6detail17trampoline_kernelINS0_14default_configENS1_38merge_sort_block_merge_config_selectorIjN6thrust23THRUST_200600_302600_NS5tupleIffNS6_9null_typeES8_S8_S8_S8_S8_S8_S8_EEEEZZNS1_27merge_sort_block_merge_implIS3_NS6_6detail15normal_iteratorINS6_10device_ptrIjEEEENSD_INSE_IS9_EEEEjNS1_19radix_merge_compareILb0ELb1EjNS0_19identity_decomposerEEEEE10hipError_tT0_T1_T2_jT3_P12ihipStream_tbPNSt15iterator_traitsISN_E10value_typeEPNST_ISO_E10value_typeEPSP_NS1_7vsmem_tEENKUlT_SN_SO_SP_E_clISG_PjSI_PS9_EESM_S12_SN_SO_SP_EUlS12_E0_NS1_11comp_targetILNS1_3genE10ELNS1_11target_archE1201ELNS1_3gpuE5ELNS1_3repE0EEENS1_38merge_mergepath_config_static_selectorELNS0_4arch9wavefront6targetE0EEEvSO_
	.p2align	8
	.type	_ZN7rocprim17ROCPRIM_400000_NS6detail17trampoline_kernelINS0_14default_configENS1_38merge_sort_block_merge_config_selectorIjN6thrust23THRUST_200600_302600_NS5tupleIffNS6_9null_typeES8_S8_S8_S8_S8_S8_S8_EEEEZZNS1_27merge_sort_block_merge_implIS3_NS6_6detail15normal_iteratorINS6_10device_ptrIjEEEENSD_INSE_IS9_EEEEjNS1_19radix_merge_compareILb0ELb1EjNS0_19identity_decomposerEEEEE10hipError_tT0_T1_T2_jT3_P12ihipStream_tbPNSt15iterator_traitsISN_E10value_typeEPNST_ISO_E10value_typeEPSP_NS1_7vsmem_tEENKUlT_SN_SO_SP_E_clISG_PjSI_PS9_EESM_S12_SN_SO_SP_EUlS12_E0_NS1_11comp_targetILNS1_3genE10ELNS1_11target_archE1201ELNS1_3gpuE5ELNS1_3repE0EEENS1_38merge_mergepath_config_static_selectorELNS0_4arch9wavefront6targetE0EEEvSO_,@function
_ZN7rocprim17ROCPRIM_400000_NS6detail17trampoline_kernelINS0_14default_configENS1_38merge_sort_block_merge_config_selectorIjN6thrust23THRUST_200600_302600_NS5tupleIffNS6_9null_typeES8_S8_S8_S8_S8_S8_S8_EEEEZZNS1_27merge_sort_block_merge_implIS3_NS6_6detail15normal_iteratorINS6_10device_ptrIjEEEENSD_INSE_IS9_EEEEjNS1_19radix_merge_compareILb0ELb1EjNS0_19identity_decomposerEEEEE10hipError_tT0_T1_T2_jT3_P12ihipStream_tbPNSt15iterator_traitsISN_E10value_typeEPNST_ISO_E10value_typeEPSP_NS1_7vsmem_tEENKUlT_SN_SO_SP_E_clISG_PjSI_PS9_EESM_S12_SN_SO_SP_EUlS12_E0_NS1_11comp_targetILNS1_3genE10ELNS1_11target_archE1201ELNS1_3gpuE5ELNS1_3repE0EEENS1_38merge_mergepath_config_static_selectorELNS0_4arch9wavefront6targetE0EEEvSO_: ; @_ZN7rocprim17ROCPRIM_400000_NS6detail17trampoline_kernelINS0_14default_configENS1_38merge_sort_block_merge_config_selectorIjN6thrust23THRUST_200600_302600_NS5tupleIffNS6_9null_typeES8_S8_S8_S8_S8_S8_S8_EEEEZZNS1_27merge_sort_block_merge_implIS3_NS6_6detail15normal_iteratorINS6_10device_ptrIjEEEENSD_INSE_IS9_EEEEjNS1_19radix_merge_compareILb0ELb1EjNS0_19identity_decomposerEEEEE10hipError_tT0_T1_T2_jT3_P12ihipStream_tbPNSt15iterator_traitsISN_E10value_typeEPNST_ISO_E10value_typeEPSP_NS1_7vsmem_tEENKUlT_SN_SO_SP_E_clISG_PjSI_PS9_EESM_S12_SN_SO_SP_EUlS12_E0_NS1_11comp_targetILNS1_3genE10ELNS1_11target_archE1201ELNS1_3gpuE5ELNS1_3repE0EEENS1_38merge_mergepath_config_static_selectorELNS0_4arch9wavefront6targetE0EEEvSO_
; %bb.0:
	s_clause 0x1
	s_load_b64 s[20:21], s[0:1], 0x40
	s_load_b64 s[2:3], s[0:1], 0x30
	s_lshr_b32 s4, ttmp7, 16
	s_and_b32 s5, ttmp7, 0xffff
	s_wait_kmcnt 0x0
	s_mul_i32 s4, s21, s4
	s_delay_alu instid0(SALU_CYCLE_1) | instskip(NEXT) | instid1(SALU_CYCLE_1)
	s_add_co_i32 s4, s4, s5
	s_mul_i32 s4, s4, s20
	s_delay_alu instid0(SALU_CYCLE_1) | instskip(NEXT) | instid1(SALU_CYCLE_1)
	s_add_co_i32 s18, s4, ttmp9
	s_cmp_ge_u32 s18, s2
	s_cbranch_scc1 .LBB124_38
; %bb.1:
	v_mov_b32_e32 v2, 0
	s_add_nc_u64 s[22:23], s[0:1], 64
	s_mov_b32 s19, 0
	v_lshlrev_b32_e32 v7, 2, v0
                                        ; implicit-def: $vgpr9
	global_load_b32 v1, v2, s[22:23] offset:14
	s_clause 0x1
	s_load_b256 s[4:11], s[0:1], 0x10
	s_load_b64 s[12:13], s[0:1], 0x38
	s_wait_kmcnt 0x0
	s_lshr_b32 s25, s10, 10
	s_delay_alu instid0(SALU_CYCLE_1)
	s_cmp_lg_u32 s18, s25
	s_cselect_b32 s24, -1, 0
	s_lshl_b64 s[14:15], s[18:19], 2
	s_lshr_b32 s2, s11, 9
	s_add_nc_u64 s[12:13], s[12:13], s[14:15]
	s_and_b32 s2, s2, 0x7ffffe
	s_load_b64 s[14:15], s[12:13], 0x0
	s_sub_co_i32 s2, 0, s2
	s_lshl_b32 s12, s18, 10
	s_and_b32 s13, s18, s2
	s_or_b32 s2, s18, s2
	s_lshl_b32 s16, s13, 11
	s_lshl_b32 s13, s13, 10
	s_add_co_i32 s16, s16, s11
	s_sub_co_i32 s17, s12, s13
	s_sub_co_i32 s13, s16, s13
	s_add_co_i32 s16, s16, s17
	s_min_u32 s21, s10, s13
	s_add_co_i32 s13, s13, s11
	s_wait_kmcnt 0x0
	s_sub_co_i32 s11, s16, s14
	s_sub_co_i32 s17, s16, s15
	s_min_u32 s16, s10, s11
	s_add_co_i32 s11, s17, 0x400
	s_cmp_eq_u32 s2, -1
	s_mov_b32 s17, s19
	s_cselect_b32 s2, s13, s11
	s_cselect_b32 s13, s21, s15
	s_mov_b32 s15, s19
	s_lshl_b64 s[26:27], s[16:17], 2
	s_min_u32 s11, s2, s10
	s_sub_co_i32 s2, s13, s14
	s_lshl_b64 s[28:29], s[14:15], 2
	s_cmp_lt_u32 ttmp9, s20
	s_mov_b32 s21, s19
	s_cselect_b32 s20, 12, 18
	s_cmp_eq_u32 s18, s25
	s_add_nc_u64 s[20:21], s[22:23], s[20:21]
	s_load_u16 s13, s[20:21], 0x0
	s_load_b64 s[20:21], s[0:1], 0x8
	s_mov_b32 s0, -1
	s_wait_kmcnt 0x0
	s_add_nc_u64 s[22:23], s[20:21], s[28:29]
	s_add_nc_u64 s[20:21], s[20:21], s[26:27]
	s_wait_loadcnt 0x0
	v_lshrrev_b32_e32 v3, 16, v1
	v_and_b32_e32 v1, 0xffff, v1
	s_delay_alu instid0(VALU_DEP_1) | instskip(NEXT) | instid1(VALU_DEP_1)
	v_mul_lo_u32 v1, v1, v3
	v_mul_lo_u32 v4, v1, s13
                                        ; implicit-def: $vgpr1
	s_delay_alu instid0(VALU_DEP_1)
	v_add_nc_u32_e32 v3, v4, v0
	s_cbranch_scc0 .LBB124_7
; %bb.2:
	s_and_not1_b32 vcc_lo, exec_lo, s0
	s_sub_co_i32 s1, s11, s16
	s_cbranch_vccz .LBB124_8
.LBB124_3:
	v_mov_b32_e32 v10, 0
	s_and_saveexec_b32 s11, s19
	s_cbranch_execz .LBB124_5
.LBB124_4:
	v_mov_b32_e32 v6, 0
	s_delay_alu instid0(VALU_DEP_1) | instskip(NEXT) | instid1(VALU_DEP_1)
	v_mov_b32_e32 v2, v6
	v_lshlrev_b64_e32 v[10:11], 2, v[1:2]
	s_delay_alu instid0(VALU_DEP_1) | instskip(SKIP_1) | instid1(VALU_DEP_2)
	v_add_co_u32 v8, vcc_lo, s22, v10
	s_wait_alu 0xfffd
	v_add_co_ci_u32_e64 v10, null, s23, v11, vcc_lo
	v_sub_co_u32 v5, vcc_lo, v1, s2
	s_delay_alu instid0(VALU_DEP_1) | instskip(NEXT) | instid1(VALU_DEP_1)
	v_lshlrev_b64_e32 v[1:2], 2, v[5:6]
	v_add_co_u32 v1, s0, s20, v1
	s_wait_alu 0xf1ff
	s_delay_alu instid0(VALU_DEP_2) | instskip(SKIP_1) | instid1(VALU_DEP_1)
	v_add_co_ci_u32_e64 v2, null, s21, v2, s0
	s_wait_alu 0xfffd
	v_dual_cndmask_b32 v1, v1, v8 :: v_dual_cndmask_b32 v2, v2, v10
	global_load_b32 v10, v[1:2], off
.LBB124_5:
	s_wait_alu 0xfffe
	s_or_b32 exec_lo, exec_lo, s11
	v_lshlrev_b32_e32 v8, 3, v0
	s_lshl_b64 s[14:15], s[14:15], 3
	s_lshl_b64 s[16:17], s[16:17], 3
	s_add_nc_u64 s[14:15], s[6:7], s[14:15]
	s_and_not1_b32 vcc_lo, exec_lo, s24
	s_add_nc_u64 s[6:7], s[6:7], s[16:17]
	s_wait_loadcnt 0x0
	ds_store_2addr_stride64_b32 v7, v9, v10 offset1:8
	s_wait_alu 0xfffe
	s_cbranch_vccnz .LBB124_11
; %bb.6:
	v_add_co_u32 v5, s0, s14, v8
	v_sub_co_u32 v1, vcc_lo, v0, s2
	v_mov_b32_e32 v2, 0
	s_wait_alu 0xf1ff
	v_add_co_ci_u32_e64 v6, null, s15, 0, s0
	s_delay_alu instid0(VALU_DEP_2) | instskip(NEXT) | instid1(VALU_DEP_1)
	v_lshlrev_b64_e32 v[1:2], 3, v[1:2]
	v_add_co_u32 v1, s0, s6, v1
	s_wait_alu 0xf1ff
	s_delay_alu instid0(VALU_DEP_2)
	v_add_co_ci_u32_e64 v2, null, s7, v2, s0
	s_add_co_i32 s0, s1, s2
	s_wait_alu 0xfffd
	v_cndmask_b32_e32 v1, v1, v5, vcc_lo
	v_dual_cndmask_b32 v2, v2, v6 :: v_dual_add_nc_u32 v5, v4, v0
	s_wait_alu 0xfffe
	v_mov_b32_e32 v11, s0
	s_mov_b32 s0, -1
	global_load_b64 v[1:2], v[1:2], off
	s_cbranch_execz .LBB124_12
	s_branch .LBB124_15
.LBB124_7:
	v_sub_co_u32 v1, vcc_lo, v0, s2
	v_add_co_u32 v5, s0, s22, v7
	s_delay_alu instid0(VALU_DEP_1) | instskip(NEXT) | instid1(VALU_DEP_3)
	v_add_co_ci_u32_e64 v6, null, s23, 0, s0
	v_lshlrev_b64_e32 v[1:2], 2, v[1:2]
	s_mov_b32 s19, -1
	s_delay_alu instid0(VALU_DEP_1) | instskip(SKIP_1) | instid1(VALU_DEP_2)
	v_add_co_u32 v1, s0, s20, v1
	s_wait_alu 0xf1ff
	v_add_co_ci_u32_e64 v2, null, s21, v2, s0
	s_delay_alu instid0(VALU_DEP_1)
	v_dual_cndmask_b32 v1, v1, v5 :: v_dual_cndmask_b32 v2, v2, v6
	global_load_b32 v9, v[1:2], off
	v_add_nc_u32_e32 v1, v4, v0
	s_sub_co_i32 s1, s11, s16
	s_cbranch_execnz .LBB124_3
.LBB124_8:
	s_wait_loadcnt 0x0
	v_mov_b32_e32 v9, 0
	s_wait_alu 0xfffe
	s_add_co_i32 s11, s1, s2
	s_mov_b32 s13, exec_lo
	v_cmpx_gt_u32_e64 s11, v0
	s_cbranch_execz .LBB124_10
; %bb.9:
	v_add_co_u32 v5, s0, s22, v7
	v_sub_co_u32 v1, vcc_lo, v0, s2
	v_mov_b32_e32 v2, 0
	s_wait_alu 0xf1ff
	v_add_co_ci_u32_e64 v6, null, s23, 0, s0
	s_delay_alu instid0(VALU_DEP_2) | instskip(NEXT) | instid1(VALU_DEP_1)
	v_lshlrev_b64_e32 v[1:2], 2, v[1:2]
	v_add_co_u32 v1, s0, s20, v1
	s_wait_alu 0xf1ff
	s_delay_alu instid0(VALU_DEP_2) | instskip(SKIP_1) | instid1(VALU_DEP_1)
	v_add_co_ci_u32_e64 v2, null, s21, v2, s0
	s_wait_alu 0xfffd
	v_dual_cndmask_b32 v1, v1, v5 :: v_dual_cndmask_b32 v2, v2, v6
	global_load_b32 v9, v[1:2], off
.LBB124_10:
	s_wait_alu 0xfffe
	s_or_b32 exec_lo, exec_lo, s13
	v_add_nc_u32_e32 v1, v4, v0
	s_delay_alu instid0(VALU_DEP_1)
	v_cmp_gt_u32_e64 s19, s11, v1
	v_mov_b32_e32 v10, 0
	s_and_saveexec_b32 s11, s19
	s_cbranch_execnz .LBB124_4
	s_branch .LBB124_5
.LBB124_11:
	s_mov_b32 s0, 0
                                        ; implicit-def: $vgpr5
                                        ; implicit-def: $vgpr1
                                        ; implicit-def: $vgpr11
.LBB124_12:
	s_wait_loadcnt 0x0
	v_dual_mov_b32 v2, 0 :: v_dual_mov_b32 v1, 0
	s_add_co_i32 s11, s1, s2
	s_mov_b32 s13, exec_lo
	s_wait_alu 0xfffe
	v_cmpx_gt_u32_e64 s11, v0
	s_cbranch_execz .LBB124_14
; %bb.13:
	v_add_co_u32 v4, s0, s14, v8
	v_sub_co_u32 v1, vcc_lo, v0, s2
	v_mov_b32_e32 v2, 0
	s_wait_alu 0xf1ff
	v_add_co_ci_u32_e64 v5, null, s15, 0, s0
	s_delay_alu instid0(VALU_DEP_2) | instskip(NEXT) | instid1(VALU_DEP_1)
	v_lshlrev_b64_e32 v[1:2], 3, v[1:2]
	v_add_co_u32 v1, s0, s6, v1
	s_wait_alu 0xf1ff
	s_delay_alu instid0(VALU_DEP_2) | instskip(SKIP_1) | instid1(VALU_DEP_1)
	v_add_co_ci_u32_e64 v2, null, s7, v2, s0
	s_wait_alu 0xfffd
	v_dual_cndmask_b32 v1, v1, v4 :: v_dual_cndmask_b32 v2, v2, v5
	global_load_b64 v[1:2], v[1:2], off
.LBB124_14:
	s_or_b32 exec_lo, exec_lo, s13
	v_cmp_gt_u32_e64 s0, s11, v3
	v_mov_b32_e32 v11, s11
	v_mov_b32_e32 v5, v3
.LBB124_15:
	v_dual_mov_b32 v4, 0 :: v_dual_mov_b32 v3, 0
	s_wait_alu 0xfffe
	s_and_saveexec_b32 s11, s0
	s_cbranch_execz .LBB124_17
; %bb.16:
	v_mov_b32_e32 v4, 0
	s_delay_alu instid0(VALU_DEP_1) | instskip(NEXT) | instid1(VALU_DEP_1)
	v_mov_b32_e32 v6, v4
	v_lshlrev_b64_e32 v[12:13], 3, v[5:6]
	s_delay_alu instid0(VALU_DEP_1) | instskip(SKIP_1) | instid1(VALU_DEP_2)
	v_add_co_u32 v6, vcc_lo, s14, v12
	s_wait_alu 0xfffd
	v_add_co_ci_u32_e64 v12, null, s15, v13, vcc_lo
	v_sub_co_u32 v3, vcc_lo, v5, s2
	s_delay_alu instid0(VALU_DEP_1) | instskip(NEXT) | instid1(VALU_DEP_1)
	v_lshlrev_b64_e32 v[3:4], 3, v[3:4]
	v_add_co_u32 v3, s0, s6, v3
	s_wait_alu 0xf1ff
	s_delay_alu instid0(VALU_DEP_2) | instskip(SKIP_1) | instid1(VALU_DEP_1)
	v_add_co_ci_u32_e64 v4, null, s7, v4, s0
	s_wait_alu 0xfffd
	v_dual_cndmask_b32 v3, v3, v6 :: v_dual_cndmask_b32 v4, v4, v12
	global_load_b64 v[3:4], v[3:4], off
.LBB124_17:
	s_wait_alu 0xfffe
	s_or_b32 exec_lo, exec_lo, s11
	v_lshlrev_b32_e32 v5, 1, v0
	s_mov_b32 s0, exec_lo
	s_wait_loadcnt_dscnt 0x0
	s_barrier_signal -1
	s_barrier_wait -1
	v_min_u32_e32 v12, v11, v5
	global_inv scope:SCOPE_SE
	v_sub_nc_u32_e64 v6, v12, s1 clamp
	v_min_u32_e32 v13, s2, v12
	s_delay_alu instid0(VALU_DEP_1)
	v_cmpx_lt_u32_e64 v6, v13
	s_cbranch_execz .LBB124_21
; %bb.18:
	v_lshlrev_b32_e32 v14, 2, v12
	s_mov_b32 s1, 0
	s_delay_alu instid0(VALU_DEP_1)
	v_lshl_add_u32 v14, s2, 2, v14
.LBB124_19:                             ; =>This Inner Loop Header: Depth=1
	v_add_nc_u32_e32 v15, v13, v6
	s_delay_alu instid0(VALU_DEP_1) | instskip(NEXT) | instid1(VALU_DEP_1)
	v_lshrrev_b32_e32 v15, 1, v15
	v_not_b32_e32 v16, v15
	v_add_nc_u32_e32 v18, 1, v15
	v_lshlrev_b32_e32 v17, 2, v15
	s_delay_alu instid0(VALU_DEP_3)
	v_lshl_add_u32 v16, v16, 2, v14
	ds_load_b32 v17, v17
	ds_load_b32 v16, v16
	s_wait_dscnt 0x1
	v_and_b32_e32 v17, s3, v17
	s_wait_dscnt 0x0
	v_and_b32_e32 v16, s3, v16
	s_delay_alu instid0(VALU_DEP_1) | instskip(SKIP_2) | instid1(VALU_DEP_1)
	v_cmp_gt_u32_e32 vcc_lo, v17, v16
	s_wait_alu 0xfffd
	v_dual_cndmask_b32 v13, v13, v15 :: v_dual_cndmask_b32 v6, v18, v6
	v_cmp_ge_u32_e32 vcc_lo, v6, v13
	s_wait_alu 0xfffe
	s_or_b32 s1, vcc_lo, s1
	s_wait_alu 0xfffe
	s_and_not1_b32 exec_lo, exec_lo, s1
	s_cbranch_execnz .LBB124_19
; %bb.20:
	s_or_b32 exec_lo, exec_lo, s1
.LBB124_21:
	s_wait_alu 0xfffe
	s_or_b32 exec_lo, exec_lo, s0
	v_sub_nc_u32_e32 v12, v12, v6
	v_cmp_ge_u32_e32 vcc_lo, s2, v6
	s_delay_alu instid0(VALU_DEP_2) | instskip(SKIP_1) | instid1(VALU_DEP_2)
	v_dual_mov_b32 v14, 0 :: v_dual_add_nc_u32 v13, s2, v12
	v_mov_b32_e32 v12, 0
	v_cmp_le_u32_e64 s0, v13, v11
	s_or_b32 s0, vcc_lo, s0
	s_wait_alu 0xfffe
	s_and_saveexec_b32 s6, s0
	s_cbranch_execz .LBB124_27
; %bb.22:
	v_cmp_gt_u32_e32 vcc_lo, s2, v6
                                        ; implicit-def: $vgpr9
	s_and_saveexec_b32 s0, vcc_lo
; %bb.23:
	v_lshlrev_b32_e32 v9, 2, v6
	ds_load_b32 v9, v9
; %bb.24:
	s_wait_alu 0xfffe
	s_or_b32 exec_lo, exec_lo, s0
	v_cmp_ge_u32_e64 s0, v13, v11
	s_mov_b32 s7, exec_lo
                                        ; implicit-def: $vgpr10
	v_cmpx_lt_u32_e64 v13, v11
; %bb.25:
	v_lshlrev_b32_e32 v10, 2, v13
	ds_load_b32 v10, v10
; %bb.26:
	s_wait_alu 0xfffe
	s_or_b32 exec_lo, exec_lo, s7
	s_wait_dscnt 0x0
	v_and_b32_e32 v12, s3, v10
	v_and_b32_e32 v14, s3, v9
	s_delay_alu instid0(VALU_DEP_1)
	v_cmp_le_u32_e64 s1, v14, v12
	s_and_b32 s1, vcc_lo, s1
	s_wait_alu 0xfffe
	s_or_b32 vcc_lo, s0, s1
	s_wait_alu 0xfffe
	v_cndmask_b32_e32 v12, v13, v6, vcc_lo
	v_cndmask_b32_e64 v14, v11, s2, vcc_lo
	s_delay_alu instid0(VALU_DEP_2) | instskip(NEXT) | instid1(VALU_DEP_2)
	v_add_nc_u32_e32 v15, 1, v12
	v_add_nc_u32_e32 v14, -1, v14
	s_delay_alu instid0(VALU_DEP_1) | instskip(NEXT) | instid1(VALU_DEP_1)
	v_min_u32_e32 v14, v15, v14
	v_lshlrev_b32_e32 v14, 2, v14
	ds_load_b32 v14, v14
	s_wait_dscnt 0x0
	v_cndmask_b32_e32 v16, v14, v10, vcc_lo
	v_dual_cndmask_b32 v17, v9, v14 :: v_dual_cndmask_b32 v6, v6, v15
	v_cndmask_b32_e32 v13, v15, v13, vcc_lo
	s_delay_alu instid0(VALU_DEP_3) | instskip(NEXT) | instid1(VALU_DEP_3)
	v_dual_cndmask_b32 v9, v10, v9 :: v_dual_and_b32 v14, s3, v16
	v_and_b32_e32 v18, s3, v17
	s_delay_alu instid0(VALU_DEP_4) | instskip(NEXT) | instid1(VALU_DEP_4)
	v_cmp_gt_u32_e64 s0, s2, v6
	v_cmp_ge_u32_e64 s2, v13, v11
	s_delay_alu instid0(VALU_DEP_3)
	v_cmp_le_u32_e64 s1, v18, v14
	s_and_b32 s0, s0, s1
	s_wait_alu 0xfffe
	s_or_b32 vcc_lo, s2, s0
	s_wait_alu 0xfffe
	v_cndmask_b32_e32 v14, v13, v6, vcc_lo
	v_cndmask_b32_e32 v10, v16, v17, vcc_lo
.LBB124_27:
	s_wait_alu 0xfffe
	s_or_b32 exec_lo, exec_lo, s6
	v_lshl_add_u32 v15, v0, 2, v7
	s_wait_loadcnt 0x0
	s_barrier_signal -1
	s_barrier_wait -1
	global_inv scope:SCOPE_SE
	ds_store_2addr_stride64_b64 v15, v[1:2], v[3:4] offset1:8
	v_lshlrev_b32_e32 v1, 3, v12
	v_lshlrev_b32_e32 v3, 3, v14
	s_wait_loadcnt_dscnt 0x0
	s_barrier_signal -1
	s_barrier_wait -1
	global_inv scope:SCOPE_SE
	ds_load_b64 v[1:2], v1
	ds_load_b64 v[3:4], v3
	v_lshrrev_b32_e32 v6, 4, v0
	v_or_b32_e32 v12, 0x200, v0
	s_mov_b32 s13, 0
	v_lshrrev_b32_e32 v13, 5, v0
	s_wait_alu 0xfffe
	s_lshl_b64 s[0:1], s[12:13], 2
	v_lshl_add_u32 v11, v6, 2, v15
	v_add_nc_u32_e32 v14, v6, v5
	v_lshrrev_b32_e32 v16, 5, v12
	s_wait_alu 0xfffe
	s_add_nc_u64 s[0:1], s[4:5], s[0:1]
	s_wait_loadcnt_dscnt 0x0
	s_wait_alu 0xfffe
	v_add_co_u32 v5, s0, s0, v7
	s_barrier_signal -1
	s_barrier_wait -1
	global_inv scope:SCOPE_SE
	s_wait_loadcnt 0x0
	s_barrier_signal -1
	s_barrier_wait -1
	global_inv scope:SCOPE_SE
	ds_store_2addr_b32 v11, v9, v10 offset1:1
	v_add_nc_u32_e32 v9, v13, v0
	v_lshl_add_u32 v10, v13, 2, v7
	v_lshl_add_u32 v13, v16, 2, v7
	s_wait_alu 0xf1ff
	v_add_co_ci_u32_e64 v6, null, s1, 0, s0
	v_lshl_add_u32 v11, v14, 2, v11
	v_lshl_add_u32 v7, v16, 3, v15
	s_and_b32 vcc_lo, exec_lo, s24
	s_mov_b32 s0, -1
	s_wait_loadcnt_dscnt 0x0
	s_wait_alu 0xfffe
	s_cbranch_vccz .LBB124_29
; %bb.28:
	s_barrier_signal -1
	s_barrier_wait -1
	global_inv scope:SCOPE_SE
	ds_load_b32 v14, v10
	ds_load_b32 v15, v13 offset:2048
	v_lshl_add_u32 v16, v9, 2, v10
	s_lshl_b64 s[0:1], s[12:13], 3
	s_wait_dscnt 0x1
	global_store_b32 v[5:6], v14, off
	s_wait_dscnt 0x0
	global_store_b32 v[5:6], v15, off offset:2048
	s_wait_loadcnt 0x0
	s_wait_storecnt 0x0
	s_barrier_signal -1
	s_barrier_wait -1
	global_inv scope:SCOPE_SE
	ds_store_2addr_b64 v11, v[1:2], v[3:4] offset1:1
	s_wait_loadcnt_dscnt 0x0
	s_barrier_signal -1
	s_barrier_wait -1
	global_inv scope:SCOPE_SE
	ds_load_b64 v[14:15], v16
	ds_load_b64 v[16:17], v7 offset:4096
	s_wait_alu 0xfffe
	s_add_nc_u64 s[2:3], s[8:9], s[0:1]
	s_mov_b32 s0, s13
	s_wait_dscnt 0x1
	global_store_b64 v8, v[14:15], s[2:3]
	s_wait_dscnt 0x0
	global_store_b64 v8, v[16:17], s[2:3] offset:4096
.LBB124_29:
	s_wait_alu 0xfffe
	s_and_not1_b32 vcc_lo, exec_lo, s0
	s_wait_alu 0xfffe
	s_cbranch_vccnz .LBB124_38
; %bb.30:
	s_barrier_signal -1
	s_barrier_wait -1
	s_wait_loadcnt 0x0
	s_wait_storecnt 0x0
	global_inv scope:SCOPE_SE
	ds_load_b32 v13, v13 offset:2048
	s_sub_co_i32 s0, s10, s12
	s_wait_alu 0xfffe
	v_cmp_gt_u32_e32 vcc_lo, s0, v0
	s_and_saveexec_b32 s1, vcc_lo
	s_cbranch_execz .LBB124_32
; %bb.31:
	ds_load_b32 v0, v10
	s_wait_dscnt 0x0
	global_store_b32 v[5:6], v0, off
.LBB124_32:
	s_wait_alu 0xfffe
	s_or_b32 exec_lo, exec_lo, s1
	v_cmp_gt_u32_e64 s0, s0, v12
	s_and_saveexec_b32 s1, s0
	s_cbranch_execz .LBB124_34
; %bb.33:
	s_wait_dscnt 0x0
	global_store_b32 v[5:6], v13, off offset:2048
.LBB124_34:
	s_wait_alu 0xfffe
	s_or_b32 exec_lo, exec_lo, s1
	s_wait_storecnt 0x0
	s_wait_loadcnt_dscnt 0x0
	s_barrier_signal -1
	s_barrier_wait -1
	global_inv scope:SCOPE_SE
	ds_store_2addr_b64 v11, v[1:2], v[3:4] offset1:1
	s_wait_loadcnt_dscnt 0x0
	s_barrier_signal -1
	s_barrier_wait -1
	global_inv scope:SCOPE_SE
	ds_load_b64 v[0:1], v7 offset:4096
	s_lshl_b64 s[2:3], s[12:13], 3
	s_wait_alu 0xfffe
	s_add_nc_u64 s[2:3], s[8:9], s[2:3]
	s_wait_alu 0xfffe
	v_add_co_u32 v2, s1, s2, v8
	s_wait_alu 0xf1ff
	v_add_co_ci_u32_e64 v3, null, s3, 0, s1
	s_and_saveexec_b32 s1, vcc_lo
	s_cbranch_execz .LBB124_36
; %bb.35:
	v_lshl_add_u32 v4, v9, 2, v10
	ds_load_b64 v[4:5], v4
	s_wait_dscnt 0x0
	global_store_b64 v[2:3], v[4:5], off
.LBB124_36:
	s_wait_alu 0xfffe
	s_or_b32 exec_lo, exec_lo, s1
	s_and_saveexec_b32 s1, s0
	s_cbranch_execz .LBB124_38
; %bb.37:
	s_wait_dscnt 0x0
	global_store_b64 v[2:3], v[0:1], off offset:4096
.LBB124_38:
	s_endpgm
	.section	.rodata,"a",@progbits
	.p2align	6, 0x0
	.amdhsa_kernel _ZN7rocprim17ROCPRIM_400000_NS6detail17trampoline_kernelINS0_14default_configENS1_38merge_sort_block_merge_config_selectorIjN6thrust23THRUST_200600_302600_NS5tupleIffNS6_9null_typeES8_S8_S8_S8_S8_S8_S8_EEEEZZNS1_27merge_sort_block_merge_implIS3_NS6_6detail15normal_iteratorINS6_10device_ptrIjEEEENSD_INSE_IS9_EEEEjNS1_19radix_merge_compareILb0ELb1EjNS0_19identity_decomposerEEEEE10hipError_tT0_T1_T2_jT3_P12ihipStream_tbPNSt15iterator_traitsISN_E10value_typeEPNST_ISO_E10value_typeEPSP_NS1_7vsmem_tEENKUlT_SN_SO_SP_E_clISG_PjSI_PS9_EESM_S12_SN_SO_SP_EUlS12_E0_NS1_11comp_targetILNS1_3genE10ELNS1_11target_archE1201ELNS1_3gpuE5ELNS1_3repE0EEENS1_38merge_mergepath_config_static_selectorELNS0_4arch9wavefront6targetE0EEEvSO_
		.amdhsa_group_segment_fixed_size 8448
		.amdhsa_private_segment_fixed_size 0
		.amdhsa_kernarg_size 320
		.amdhsa_user_sgpr_count 2
		.amdhsa_user_sgpr_dispatch_ptr 0
		.amdhsa_user_sgpr_queue_ptr 0
		.amdhsa_user_sgpr_kernarg_segment_ptr 1
		.amdhsa_user_sgpr_dispatch_id 0
		.amdhsa_user_sgpr_private_segment_size 0
		.amdhsa_wavefront_size32 1
		.amdhsa_uses_dynamic_stack 0
		.amdhsa_enable_private_segment 0
		.amdhsa_system_sgpr_workgroup_id_x 1
		.amdhsa_system_sgpr_workgroup_id_y 1
		.amdhsa_system_sgpr_workgroup_id_z 1
		.amdhsa_system_sgpr_workgroup_info 0
		.amdhsa_system_vgpr_workitem_id 0
		.amdhsa_next_free_vgpr 19
		.amdhsa_next_free_sgpr 30
		.amdhsa_reserve_vcc 1
		.amdhsa_float_round_mode_32 0
		.amdhsa_float_round_mode_16_64 0
		.amdhsa_float_denorm_mode_32 3
		.amdhsa_float_denorm_mode_16_64 3
		.amdhsa_fp16_overflow 0
		.amdhsa_workgroup_processor_mode 1
		.amdhsa_memory_ordered 1
		.amdhsa_forward_progress 1
		.amdhsa_inst_pref_size 20
		.amdhsa_round_robin_scheduling 0
		.amdhsa_exception_fp_ieee_invalid_op 0
		.amdhsa_exception_fp_denorm_src 0
		.amdhsa_exception_fp_ieee_div_zero 0
		.amdhsa_exception_fp_ieee_overflow 0
		.amdhsa_exception_fp_ieee_underflow 0
		.amdhsa_exception_fp_ieee_inexact 0
		.amdhsa_exception_int_div_zero 0
	.end_amdhsa_kernel
	.section	.text._ZN7rocprim17ROCPRIM_400000_NS6detail17trampoline_kernelINS0_14default_configENS1_38merge_sort_block_merge_config_selectorIjN6thrust23THRUST_200600_302600_NS5tupleIffNS6_9null_typeES8_S8_S8_S8_S8_S8_S8_EEEEZZNS1_27merge_sort_block_merge_implIS3_NS6_6detail15normal_iteratorINS6_10device_ptrIjEEEENSD_INSE_IS9_EEEEjNS1_19radix_merge_compareILb0ELb1EjNS0_19identity_decomposerEEEEE10hipError_tT0_T1_T2_jT3_P12ihipStream_tbPNSt15iterator_traitsISN_E10value_typeEPNST_ISO_E10value_typeEPSP_NS1_7vsmem_tEENKUlT_SN_SO_SP_E_clISG_PjSI_PS9_EESM_S12_SN_SO_SP_EUlS12_E0_NS1_11comp_targetILNS1_3genE10ELNS1_11target_archE1201ELNS1_3gpuE5ELNS1_3repE0EEENS1_38merge_mergepath_config_static_selectorELNS0_4arch9wavefront6targetE0EEEvSO_,"axG",@progbits,_ZN7rocprim17ROCPRIM_400000_NS6detail17trampoline_kernelINS0_14default_configENS1_38merge_sort_block_merge_config_selectorIjN6thrust23THRUST_200600_302600_NS5tupleIffNS6_9null_typeES8_S8_S8_S8_S8_S8_S8_EEEEZZNS1_27merge_sort_block_merge_implIS3_NS6_6detail15normal_iteratorINS6_10device_ptrIjEEEENSD_INSE_IS9_EEEEjNS1_19radix_merge_compareILb0ELb1EjNS0_19identity_decomposerEEEEE10hipError_tT0_T1_T2_jT3_P12ihipStream_tbPNSt15iterator_traitsISN_E10value_typeEPNST_ISO_E10value_typeEPSP_NS1_7vsmem_tEENKUlT_SN_SO_SP_E_clISG_PjSI_PS9_EESM_S12_SN_SO_SP_EUlS12_E0_NS1_11comp_targetILNS1_3genE10ELNS1_11target_archE1201ELNS1_3gpuE5ELNS1_3repE0EEENS1_38merge_mergepath_config_static_selectorELNS0_4arch9wavefront6targetE0EEEvSO_,comdat
.Lfunc_end124:
	.size	_ZN7rocprim17ROCPRIM_400000_NS6detail17trampoline_kernelINS0_14default_configENS1_38merge_sort_block_merge_config_selectorIjN6thrust23THRUST_200600_302600_NS5tupleIffNS6_9null_typeES8_S8_S8_S8_S8_S8_S8_EEEEZZNS1_27merge_sort_block_merge_implIS3_NS6_6detail15normal_iteratorINS6_10device_ptrIjEEEENSD_INSE_IS9_EEEEjNS1_19radix_merge_compareILb0ELb1EjNS0_19identity_decomposerEEEEE10hipError_tT0_T1_T2_jT3_P12ihipStream_tbPNSt15iterator_traitsISN_E10value_typeEPNST_ISO_E10value_typeEPSP_NS1_7vsmem_tEENKUlT_SN_SO_SP_E_clISG_PjSI_PS9_EESM_S12_SN_SO_SP_EUlS12_E0_NS1_11comp_targetILNS1_3genE10ELNS1_11target_archE1201ELNS1_3gpuE5ELNS1_3repE0EEENS1_38merge_mergepath_config_static_selectorELNS0_4arch9wavefront6targetE0EEEvSO_, .Lfunc_end124-_ZN7rocprim17ROCPRIM_400000_NS6detail17trampoline_kernelINS0_14default_configENS1_38merge_sort_block_merge_config_selectorIjN6thrust23THRUST_200600_302600_NS5tupleIffNS6_9null_typeES8_S8_S8_S8_S8_S8_S8_EEEEZZNS1_27merge_sort_block_merge_implIS3_NS6_6detail15normal_iteratorINS6_10device_ptrIjEEEENSD_INSE_IS9_EEEEjNS1_19radix_merge_compareILb0ELb1EjNS0_19identity_decomposerEEEEE10hipError_tT0_T1_T2_jT3_P12ihipStream_tbPNSt15iterator_traitsISN_E10value_typeEPNST_ISO_E10value_typeEPSP_NS1_7vsmem_tEENKUlT_SN_SO_SP_E_clISG_PjSI_PS9_EESM_S12_SN_SO_SP_EUlS12_E0_NS1_11comp_targetILNS1_3genE10ELNS1_11target_archE1201ELNS1_3gpuE5ELNS1_3repE0EEENS1_38merge_mergepath_config_static_selectorELNS0_4arch9wavefront6targetE0EEEvSO_
                                        ; -- End function
	.set _ZN7rocprim17ROCPRIM_400000_NS6detail17trampoline_kernelINS0_14default_configENS1_38merge_sort_block_merge_config_selectorIjN6thrust23THRUST_200600_302600_NS5tupleIffNS6_9null_typeES8_S8_S8_S8_S8_S8_S8_EEEEZZNS1_27merge_sort_block_merge_implIS3_NS6_6detail15normal_iteratorINS6_10device_ptrIjEEEENSD_INSE_IS9_EEEEjNS1_19radix_merge_compareILb0ELb1EjNS0_19identity_decomposerEEEEE10hipError_tT0_T1_T2_jT3_P12ihipStream_tbPNSt15iterator_traitsISN_E10value_typeEPNST_ISO_E10value_typeEPSP_NS1_7vsmem_tEENKUlT_SN_SO_SP_E_clISG_PjSI_PS9_EESM_S12_SN_SO_SP_EUlS12_E0_NS1_11comp_targetILNS1_3genE10ELNS1_11target_archE1201ELNS1_3gpuE5ELNS1_3repE0EEENS1_38merge_mergepath_config_static_selectorELNS0_4arch9wavefront6targetE0EEEvSO_.num_vgpr, 19
	.set _ZN7rocprim17ROCPRIM_400000_NS6detail17trampoline_kernelINS0_14default_configENS1_38merge_sort_block_merge_config_selectorIjN6thrust23THRUST_200600_302600_NS5tupleIffNS6_9null_typeES8_S8_S8_S8_S8_S8_S8_EEEEZZNS1_27merge_sort_block_merge_implIS3_NS6_6detail15normal_iteratorINS6_10device_ptrIjEEEENSD_INSE_IS9_EEEEjNS1_19radix_merge_compareILb0ELb1EjNS0_19identity_decomposerEEEEE10hipError_tT0_T1_T2_jT3_P12ihipStream_tbPNSt15iterator_traitsISN_E10value_typeEPNST_ISO_E10value_typeEPSP_NS1_7vsmem_tEENKUlT_SN_SO_SP_E_clISG_PjSI_PS9_EESM_S12_SN_SO_SP_EUlS12_E0_NS1_11comp_targetILNS1_3genE10ELNS1_11target_archE1201ELNS1_3gpuE5ELNS1_3repE0EEENS1_38merge_mergepath_config_static_selectorELNS0_4arch9wavefront6targetE0EEEvSO_.num_agpr, 0
	.set _ZN7rocprim17ROCPRIM_400000_NS6detail17trampoline_kernelINS0_14default_configENS1_38merge_sort_block_merge_config_selectorIjN6thrust23THRUST_200600_302600_NS5tupleIffNS6_9null_typeES8_S8_S8_S8_S8_S8_S8_EEEEZZNS1_27merge_sort_block_merge_implIS3_NS6_6detail15normal_iteratorINS6_10device_ptrIjEEEENSD_INSE_IS9_EEEEjNS1_19radix_merge_compareILb0ELb1EjNS0_19identity_decomposerEEEEE10hipError_tT0_T1_T2_jT3_P12ihipStream_tbPNSt15iterator_traitsISN_E10value_typeEPNST_ISO_E10value_typeEPSP_NS1_7vsmem_tEENKUlT_SN_SO_SP_E_clISG_PjSI_PS9_EESM_S12_SN_SO_SP_EUlS12_E0_NS1_11comp_targetILNS1_3genE10ELNS1_11target_archE1201ELNS1_3gpuE5ELNS1_3repE0EEENS1_38merge_mergepath_config_static_selectorELNS0_4arch9wavefront6targetE0EEEvSO_.numbered_sgpr, 30
	.set _ZN7rocprim17ROCPRIM_400000_NS6detail17trampoline_kernelINS0_14default_configENS1_38merge_sort_block_merge_config_selectorIjN6thrust23THRUST_200600_302600_NS5tupleIffNS6_9null_typeES8_S8_S8_S8_S8_S8_S8_EEEEZZNS1_27merge_sort_block_merge_implIS3_NS6_6detail15normal_iteratorINS6_10device_ptrIjEEEENSD_INSE_IS9_EEEEjNS1_19radix_merge_compareILb0ELb1EjNS0_19identity_decomposerEEEEE10hipError_tT0_T1_T2_jT3_P12ihipStream_tbPNSt15iterator_traitsISN_E10value_typeEPNST_ISO_E10value_typeEPSP_NS1_7vsmem_tEENKUlT_SN_SO_SP_E_clISG_PjSI_PS9_EESM_S12_SN_SO_SP_EUlS12_E0_NS1_11comp_targetILNS1_3genE10ELNS1_11target_archE1201ELNS1_3gpuE5ELNS1_3repE0EEENS1_38merge_mergepath_config_static_selectorELNS0_4arch9wavefront6targetE0EEEvSO_.num_named_barrier, 0
	.set _ZN7rocprim17ROCPRIM_400000_NS6detail17trampoline_kernelINS0_14default_configENS1_38merge_sort_block_merge_config_selectorIjN6thrust23THRUST_200600_302600_NS5tupleIffNS6_9null_typeES8_S8_S8_S8_S8_S8_S8_EEEEZZNS1_27merge_sort_block_merge_implIS3_NS6_6detail15normal_iteratorINS6_10device_ptrIjEEEENSD_INSE_IS9_EEEEjNS1_19radix_merge_compareILb0ELb1EjNS0_19identity_decomposerEEEEE10hipError_tT0_T1_T2_jT3_P12ihipStream_tbPNSt15iterator_traitsISN_E10value_typeEPNST_ISO_E10value_typeEPSP_NS1_7vsmem_tEENKUlT_SN_SO_SP_E_clISG_PjSI_PS9_EESM_S12_SN_SO_SP_EUlS12_E0_NS1_11comp_targetILNS1_3genE10ELNS1_11target_archE1201ELNS1_3gpuE5ELNS1_3repE0EEENS1_38merge_mergepath_config_static_selectorELNS0_4arch9wavefront6targetE0EEEvSO_.private_seg_size, 0
	.set _ZN7rocprim17ROCPRIM_400000_NS6detail17trampoline_kernelINS0_14default_configENS1_38merge_sort_block_merge_config_selectorIjN6thrust23THRUST_200600_302600_NS5tupleIffNS6_9null_typeES8_S8_S8_S8_S8_S8_S8_EEEEZZNS1_27merge_sort_block_merge_implIS3_NS6_6detail15normal_iteratorINS6_10device_ptrIjEEEENSD_INSE_IS9_EEEEjNS1_19radix_merge_compareILb0ELb1EjNS0_19identity_decomposerEEEEE10hipError_tT0_T1_T2_jT3_P12ihipStream_tbPNSt15iterator_traitsISN_E10value_typeEPNST_ISO_E10value_typeEPSP_NS1_7vsmem_tEENKUlT_SN_SO_SP_E_clISG_PjSI_PS9_EESM_S12_SN_SO_SP_EUlS12_E0_NS1_11comp_targetILNS1_3genE10ELNS1_11target_archE1201ELNS1_3gpuE5ELNS1_3repE0EEENS1_38merge_mergepath_config_static_selectorELNS0_4arch9wavefront6targetE0EEEvSO_.uses_vcc, 1
	.set _ZN7rocprim17ROCPRIM_400000_NS6detail17trampoline_kernelINS0_14default_configENS1_38merge_sort_block_merge_config_selectorIjN6thrust23THRUST_200600_302600_NS5tupleIffNS6_9null_typeES8_S8_S8_S8_S8_S8_S8_EEEEZZNS1_27merge_sort_block_merge_implIS3_NS6_6detail15normal_iteratorINS6_10device_ptrIjEEEENSD_INSE_IS9_EEEEjNS1_19radix_merge_compareILb0ELb1EjNS0_19identity_decomposerEEEEE10hipError_tT0_T1_T2_jT3_P12ihipStream_tbPNSt15iterator_traitsISN_E10value_typeEPNST_ISO_E10value_typeEPSP_NS1_7vsmem_tEENKUlT_SN_SO_SP_E_clISG_PjSI_PS9_EESM_S12_SN_SO_SP_EUlS12_E0_NS1_11comp_targetILNS1_3genE10ELNS1_11target_archE1201ELNS1_3gpuE5ELNS1_3repE0EEENS1_38merge_mergepath_config_static_selectorELNS0_4arch9wavefront6targetE0EEEvSO_.uses_flat_scratch, 0
	.set _ZN7rocprim17ROCPRIM_400000_NS6detail17trampoline_kernelINS0_14default_configENS1_38merge_sort_block_merge_config_selectorIjN6thrust23THRUST_200600_302600_NS5tupleIffNS6_9null_typeES8_S8_S8_S8_S8_S8_S8_EEEEZZNS1_27merge_sort_block_merge_implIS3_NS6_6detail15normal_iteratorINS6_10device_ptrIjEEEENSD_INSE_IS9_EEEEjNS1_19radix_merge_compareILb0ELb1EjNS0_19identity_decomposerEEEEE10hipError_tT0_T1_T2_jT3_P12ihipStream_tbPNSt15iterator_traitsISN_E10value_typeEPNST_ISO_E10value_typeEPSP_NS1_7vsmem_tEENKUlT_SN_SO_SP_E_clISG_PjSI_PS9_EESM_S12_SN_SO_SP_EUlS12_E0_NS1_11comp_targetILNS1_3genE10ELNS1_11target_archE1201ELNS1_3gpuE5ELNS1_3repE0EEENS1_38merge_mergepath_config_static_selectorELNS0_4arch9wavefront6targetE0EEEvSO_.has_dyn_sized_stack, 0
	.set _ZN7rocprim17ROCPRIM_400000_NS6detail17trampoline_kernelINS0_14default_configENS1_38merge_sort_block_merge_config_selectorIjN6thrust23THRUST_200600_302600_NS5tupleIffNS6_9null_typeES8_S8_S8_S8_S8_S8_S8_EEEEZZNS1_27merge_sort_block_merge_implIS3_NS6_6detail15normal_iteratorINS6_10device_ptrIjEEEENSD_INSE_IS9_EEEEjNS1_19radix_merge_compareILb0ELb1EjNS0_19identity_decomposerEEEEE10hipError_tT0_T1_T2_jT3_P12ihipStream_tbPNSt15iterator_traitsISN_E10value_typeEPNST_ISO_E10value_typeEPSP_NS1_7vsmem_tEENKUlT_SN_SO_SP_E_clISG_PjSI_PS9_EESM_S12_SN_SO_SP_EUlS12_E0_NS1_11comp_targetILNS1_3genE10ELNS1_11target_archE1201ELNS1_3gpuE5ELNS1_3repE0EEENS1_38merge_mergepath_config_static_selectorELNS0_4arch9wavefront6targetE0EEEvSO_.has_recursion, 0
	.set _ZN7rocprim17ROCPRIM_400000_NS6detail17trampoline_kernelINS0_14default_configENS1_38merge_sort_block_merge_config_selectorIjN6thrust23THRUST_200600_302600_NS5tupleIffNS6_9null_typeES8_S8_S8_S8_S8_S8_S8_EEEEZZNS1_27merge_sort_block_merge_implIS3_NS6_6detail15normal_iteratorINS6_10device_ptrIjEEEENSD_INSE_IS9_EEEEjNS1_19radix_merge_compareILb0ELb1EjNS0_19identity_decomposerEEEEE10hipError_tT0_T1_T2_jT3_P12ihipStream_tbPNSt15iterator_traitsISN_E10value_typeEPNST_ISO_E10value_typeEPSP_NS1_7vsmem_tEENKUlT_SN_SO_SP_E_clISG_PjSI_PS9_EESM_S12_SN_SO_SP_EUlS12_E0_NS1_11comp_targetILNS1_3genE10ELNS1_11target_archE1201ELNS1_3gpuE5ELNS1_3repE0EEENS1_38merge_mergepath_config_static_selectorELNS0_4arch9wavefront6targetE0EEEvSO_.has_indirect_call, 0
	.section	.AMDGPU.csdata,"",@progbits
; Kernel info:
; codeLenInByte = 2512
; TotalNumSgprs: 32
; NumVgprs: 19
; ScratchSize: 0
; MemoryBound: 0
; FloatMode: 240
; IeeeMode: 1
; LDSByteSize: 8448 bytes/workgroup (compile time only)
; SGPRBlocks: 0
; VGPRBlocks: 2
; NumSGPRsForWavesPerEU: 32
; NumVGPRsForWavesPerEU: 19
; Occupancy: 16
; WaveLimiterHint : 1
; COMPUTE_PGM_RSRC2:SCRATCH_EN: 0
; COMPUTE_PGM_RSRC2:USER_SGPR: 2
; COMPUTE_PGM_RSRC2:TRAP_HANDLER: 0
; COMPUTE_PGM_RSRC2:TGID_X_EN: 1
; COMPUTE_PGM_RSRC2:TGID_Y_EN: 1
; COMPUTE_PGM_RSRC2:TGID_Z_EN: 1
; COMPUTE_PGM_RSRC2:TIDIG_COMP_CNT: 0
	.section	.text._ZN7rocprim17ROCPRIM_400000_NS6detail17trampoline_kernelINS0_14default_configENS1_38merge_sort_block_merge_config_selectorIjN6thrust23THRUST_200600_302600_NS5tupleIffNS6_9null_typeES8_S8_S8_S8_S8_S8_S8_EEEEZZNS1_27merge_sort_block_merge_implIS3_NS6_6detail15normal_iteratorINS6_10device_ptrIjEEEENSD_INSE_IS9_EEEEjNS1_19radix_merge_compareILb0ELb1EjNS0_19identity_decomposerEEEEE10hipError_tT0_T1_T2_jT3_P12ihipStream_tbPNSt15iterator_traitsISN_E10value_typeEPNST_ISO_E10value_typeEPSP_NS1_7vsmem_tEENKUlT_SN_SO_SP_E_clISG_PjSI_PS9_EESM_S12_SN_SO_SP_EUlS12_E0_NS1_11comp_targetILNS1_3genE5ELNS1_11target_archE942ELNS1_3gpuE9ELNS1_3repE0EEENS1_38merge_mergepath_config_static_selectorELNS0_4arch9wavefront6targetE0EEEvSO_,"axG",@progbits,_ZN7rocprim17ROCPRIM_400000_NS6detail17trampoline_kernelINS0_14default_configENS1_38merge_sort_block_merge_config_selectorIjN6thrust23THRUST_200600_302600_NS5tupleIffNS6_9null_typeES8_S8_S8_S8_S8_S8_S8_EEEEZZNS1_27merge_sort_block_merge_implIS3_NS6_6detail15normal_iteratorINS6_10device_ptrIjEEEENSD_INSE_IS9_EEEEjNS1_19radix_merge_compareILb0ELb1EjNS0_19identity_decomposerEEEEE10hipError_tT0_T1_T2_jT3_P12ihipStream_tbPNSt15iterator_traitsISN_E10value_typeEPNST_ISO_E10value_typeEPSP_NS1_7vsmem_tEENKUlT_SN_SO_SP_E_clISG_PjSI_PS9_EESM_S12_SN_SO_SP_EUlS12_E0_NS1_11comp_targetILNS1_3genE5ELNS1_11target_archE942ELNS1_3gpuE9ELNS1_3repE0EEENS1_38merge_mergepath_config_static_selectorELNS0_4arch9wavefront6targetE0EEEvSO_,comdat
	.protected	_ZN7rocprim17ROCPRIM_400000_NS6detail17trampoline_kernelINS0_14default_configENS1_38merge_sort_block_merge_config_selectorIjN6thrust23THRUST_200600_302600_NS5tupleIffNS6_9null_typeES8_S8_S8_S8_S8_S8_S8_EEEEZZNS1_27merge_sort_block_merge_implIS3_NS6_6detail15normal_iteratorINS6_10device_ptrIjEEEENSD_INSE_IS9_EEEEjNS1_19radix_merge_compareILb0ELb1EjNS0_19identity_decomposerEEEEE10hipError_tT0_T1_T2_jT3_P12ihipStream_tbPNSt15iterator_traitsISN_E10value_typeEPNST_ISO_E10value_typeEPSP_NS1_7vsmem_tEENKUlT_SN_SO_SP_E_clISG_PjSI_PS9_EESM_S12_SN_SO_SP_EUlS12_E0_NS1_11comp_targetILNS1_3genE5ELNS1_11target_archE942ELNS1_3gpuE9ELNS1_3repE0EEENS1_38merge_mergepath_config_static_selectorELNS0_4arch9wavefront6targetE0EEEvSO_ ; -- Begin function _ZN7rocprim17ROCPRIM_400000_NS6detail17trampoline_kernelINS0_14default_configENS1_38merge_sort_block_merge_config_selectorIjN6thrust23THRUST_200600_302600_NS5tupleIffNS6_9null_typeES8_S8_S8_S8_S8_S8_S8_EEEEZZNS1_27merge_sort_block_merge_implIS3_NS6_6detail15normal_iteratorINS6_10device_ptrIjEEEENSD_INSE_IS9_EEEEjNS1_19radix_merge_compareILb0ELb1EjNS0_19identity_decomposerEEEEE10hipError_tT0_T1_T2_jT3_P12ihipStream_tbPNSt15iterator_traitsISN_E10value_typeEPNST_ISO_E10value_typeEPSP_NS1_7vsmem_tEENKUlT_SN_SO_SP_E_clISG_PjSI_PS9_EESM_S12_SN_SO_SP_EUlS12_E0_NS1_11comp_targetILNS1_3genE5ELNS1_11target_archE942ELNS1_3gpuE9ELNS1_3repE0EEENS1_38merge_mergepath_config_static_selectorELNS0_4arch9wavefront6targetE0EEEvSO_
	.globl	_ZN7rocprim17ROCPRIM_400000_NS6detail17trampoline_kernelINS0_14default_configENS1_38merge_sort_block_merge_config_selectorIjN6thrust23THRUST_200600_302600_NS5tupleIffNS6_9null_typeES8_S8_S8_S8_S8_S8_S8_EEEEZZNS1_27merge_sort_block_merge_implIS3_NS6_6detail15normal_iteratorINS6_10device_ptrIjEEEENSD_INSE_IS9_EEEEjNS1_19radix_merge_compareILb0ELb1EjNS0_19identity_decomposerEEEEE10hipError_tT0_T1_T2_jT3_P12ihipStream_tbPNSt15iterator_traitsISN_E10value_typeEPNST_ISO_E10value_typeEPSP_NS1_7vsmem_tEENKUlT_SN_SO_SP_E_clISG_PjSI_PS9_EESM_S12_SN_SO_SP_EUlS12_E0_NS1_11comp_targetILNS1_3genE5ELNS1_11target_archE942ELNS1_3gpuE9ELNS1_3repE0EEENS1_38merge_mergepath_config_static_selectorELNS0_4arch9wavefront6targetE0EEEvSO_
	.p2align	8
	.type	_ZN7rocprim17ROCPRIM_400000_NS6detail17trampoline_kernelINS0_14default_configENS1_38merge_sort_block_merge_config_selectorIjN6thrust23THRUST_200600_302600_NS5tupleIffNS6_9null_typeES8_S8_S8_S8_S8_S8_S8_EEEEZZNS1_27merge_sort_block_merge_implIS3_NS6_6detail15normal_iteratorINS6_10device_ptrIjEEEENSD_INSE_IS9_EEEEjNS1_19radix_merge_compareILb0ELb1EjNS0_19identity_decomposerEEEEE10hipError_tT0_T1_T2_jT3_P12ihipStream_tbPNSt15iterator_traitsISN_E10value_typeEPNST_ISO_E10value_typeEPSP_NS1_7vsmem_tEENKUlT_SN_SO_SP_E_clISG_PjSI_PS9_EESM_S12_SN_SO_SP_EUlS12_E0_NS1_11comp_targetILNS1_3genE5ELNS1_11target_archE942ELNS1_3gpuE9ELNS1_3repE0EEENS1_38merge_mergepath_config_static_selectorELNS0_4arch9wavefront6targetE0EEEvSO_,@function
_ZN7rocprim17ROCPRIM_400000_NS6detail17trampoline_kernelINS0_14default_configENS1_38merge_sort_block_merge_config_selectorIjN6thrust23THRUST_200600_302600_NS5tupleIffNS6_9null_typeES8_S8_S8_S8_S8_S8_S8_EEEEZZNS1_27merge_sort_block_merge_implIS3_NS6_6detail15normal_iteratorINS6_10device_ptrIjEEEENSD_INSE_IS9_EEEEjNS1_19radix_merge_compareILb0ELb1EjNS0_19identity_decomposerEEEEE10hipError_tT0_T1_T2_jT3_P12ihipStream_tbPNSt15iterator_traitsISN_E10value_typeEPNST_ISO_E10value_typeEPSP_NS1_7vsmem_tEENKUlT_SN_SO_SP_E_clISG_PjSI_PS9_EESM_S12_SN_SO_SP_EUlS12_E0_NS1_11comp_targetILNS1_3genE5ELNS1_11target_archE942ELNS1_3gpuE9ELNS1_3repE0EEENS1_38merge_mergepath_config_static_selectorELNS0_4arch9wavefront6targetE0EEEvSO_: ; @_ZN7rocprim17ROCPRIM_400000_NS6detail17trampoline_kernelINS0_14default_configENS1_38merge_sort_block_merge_config_selectorIjN6thrust23THRUST_200600_302600_NS5tupleIffNS6_9null_typeES8_S8_S8_S8_S8_S8_S8_EEEEZZNS1_27merge_sort_block_merge_implIS3_NS6_6detail15normal_iteratorINS6_10device_ptrIjEEEENSD_INSE_IS9_EEEEjNS1_19radix_merge_compareILb0ELb1EjNS0_19identity_decomposerEEEEE10hipError_tT0_T1_T2_jT3_P12ihipStream_tbPNSt15iterator_traitsISN_E10value_typeEPNST_ISO_E10value_typeEPSP_NS1_7vsmem_tEENKUlT_SN_SO_SP_E_clISG_PjSI_PS9_EESM_S12_SN_SO_SP_EUlS12_E0_NS1_11comp_targetILNS1_3genE5ELNS1_11target_archE942ELNS1_3gpuE9ELNS1_3repE0EEENS1_38merge_mergepath_config_static_selectorELNS0_4arch9wavefront6targetE0EEEvSO_
; %bb.0:
	.section	.rodata,"a",@progbits
	.p2align	6, 0x0
	.amdhsa_kernel _ZN7rocprim17ROCPRIM_400000_NS6detail17trampoline_kernelINS0_14default_configENS1_38merge_sort_block_merge_config_selectorIjN6thrust23THRUST_200600_302600_NS5tupleIffNS6_9null_typeES8_S8_S8_S8_S8_S8_S8_EEEEZZNS1_27merge_sort_block_merge_implIS3_NS6_6detail15normal_iteratorINS6_10device_ptrIjEEEENSD_INSE_IS9_EEEEjNS1_19radix_merge_compareILb0ELb1EjNS0_19identity_decomposerEEEEE10hipError_tT0_T1_T2_jT3_P12ihipStream_tbPNSt15iterator_traitsISN_E10value_typeEPNST_ISO_E10value_typeEPSP_NS1_7vsmem_tEENKUlT_SN_SO_SP_E_clISG_PjSI_PS9_EESM_S12_SN_SO_SP_EUlS12_E0_NS1_11comp_targetILNS1_3genE5ELNS1_11target_archE942ELNS1_3gpuE9ELNS1_3repE0EEENS1_38merge_mergepath_config_static_selectorELNS0_4arch9wavefront6targetE0EEEvSO_
		.amdhsa_group_segment_fixed_size 0
		.amdhsa_private_segment_fixed_size 0
		.amdhsa_kernarg_size 64
		.amdhsa_user_sgpr_count 2
		.amdhsa_user_sgpr_dispatch_ptr 0
		.amdhsa_user_sgpr_queue_ptr 0
		.amdhsa_user_sgpr_kernarg_segment_ptr 1
		.amdhsa_user_sgpr_dispatch_id 0
		.amdhsa_user_sgpr_private_segment_size 0
		.amdhsa_wavefront_size32 1
		.amdhsa_uses_dynamic_stack 0
		.amdhsa_enable_private_segment 0
		.amdhsa_system_sgpr_workgroup_id_x 1
		.amdhsa_system_sgpr_workgroup_id_y 0
		.amdhsa_system_sgpr_workgroup_id_z 0
		.amdhsa_system_sgpr_workgroup_info 0
		.amdhsa_system_vgpr_workitem_id 0
		.amdhsa_next_free_vgpr 1
		.amdhsa_next_free_sgpr 1
		.amdhsa_reserve_vcc 0
		.amdhsa_float_round_mode_32 0
		.amdhsa_float_round_mode_16_64 0
		.amdhsa_float_denorm_mode_32 3
		.amdhsa_float_denorm_mode_16_64 3
		.amdhsa_fp16_overflow 0
		.amdhsa_workgroup_processor_mode 1
		.amdhsa_memory_ordered 1
		.amdhsa_forward_progress 1
		.amdhsa_inst_pref_size 0
		.amdhsa_round_robin_scheduling 0
		.amdhsa_exception_fp_ieee_invalid_op 0
		.amdhsa_exception_fp_denorm_src 0
		.amdhsa_exception_fp_ieee_div_zero 0
		.amdhsa_exception_fp_ieee_overflow 0
		.amdhsa_exception_fp_ieee_underflow 0
		.amdhsa_exception_fp_ieee_inexact 0
		.amdhsa_exception_int_div_zero 0
	.end_amdhsa_kernel
	.section	.text._ZN7rocprim17ROCPRIM_400000_NS6detail17trampoline_kernelINS0_14default_configENS1_38merge_sort_block_merge_config_selectorIjN6thrust23THRUST_200600_302600_NS5tupleIffNS6_9null_typeES8_S8_S8_S8_S8_S8_S8_EEEEZZNS1_27merge_sort_block_merge_implIS3_NS6_6detail15normal_iteratorINS6_10device_ptrIjEEEENSD_INSE_IS9_EEEEjNS1_19radix_merge_compareILb0ELb1EjNS0_19identity_decomposerEEEEE10hipError_tT0_T1_T2_jT3_P12ihipStream_tbPNSt15iterator_traitsISN_E10value_typeEPNST_ISO_E10value_typeEPSP_NS1_7vsmem_tEENKUlT_SN_SO_SP_E_clISG_PjSI_PS9_EESM_S12_SN_SO_SP_EUlS12_E0_NS1_11comp_targetILNS1_3genE5ELNS1_11target_archE942ELNS1_3gpuE9ELNS1_3repE0EEENS1_38merge_mergepath_config_static_selectorELNS0_4arch9wavefront6targetE0EEEvSO_,"axG",@progbits,_ZN7rocprim17ROCPRIM_400000_NS6detail17trampoline_kernelINS0_14default_configENS1_38merge_sort_block_merge_config_selectorIjN6thrust23THRUST_200600_302600_NS5tupleIffNS6_9null_typeES8_S8_S8_S8_S8_S8_S8_EEEEZZNS1_27merge_sort_block_merge_implIS3_NS6_6detail15normal_iteratorINS6_10device_ptrIjEEEENSD_INSE_IS9_EEEEjNS1_19radix_merge_compareILb0ELb1EjNS0_19identity_decomposerEEEEE10hipError_tT0_T1_T2_jT3_P12ihipStream_tbPNSt15iterator_traitsISN_E10value_typeEPNST_ISO_E10value_typeEPSP_NS1_7vsmem_tEENKUlT_SN_SO_SP_E_clISG_PjSI_PS9_EESM_S12_SN_SO_SP_EUlS12_E0_NS1_11comp_targetILNS1_3genE5ELNS1_11target_archE942ELNS1_3gpuE9ELNS1_3repE0EEENS1_38merge_mergepath_config_static_selectorELNS0_4arch9wavefront6targetE0EEEvSO_,comdat
.Lfunc_end125:
	.size	_ZN7rocprim17ROCPRIM_400000_NS6detail17trampoline_kernelINS0_14default_configENS1_38merge_sort_block_merge_config_selectorIjN6thrust23THRUST_200600_302600_NS5tupleIffNS6_9null_typeES8_S8_S8_S8_S8_S8_S8_EEEEZZNS1_27merge_sort_block_merge_implIS3_NS6_6detail15normal_iteratorINS6_10device_ptrIjEEEENSD_INSE_IS9_EEEEjNS1_19radix_merge_compareILb0ELb1EjNS0_19identity_decomposerEEEEE10hipError_tT0_T1_T2_jT3_P12ihipStream_tbPNSt15iterator_traitsISN_E10value_typeEPNST_ISO_E10value_typeEPSP_NS1_7vsmem_tEENKUlT_SN_SO_SP_E_clISG_PjSI_PS9_EESM_S12_SN_SO_SP_EUlS12_E0_NS1_11comp_targetILNS1_3genE5ELNS1_11target_archE942ELNS1_3gpuE9ELNS1_3repE0EEENS1_38merge_mergepath_config_static_selectorELNS0_4arch9wavefront6targetE0EEEvSO_, .Lfunc_end125-_ZN7rocprim17ROCPRIM_400000_NS6detail17trampoline_kernelINS0_14default_configENS1_38merge_sort_block_merge_config_selectorIjN6thrust23THRUST_200600_302600_NS5tupleIffNS6_9null_typeES8_S8_S8_S8_S8_S8_S8_EEEEZZNS1_27merge_sort_block_merge_implIS3_NS6_6detail15normal_iteratorINS6_10device_ptrIjEEEENSD_INSE_IS9_EEEEjNS1_19radix_merge_compareILb0ELb1EjNS0_19identity_decomposerEEEEE10hipError_tT0_T1_T2_jT3_P12ihipStream_tbPNSt15iterator_traitsISN_E10value_typeEPNST_ISO_E10value_typeEPSP_NS1_7vsmem_tEENKUlT_SN_SO_SP_E_clISG_PjSI_PS9_EESM_S12_SN_SO_SP_EUlS12_E0_NS1_11comp_targetILNS1_3genE5ELNS1_11target_archE942ELNS1_3gpuE9ELNS1_3repE0EEENS1_38merge_mergepath_config_static_selectorELNS0_4arch9wavefront6targetE0EEEvSO_
                                        ; -- End function
	.set _ZN7rocprim17ROCPRIM_400000_NS6detail17trampoline_kernelINS0_14default_configENS1_38merge_sort_block_merge_config_selectorIjN6thrust23THRUST_200600_302600_NS5tupleIffNS6_9null_typeES8_S8_S8_S8_S8_S8_S8_EEEEZZNS1_27merge_sort_block_merge_implIS3_NS6_6detail15normal_iteratorINS6_10device_ptrIjEEEENSD_INSE_IS9_EEEEjNS1_19radix_merge_compareILb0ELb1EjNS0_19identity_decomposerEEEEE10hipError_tT0_T1_T2_jT3_P12ihipStream_tbPNSt15iterator_traitsISN_E10value_typeEPNST_ISO_E10value_typeEPSP_NS1_7vsmem_tEENKUlT_SN_SO_SP_E_clISG_PjSI_PS9_EESM_S12_SN_SO_SP_EUlS12_E0_NS1_11comp_targetILNS1_3genE5ELNS1_11target_archE942ELNS1_3gpuE9ELNS1_3repE0EEENS1_38merge_mergepath_config_static_selectorELNS0_4arch9wavefront6targetE0EEEvSO_.num_vgpr, 0
	.set _ZN7rocprim17ROCPRIM_400000_NS6detail17trampoline_kernelINS0_14default_configENS1_38merge_sort_block_merge_config_selectorIjN6thrust23THRUST_200600_302600_NS5tupleIffNS6_9null_typeES8_S8_S8_S8_S8_S8_S8_EEEEZZNS1_27merge_sort_block_merge_implIS3_NS6_6detail15normal_iteratorINS6_10device_ptrIjEEEENSD_INSE_IS9_EEEEjNS1_19radix_merge_compareILb0ELb1EjNS0_19identity_decomposerEEEEE10hipError_tT0_T1_T2_jT3_P12ihipStream_tbPNSt15iterator_traitsISN_E10value_typeEPNST_ISO_E10value_typeEPSP_NS1_7vsmem_tEENKUlT_SN_SO_SP_E_clISG_PjSI_PS9_EESM_S12_SN_SO_SP_EUlS12_E0_NS1_11comp_targetILNS1_3genE5ELNS1_11target_archE942ELNS1_3gpuE9ELNS1_3repE0EEENS1_38merge_mergepath_config_static_selectorELNS0_4arch9wavefront6targetE0EEEvSO_.num_agpr, 0
	.set _ZN7rocprim17ROCPRIM_400000_NS6detail17trampoline_kernelINS0_14default_configENS1_38merge_sort_block_merge_config_selectorIjN6thrust23THRUST_200600_302600_NS5tupleIffNS6_9null_typeES8_S8_S8_S8_S8_S8_S8_EEEEZZNS1_27merge_sort_block_merge_implIS3_NS6_6detail15normal_iteratorINS6_10device_ptrIjEEEENSD_INSE_IS9_EEEEjNS1_19radix_merge_compareILb0ELb1EjNS0_19identity_decomposerEEEEE10hipError_tT0_T1_T2_jT3_P12ihipStream_tbPNSt15iterator_traitsISN_E10value_typeEPNST_ISO_E10value_typeEPSP_NS1_7vsmem_tEENKUlT_SN_SO_SP_E_clISG_PjSI_PS9_EESM_S12_SN_SO_SP_EUlS12_E0_NS1_11comp_targetILNS1_3genE5ELNS1_11target_archE942ELNS1_3gpuE9ELNS1_3repE0EEENS1_38merge_mergepath_config_static_selectorELNS0_4arch9wavefront6targetE0EEEvSO_.numbered_sgpr, 0
	.set _ZN7rocprim17ROCPRIM_400000_NS6detail17trampoline_kernelINS0_14default_configENS1_38merge_sort_block_merge_config_selectorIjN6thrust23THRUST_200600_302600_NS5tupleIffNS6_9null_typeES8_S8_S8_S8_S8_S8_S8_EEEEZZNS1_27merge_sort_block_merge_implIS3_NS6_6detail15normal_iteratorINS6_10device_ptrIjEEEENSD_INSE_IS9_EEEEjNS1_19radix_merge_compareILb0ELb1EjNS0_19identity_decomposerEEEEE10hipError_tT0_T1_T2_jT3_P12ihipStream_tbPNSt15iterator_traitsISN_E10value_typeEPNST_ISO_E10value_typeEPSP_NS1_7vsmem_tEENKUlT_SN_SO_SP_E_clISG_PjSI_PS9_EESM_S12_SN_SO_SP_EUlS12_E0_NS1_11comp_targetILNS1_3genE5ELNS1_11target_archE942ELNS1_3gpuE9ELNS1_3repE0EEENS1_38merge_mergepath_config_static_selectorELNS0_4arch9wavefront6targetE0EEEvSO_.num_named_barrier, 0
	.set _ZN7rocprim17ROCPRIM_400000_NS6detail17trampoline_kernelINS0_14default_configENS1_38merge_sort_block_merge_config_selectorIjN6thrust23THRUST_200600_302600_NS5tupleIffNS6_9null_typeES8_S8_S8_S8_S8_S8_S8_EEEEZZNS1_27merge_sort_block_merge_implIS3_NS6_6detail15normal_iteratorINS6_10device_ptrIjEEEENSD_INSE_IS9_EEEEjNS1_19radix_merge_compareILb0ELb1EjNS0_19identity_decomposerEEEEE10hipError_tT0_T1_T2_jT3_P12ihipStream_tbPNSt15iterator_traitsISN_E10value_typeEPNST_ISO_E10value_typeEPSP_NS1_7vsmem_tEENKUlT_SN_SO_SP_E_clISG_PjSI_PS9_EESM_S12_SN_SO_SP_EUlS12_E0_NS1_11comp_targetILNS1_3genE5ELNS1_11target_archE942ELNS1_3gpuE9ELNS1_3repE0EEENS1_38merge_mergepath_config_static_selectorELNS0_4arch9wavefront6targetE0EEEvSO_.private_seg_size, 0
	.set _ZN7rocprim17ROCPRIM_400000_NS6detail17trampoline_kernelINS0_14default_configENS1_38merge_sort_block_merge_config_selectorIjN6thrust23THRUST_200600_302600_NS5tupleIffNS6_9null_typeES8_S8_S8_S8_S8_S8_S8_EEEEZZNS1_27merge_sort_block_merge_implIS3_NS6_6detail15normal_iteratorINS6_10device_ptrIjEEEENSD_INSE_IS9_EEEEjNS1_19radix_merge_compareILb0ELb1EjNS0_19identity_decomposerEEEEE10hipError_tT0_T1_T2_jT3_P12ihipStream_tbPNSt15iterator_traitsISN_E10value_typeEPNST_ISO_E10value_typeEPSP_NS1_7vsmem_tEENKUlT_SN_SO_SP_E_clISG_PjSI_PS9_EESM_S12_SN_SO_SP_EUlS12_E0_NS1_11comp_targetILNS1_3genE5ELNS1_11target_archE942ELNS1_3gpuE9ELNS1_3repE0EEENS1_38merge_mergepath_config_static_selectorELNS0_4arch9wavefront6targetE0EEEvSO_.uses_vcc, 0
	.set _ZN7rocprim17ROCPRIM_400000_NS6detail17trampoline_kernelINS0_14default_configENS1_38merge_sort_block_merge_config_selectorIjN6thrust23THRUST_200600_302600_NS5tupleIffNS6_9null_typeES8_S8_S8_S8_S8_S8_S8_EEEEZZNS1_27merge_sort_block_merge_implIS3_NS6_6detail15normal_iteratorINS6_10device_ptrIjEEEENSD_INSE_IS9_EEEEjNS1_19radix_merge_compareILb0ELb1EjNS0_19identity_decomposerEEEEE10hipError_tT0_T1_T2_jT3_P12ihipStream_tbPNSt15iterator_traitsISN_E10value_typeEPNST_ISO_E10value_typeEPSP_NS1_7vsmem_tEENKUlT_SN_SO_SP_E_clISG_PjSI_PS9_EESM_S12_SN_SO_SP_EUlS12_E0_NS1_11comp_targetILNS1_3genE5ELNS1_11target_archE942ELNS1_3gpuE9ELNS1_3repE0EEENS1_38merge_mergepath_config_static_selectorELNS0_4arch9wavefront6targetE0EEEvSO_.uses_flat_scratch, 0
	.set _ZN7rocprim17ROCPRIM_400000_NS6detail17trampoline_kernelINS0_14default_configENS1_38merge_sort_block_merge_config_selectorIjN6thrust23THRUST_200600_302600_NS5tupleIffNS6_9null_typeES8_S8_S8_S8_S8_S8_S8_EEEEZZNS1_27merge_sort_block_merge_implIS3_NS6_6detail15normal_iteratorINS6_10device_ptrIjEEEENSD_INSE_IS9_EEEEjNS1_19radix_merge_compareILb0ELb1EjNS0_19identity_decomposerEEEEE10hipError_tT0_T1_T2_jT3_P12ihipStream_tbPNSt15iterator_traitsISN_E10value_typeEPNST_ISO_E10value_typeEPSP_NS1_7vsmem_tEENKUlT_SN_SO_SP_E_clISG_PjSI_PS9_EESM_S12_SN_SO_SP_EUlS12_E0_NS1_11comp_targetILNS1_3genE5ELNS1_11target_archE942ELNS1_3gpuE9ELNS1_3repE0EEENS1_38merge_mergepath_config_static_selectorELNS0_4arch9wavefront6targetE0EEEvSO_.has_dyn_sized_stack, 0
	.set _ZN7rocprim17ROCPRIM_400000_NS6detail17trampoline_kernelINS0_14default_configENS1_38merge_sort_block_merge_config_selectorIjN6thrust23THRUST_200600_302600_NS5tupleIffNS6_9null_typeES8_S8_S8_S8_S8_S8_S8_EEEEZZNS1_27merge_sort_block_merge_implIS3_NS6_6detail15normal_iteratorINS6_10device_ptrIjEEEENSD_INSE_IS9_EEEEjNS1_19radix_merge_compareILb0ELb1EjNS0_19identity_decomposerEEEEE10hipError_tT0_T1_T2_jT3_P12ihipStream_tbPNSt15iterator_traitsISN_E10value_typeEPNST_ISO_E10value_typeEPSP_NS1_7vsmem_tEENKUlT_SN_SO_SP_E_clISG_PjSI_PS9_EESM_S12_SN_SO_SP_EUlS12_E0_NS1_11comp_targetILNS1_3genE5ELNS1_11target_archE942ELNS1_3gpuE9ELNS1_3repE0EEENS1_38merge_mergepath_config_static_selectorELNS0_4arch9wavefront6targetE0EEEvSO_.has_recursion, 0
	.set _ZN7rocprim17ROCPRIM_400000_NS6detail17trampoline_kernelINS0_14default_configENS1_38merge_sort_block_merge_config_selectorIjN6thrust23THRUST_200600_302600_NS5tupleIffNS6_9null_typeES8_S8_S8_S8_S8_S8_S8_EEEEZZNS1_27merge_sort_block_merge_implIS3_NS6_6detail15normal_iteratorINS6_10device_ptrIjEEEENSD_INSE_IS9_EEEEjNS1_19radix_merge_compareILb0ELb1EjNS0_19identity_decomposerEEEEE10hipError_tT0_T1_T2_jT3_P12ihipStream_tbPNSt15iterator_traitsISN_E10value_typeEPNST_ISO_E10value_typeEPSP_NS1_7vsmem_tEENKUlT_SN_SO_SP_E_clISG_PjSI_PS9_EESM_S12_SN_SO_SP_EUlS12_E0_NS1_11comp_targetILNS1_3genE5ELNS1_11target_archE942ELNS1_3gpuE9ELNS1_3repE0EEENS1_38merge_mergepath_config_static_selectorELNS0_4arch9wavefront6targetE0EEEvSO_.has_indirect_call, 0
	.section	.AMDGPU.csdata,"",@progbits
; Kernel info:
; codeLenInByte = 0
; TotalNumSgprs: 0
; NumVgprs: 0
; ScratchSize: 0
; MemoryBound: 0
; FloatMode: 240
; IeeeMode: 1
; LDSByteSize: 0 bytes/workgroup (compile time only)
; SGPRBlocks: 0
; VGPRBlocks: 0
; NumSGPRsForWavesPerEU: 1
; NumVGPRsForWavesPerEU: 1
; Occupancy: 16
; WaveLimiterHint : 0
; COMPUTE_PGM_RSRC2:SCRATCH_EN: 0
; COMPUTE_PGM_RSRC2:USER_SGPR: 2
; COMPUTE_PGM_RSRC2:TRAP_HANDLER: 0
; COMPUTE_PGM_RSRC2:TGID_X_EN: 1
; COMPUTE_PGM_RSRC2:TGID_Y_EN: 0
; COMPUTE_PGM_RSRC2:TGID_Z_EN: 0
; COMPUTE_PGM_RSRC2:TIDIG_COMP_CNT: 0
	.section	.text._ZN7rocprim17ROCPRIM_400000_NS6detail17trampoline_kernelINS0_14default_configENS1_38merge_sort_block_merge_config_selectorIjN6thrust23THRUST_200600_302600_NS5tupleIffNS6_9null_typeES8_S8_S8_S8_S8_S8_S8_EEEEZZNS1_27merge_sort_block_merge_implIS3_NS6_6detail15normal_iteratorINS6_10device_ptrIjEEEENSD_INSE_IS9_EEEEjNS1_19radix_merge_compareILb0ELb1EjNS0_19identity_decomposerEEEEE10hipError_tT0_T1_T2_jT3_P12ihipStream_tbPNSt15iterator_traitsISN_E10value_typeEPNST_ISO_E10value_typeEPSP_NS1_7vsmem_tEENKUlT_SN_SO_SP_E_clISG_PjSI_PS9_EESM_S12_SN_SO_SP_EUlS12_E0_NS1_11comp_targetILNS1_3genE4ELNS1_11target_archE910ELNS1_3gpuE8ELNS1_3repE0EEENS1_38merge_mergepath_config_static_selectorELNS0_4arch9wavefront6targetE0EEEvSO_,"axG",@progbits,_ZN7rocprim17ROCPRIM_400000_NS6detail17trampoline_kernelINS0_14default_configENS1_38merge_sort_block_merge_config_selectorIjN6thrust23THRUST_200600_302600_NS5tupleIffNS6_9null_typeES8_S8_S8_S8_S8_S8_S8_EEEEZZNS1_27merge_sort_block_merge_implIS3_NS6_6detail15normal_iteratorINS6_10device_ptrIjEEEENSD_INSE_IS9_EEEEjNS1_19radix_merge_compareILb0ELb1EjNS0_19identity_decomposerEEEEE10hipError_tT0_T1_T2_jT3_P12ihipStream_tbPNSt15iterator_traitsISN_E10value_typeEPNST_ISO_E10value_typeEPSP_NS1_7vsmem_tEENKUlT_SN_SO_SP_E_clISG_PjSI_PS9_EESM_S12_SN_SO_SP_EUlS12_E0_NS1_11comp_targetILNS1_3genE4ELNS1_11target_archE910ELNS1_3gpuE8ELNS1_3repE0EEENS1_38merge_mergepath_config_static_selectorELNS0_4arch9wavefront6targetE0EEEvSO_,comdat
	.protected	_ZN7rocprim17ROCPRIM_400000_NS6detail17trampoline_kernelINS0_14default_configENS1_38merge_sort_block_merge_config_selectorIjN6thrust23THRUST_200600_302600_NS5tupleIffNS6_9null_typeES8_S8_S8_S8_S8_S8_S8_EEEEZZNS1_27merge_sort_block_merge_implIS3_NS6_6detail15normal_iteratorINS6_10device_ptrIjEEEENSD_INSE_IS9_EEEEjNS1_19radix_merge_compareILb0ELb1EjNS0_19identity_decomposerEEEEE10hipError_tT0_T1_T2_jT3_P12ihipStream_tbPNSt15iterator_traitsISN_E10value_typeEPNST_ISO_E10value_typeEPSP_NS1_7vsmem_tEENKUlT_SN_SO_SP_E_clISG_PjSI_PS9_EESM_S12_SN_SO_SP_EUlS12_E0_NS1_11comp_targetILNS1_3genE4ELNS1_11target_archE910ELNS1_3gpuE8ELNS1_3repE0EEENS1_38merge_mergepath_config_static_selectorELNS0_4arch9wavefront6targetE0EEEvSO_ ; -- Begin function _ZN7rocprim17ROCPRIM_400000_NS6detail17trampoline_kernelINS0_14default_configENS1_38merge_sort_block_merge_config_selectorIjN6thrust23THRUST_200600_302600_NS5tupleIffNS6_9null_typeES8_S8_S8_S8_S8_S8_S8_EEEEZZNS1_27merge_sort_block_merge_implIS3_NS6_6detail15normal_iteratorINS6_10device_ptrIjEEEENSD_INSE_IS9_EEEEjNS1_19radix_merge_compareILb0ELb1EjNS0_19identity_decomposerEEEEE10hipError_tT0_T1_T2_jT3_P12ihipStream_tbPNSt15iterator_traitsISN_E10value_typeEPNST_ISO_E10value_typeEPSP_NS1_7vsmem_tEENKUlT_SN_SO_SP_E_clISG_PjSI_PS9_EESM_S12_SN_SO_SP_EUlS12_E0_NS1_11comp_targetILNS1_3genE4ELNS1_11target_archE910ELNS1_3gpuE8ELNS1_3repE0EEENS1_38merge_mergepath_config_static_selectorELNS0_4arch9wavefront6targetE0EEEvSO_
	.globl	_ZN7rocprim17ROCPRIM_400000_NS6detail17trampoline_kernelINS0_14default_configENS1_38merge_sort_block_merge_config_selectorIjN6thrust23THRUST_200600_302600_NS5tupleIffNS6_9null_typeES8_S8_S8_S8_S8_S8_S8_EEEEZZNS1_27merge_sort_block_merge_implIS3_NS6_6detail15normal_iteratorINS6_10device_ptrIjEEEENSD_INSE_IS9_EEEEjNS1_19radix_merge_compareILb0ELb1EjNS0_19identity_decomposerEEEEE10hipError_tT0_T1_T2_jT3_P12ihipStream_tbPNSt15iterator_traitsISN_E10value_typeEPNST_ISO_E10value_typeEPSP_NS1_7vsmem_tEENKUlT_SN_SO_SP_E_clISG_PjSI_PS9_EESM_S12_SN_SO_SP_EUlS12_E0_NS1_11comp_targetILNS1_3genE4ELNS1_11target_archE910ELNS1_3gpuE8ELNS1_3repE0EEENS1_38merge_mergepath_config_static_selectorELNS0_4arch9wavefront6targetE0EEEvSO_
	.p2align	8
	.type	_ZN7rocprim17ROCPRIM_400000_NS6detail17trampoline_kernelINS0_14default_configENS1_38merge_sort_block_merge_config_selectorIjN6thrust23THRUST_200600_302600_NS5tupleIffNS6_9null_typeES8_S8_S8_S8_S8_S8_S8_EEEEZZNS1_27merge_sort_block_merge_implIS3_NS6_6detail15normal_iteratorINS6_10device_ptrIjEEEENSD_INSE_IS9_EEEEjNS1_19radix_merge_compareILb0ELb1EjNS0_19identity_decomposerEEEEE10hipError_tT0_T1_T2_jT3_P12ihipStream_tbPNSt15iterator_traitsISN_E10value_typeEPNST_ISO_E10value_typeEPSP_NS1_7vsmem_tEENKUlT_SN_SO_SP_E_clISG_PjSI_PS9_EESM_S12_SN_SO_SP_EUlS12_E0_NS1_11comp_targetILNS1_3genE4ELNS1_11target_archE910ELNS1_3gpuE8ELNS1_3repE0EEENS1_38merge_mergepath_config_static_selectorELNS0_4arch9wavefront6targetE0EEEvSO_,@function
_ZN7rocprim17ROCPRIM_400000_NS6detail17trampoline_kernelINS0_14default_configENS1_38merge_sort_block_merge_config_selectorIjN6thrust23THRUST_200600_302600_NS5tupleIffNS6_9null_typeES8_S8_S8_S8_S8_S8_S8_EEEEZZNS1_27merge_sort_block_merge_implIS3_NS6_6detail15normal_iteratorINS6_10device_ptrIjEEEENSD_INSE_IS9_EEEEjNS1_19radix_merge_compareILb0ELb1EjNS0_19identity_decomposerEEEEE10hipError_tT0_T1_T2_jT3_P12ihipStream_tbPNSt15iterator_traitsISN_E10value_typeEPNST_ISO_E10value_typeEPSP_NS1_7vsmem_tEENKUlT_SN_SO_SP_E_clISG_PjSI_PS9_EESM_S12_SN_SO_SP_EUlS12_E0_NS1_11comp_targetILNS1_3genE4ELNS1_11target_archE910ELNS1_3gpuE8ELNS1_3repE0EEENS1_38merge_mergepath_config_static_selectorELNS0_4arch9wavefront6targetE0EEEvSO_: ; @_ZN7rocprim17ROCPRIM_400000_NS6detail17trampoline_kernelINS0_14default_configENS1_38merge_sort_block_merge_config_selectorIjN6thrust23THRUST_200600_302600_NS5tupleIffNS6_9null_typeES8_S8_S8_S8_S8_S8_S8_EEEEZZNS1_27merge_sort_block_merge_implIS3_NS6_6detail15normal_iteratorINS6_10device_ptrIjEEEENSD_INSE_IS9_EEEEjNS1_19radix_merge_compareILb0ELb1EjNS0_19identity_decomposerEEEEE10hipError_tT0_T1_T2_jT3_P12ihipStream_tbPNSt15iterator_traitsISN_E10value_typeEPNST_ISO_E10value_typeEPSP_NS1_7vsmem_tEENKUlT_SN_SO_SP_E_clISG_PjSI_PS9_EESM_S12_SN_SO_SP_EUlS12_E0_NS1_11comp_targetILNS1_3genE4ELNS1_11target_archE910ELNS1_3gpuE8ELNS1_3repE0EEENS1_38merge_mergepath_config_static_selectorELNS0_4arch9wavefront6targetE0EEEvSO_
; %bb.0:
	.section	.rodata,"a",@progbits
	.p2align	6, 0x0
	.amdhsa_kernel _ZN7rocprim17ROCPRIM_400000_NS6detail17trampoline_kernelINS0_14default_configENS1_38merge_sort_block_merge_config_selectorIjN6thrust23THRUST_200600_302600_NS5tupleIffNS6_9null_typeES8_S8_S8_S8_S8_S8_S8_EEEEZZNS1_27merge_sort_block_merge_implIS3_NS6_6detail15normal_iteratorINS6_10device_ptrIjEEEENSD_INSE_IS9_EEEEjNS1_19radix_merge_compareILb0ELb1EjNS0_19identity_decomposerEEEEE10hipError_tT0_T1_T2_jT3_P12ihipStream_tbPNSt15iterator_traitsISN_E10value_typeEPNST_ISO_E10value_typeEPSP_NS1_7vsmem_tEENKUlT_SN_SO_SP_E_clISG_PjSI_PS9_EESM_S12_SN_SO_SP_EUlS12_E0_NS1_11comp_targetILNS1_3genE4ELNS1_11target_archE910ELNS1_3gpuE8ELNS1_3repE0EEENS1_38merge_mergepath_config_static_selectorELNS0_4arch9wavefront6targetE0EEEvSO_
		.amdhsa_group_segment_fixed_size 0
		.amdhsa_private_segment_fixed_size 0
		.amdhsa_kernarg_size 64
		.amdhsa_user_sgpr_count 2
		.amdhsa_user_sgpr_dispatch_ptr 0
		.amdhsa_user_sgpr_queue_ptr 0
		.amdhsa_user_sgpr_kernarg_segment_ptr 1
		.amdhsa_user_sgpr_dispatch_id 0
		.amdhsa_user_sgpr_private_segment_size 0
		.amdhsa_wavefront_size32 1
		.amdhsa_uses_dynamic_stack 0
		.amdhsa_enable_private_segment 0
		.amdhsa_system_sgpr_workgroup_id_x 1
		.amdhsa_system_sgpr_workgroup_id_y 0
		.amdhsa_system_sgpr_workgroup_id_z 0
		.amdhsa_system_sgpr_workgroup_info 0
		.amdhsa_system_vgpr_workitem_id 0
		.amdhsa_next_free_vgpr 1
		.amdhsa_next_free_sgpr 1
		.amdhsa_reserve_vcc 0
		.amdhsa_float_round_mode_32 0
		.amdhsa_float_round_mode_16_64 0
		.amdhsa_float_denorm_mode_32 3
		.amdhsa_float_denorm_mode_16_64 3
		.amdhsa_fp16_overflow 0
		.amdhsa_workgroup_processor_mode 1
		.amdhsa_memory_ordered 1
		.amdhsa_forward_progress 1
		.amdhsa_inst_pref_size 0
		.amdhsa_round_robin_scheduling 0
		.amdhsa_exception_fp_ieee_invalid_op 0
		.amdhsa_exception_fp_denorm_src 0
		.amdhsa_exception_fp_ieee_div_zero 0
		.amdhsa_exception_fp_ieee_overflow 0
		.amdhsa_exception_fp_ieee_underflow 0
		.amdhsa_exception_fp_ieee_inexact 0
		.amdhsa_exception_int_div_zero 0
	.end_amdhsa_kernel
	.section	.text._ZN7rocprim17ROCPRIM_400000_NS6detail17trampoline_kernelINS0_14default_configENS1_38merge_sort_block_merge_config_selectorIjN6thrust23THRUST_200600_302600_NS5tupleIffNS6_9null_typeES8_S8_S8_S8_S8_S8_S8_EEEEZZNS1_27merge_sort_block_merge_implIS3_NS6_6detail15normal_iteratorINS6_10device_ptrIjEEEENSD_INSE_IS9_EEEEjNS1_19radix_merge_compareILb0ELb1EjNS0_19identity_decomposerEEEEE10hipError_tT0_T1_T2_jT3_P12ihipStream_tbPNSt15iterator_traitsISN_E10value_typeEPNST_ISO_E10value_typeEPSP_NS1_7vsmem_tEENKUlT_SN_SO_SP_E_clISG_PjSI_PS9_EESM_S12_SN_SO_SP_EUlS12_E0_NS1_11comp_targetILNS1_3genE4ELNS1_11target_archE910ELNS1_3gpuE8ELNS1_3repE0EEENS1_38merge_mergepath_config_static_selectorELNS0_4arch9wavefront6targetE0EEEvSO_,"axG",@progbits,_ZN7rocprim17ROCPRIM_400000_NS6detail17trampoline_kernelINS0_14default_configENS1_38merge_sort_block_merge_config_selectorIjN6thrust23THRUST_200600_302600_NS5tupleIffNS6_9null_typeES8_S8_S8_S8_S8_S8_S8_EEEEZZNS1_27merge_sort_block_merge_implIS3_NS6_6detail15normal_iteratorINS6_10device_ptrIjEEEENSD_INSE_IS9_EEEEjNS1_19radix_merge_compareILb0ELb1EjNS0_19identity_decomposerEEEEE10hipError_tT0_T1_T2_jT3_P12ihipStream_tbPNSt15iterator_traitsISN_E10value_typeEPNST_ISO_E10value_typeEPSP_NS1_7vsmem_tEENKUlT_SN_SO_SP_E_clISG_PjSI_PS9_EESM_S12_SN_SO_SP_EUlS12_E0_NS1_11comp_targetILNS1_3genE4ELNS1_11target_archE910ELNS1_3gpuE8ELNS1_3repE0EEENS1_38merge_mergepath_config_static_selectorELNS0_4arch9wavefront6targetE0EEEvSO_,comdat
.Lfunc_end126:
	.size	_ZN7rocprim17ROCPRIM_400000_NS6detail17trampoline_kernelINS0_14default_configENS1_38merge_sort_block_merge_config_selectorIjN6thrust23THRUST_200600_302600_NS5tupleIffNS6_9null_typeES8_S8_S8_S8_S8_S8_S8_EEEEZZNS1_27merge_sort_block_merge_implIS3_NS6_6detail15normal_iteratorINS6_10device_ptrIjEEEENSD_INSE_IS9_EEEEjNS1_19radix_merge_compareILb0ELb1EjNS0_19identity_decomposerEEEEE10hipError_tT0_T1_T2_jT3_P12ihipStream_tbPNSt15iterator_traitsISN_E10value_typeEPNST_ISO_E10value_typeEPSP_NS1_7vsmem_tEENKUlT_SN_SO_SP_E_clISG_PjSI_PS9_EESM_S12_SN_SO_SP_EUlS12_E0_NS1_11comp_targetILNS1_3genE4ELNS1_11target_archE910ELNS1_3gpuE8ELNS1_3repE0EEENS1_38merge_mergepath_config_static_selectorELNS0_4arch9wavefront6targetE0EEEvSO_, .Lfunc_end126-_ZN7rocprim17ROCPRIM_400000_NS6detail17trampoline_kernelINS0_14default_configENS1_38merge_sort_block_merge_config_selectorIjN6thrust23THRUST_200600_302600_NS5tupleIffNS6_9null_typeES8_S8_S8_S8_S8_S8_S8_EEEEZZNS1_27merge_sort_block_merge_implIS3_NS6_6detail15normal_iteratorINS6_10device_ptrIjEEEENSD_INSE_IS9_EEEEjNS1_19radix_merge_compareILb0ELb1EjNS0_19identity_decomposerEEEEE10hipError_tT0_T1_T2_jT3_P12ihipStream_tbPNSt15iterator_traitsISN_E10value_typeEPNST_ISO_E10value_typeEPSP_NS1_7vsmem_tEENKUlT_SN_SO_SP_E_clISG_PjSI_PS9_EESM_S12_SN_SO_SP_EUlS12_E0_NS1_11comp_targetILNS1_3genE4ELNS1_11target_archE910ELNS1_3gpuE8ELNS1_3repE0EEENS1_38merge_mergepath_config_static_selectorELNS0_4arch9wavefront6targetE0EEEvSO_
                                        ; -- End function
	.set _ZN7rocprim17ROCPRIM_400000_NS6detail17trampoline_kernelINS0_14default_configENS1_38merge_sort_block_merge_config_selectorIjN6thrust23THRUST_200600_302600_NS5tupleIffNS6_9null_typeES8_S8_S8_S8_S8_S8_S8_EEEEZZNS1_27merge_sort_block_merge_implIS3_NS6_6detail15normal_iteratorINS6_10device_ptrIjEEEENSD_INSE_IS9_EEEEjNS1_19radix_merge_compareILb0ELb1EjNS0_19identity_decomposerEEEEE10hipError_tT0_T1_T2_jT3_P12ihipStream_tbPNSt15iterator_traitsISN_E10value_typeEPNST_ISO_E10value_typeEPSP_NS1_7vsmem_tEENKUlT_SN_SO_SP_E_clISG_PjSI_PS9_EESM_S12_SN_SO_SP_EUlS12_E0_NS1_11comp_targetILNS1_3genE4ELNS1_11target_archE910ELNS1_3gpuE8ELNS1_3repE0EEENS1_38merge_mergepath_config_static_selectorELNS0_4arch9wavefront6targetE0EEEvSO_.num_vgpr, 0
	.set _ZN7rocprim17ROCPRIM_400000_NS6detail17trampoline_kernelINS0_14default_configENS1_38merge_sort_block_merge_config_selectorIjN6thrust23THRUST_200600_302600_NS5tupleIffNS6_9null_typeES8_S8_S8_S8_S8_S8_S8_EEEEZZNS1_27merge_sort_block_merge_implIS3_NS6_6detail15normal_iteratorINS6_10device_ptrIjEEEENSD_INSE_IS9_EEEEjNS1_19radix_merge_compareILb0ELb1EjNS0_19identity_decomposerEEEEE10hipError_tT0_T1_T2_jT3_P12ihipStream_tbPNSt15iterator_traitsISN_E10value_typeEPNST_ISO_E10value_typeEPSP_NS1_7vsmem_tEENKUlT_SN_SO_SP_E_clISG_PjSI_PS9_EESM_S12_SN_SO_SP_EUlS12_E0_NS1_11comp_targetILNS1_3genE4ELNS1_11target_archE910ELNS1_3gpuE8ELNS1_3repE0EEENS1_38merge_mergepath_config_static_selectorELNS0_4arch9wavefront6targetE0EEEvSO_.num_agpr, 0
	.set _ZN7rocprim17ROCPRIM_400000_NS6detail17trampoline_kernelINS0_14default_configENS1_38merge_sort_block_merge_config_selectorIjN6thrust23THRUST_200600_302600_NS5tupleIffNS6_9null_typeES8_S8_S8_S8_S8_S8_S8_EEEEZZNS1_27merge_sort_block_merge_implIS3_NS6_6detail15normal_iteratorINS6_10device_ptrIjEEEENSD_INSE_IS9_EEEEjNS1_19radix_merge_compareILb0ELb1EjNS0_19identity_decomposerEEEEE10hipError_tT0_T1_T2_jT3_P12ihipStream_tbPNSt15iterator_traitsISN_E10value_typeEPNST_ISO_E10value_typeEPSP_NS1_7vsmem_tEENKUlT_SN_SO_SP_E_clISG_PjSI_PS9_EESM_S12_SN_SO_SP_EUlS12_E0_NS1_11comp_targetILNS1_3genE4ELNS1_11target_archE910ELNS1_3gpuE8ELNS1_3repE0EEENS1_38merge_mergepath_config_static_selectorELNS0_4arch9wavefront6targetE0EEEvSO_.numbered_sgpr, 0
	.set _ZN7rocprim17ROCPRIM_400000_NS6detail17trampoline_kernelINS0_14default_configENS1_38merge_sort_block_merge_config_selectorIjN6thrust23THRUST_200600_302600_NS5tupleIffNS6_9null_typeES8_S8_S8_S8_S8_S8_S8_EEEEZZNS1_27merge_sort_block_merge_implIS3_NS6_6detail15normal_iteratorINS6_10device_ptrIjEEEENSD_INSE_IS9_EEEEjNS1_19radix_merge_compareILb0ELb1EjNS0_19identity_decomposerEEEEE10hipError_tT0_T1_T2_jT3_P12ihipStream_tbPNSt15iterator_traitsISN_E10value_typeEPNST_ISO_E10value_typeEPSP_NS1_7vsmem_tEENKUlT_SN_SO_SP_E_clISG_PjSI_PS9_EESM_S12_SN_SO_SP_EUlS12_E0_NS1_11comp_targetILNS1_3genE4ELNS1_11target_archE910ELNS1_3gpuE8ELNS1_3repE0EEENS1_38merge_mergepath_config_static_selectorELNS0_4arch9wavefront6targetE0EEEvSO_.num_named_barrier, 0
	.set _ZN7rocprim17ROCPRIM_400000_NS6detail17trampoline_kernelINS0_14default_configENS1_38merge_sort_block_merge_config_selectorIjN6thrust23THRUST_200600_302600_NS5tupleIffNS6_9null_typeES8_S8_S8_S8_S8_S8_S8_EEEEZZNS1_27merge_sort_block_merge_implIS3_NS6_6detail15normal_iteratorINS6_10device_ptrIjEEEENSD_INSE_IS9_EEEEjNS1_19radix_merge_compareILb0ELb1EjNS0_19identity_decomposerEEEEE10hipError_tT0_T1_T2_jT3_P12ihipStream_tbPNSt15iterator_traitsISN_E10value_typeEPNST_ISO_E10value_typeEPSP_NS1_7vsmem_tEENKUlT_SN_SO_SP_E_clISG_PjSI_PS9_EESM_S12_SN_SO_SP_EUlS12_E0_NS1_11comp_targetILNS1_3genE4ELNS1_11target_archE910ELNS1_3gpuE8ELNS1_3repE0EEENS1_38merge_mergepath_config_static_selectorELNS0_4arch9wavefront6targetE0EEEvSO_.private_seg_size, 0
	.set _ZN7rocprim17ROCPRIM_400000_NS6detail17trampoline_kernelINS0_14default_configENS1_38merge_sort_block_merge_config_selectorIjN6thrust23THRUST_200600_302600_NS5tupleIffNS6_9null_typeES8_S8_S8_S8_S8_S8_S8_EEEEZZNS1_27merge_sort_block_merge_implIS3_NS6_6detail15normal_iteratorINS6_10device_ptrIjEEEENSD_INSE_IS9_EEEEjNS1_19radix_merge_compareILb0ELb1EjNS0_19identity_decomposerEEEEE10hipError_tT0_T1_T2_jT3_P12ihipStream_tbPNSt15iterator_traitsISN_E10value_typeEPNST_ISO_E10value_typeEPSP_NS1_7vsmem_tEENKUlT_SN_SO_SP_E_clISG_PjSI_PS9_EESM_S12_SN_SO_SP_EUlS12_E0_NS1_11comp_targetILNS1_3genE4ELNS1_11target_archE910ELNS1_3gpuE8ELNS1_3repE0EEENS1_38merge_mergepath_config_static_selectorELNS0_4arch9wavefront6targetE0EEEvSO_.uses_vcc, 0
	.set _ZN7rocprim17ROCPRIM_400000_NS6detail17trampoline_kernelINS0_14default_configENS1_38merge_sort_block_merge_config_selectorIjN6thrust23THRUST_200600_302600_NS5tupleIffNS6_9null_typeES8_S8_S8_S8_S8_S8_S8_EEEEZZNS1_27merge_sort_block_merge_implIS3_NS6_6detail15normal_iteratorINS6_10device_ptrIjEEEENSD_INSE_IS9_EEEEjNS1_19radix_merge_compareILb0ELb1EjNS0_19identity_decomposerEEEEE10hipError_tT0_T1_T2_jT3_P12ihipStream_tbPNSt15iterator_traitsISN_E10value_typeEPNST_ISO_E10value_typeEPSP_NS1_7vsmem_tEENKUlT_SN_SO_SP_E_clISG_PjSI_PS9_EESM_S12_SN_SO_SP_EUlS12_E0_NS1_11comp_targetILNS1_3genE4ELNS1_11target_archE910ELNS1_3gpuE8ELNS1_3repE0EEENS1_38merge_mergepath_config_static_selectorELNS0_4arch9wavefront6targetE0EEEvSO_.uses_flat_scratch, 0
	.set _ZN7rocprim17ROCPRIM_400000_NS6detail17trampoline_kernelINS0_14default_configENS1_38merge_sort_block_merge_config_selectorIjN6thrust23THRUST_200600_302600_NS5tupleIffNS6_9null_typeES8_S8_S8_S8_S8_S8_S8_EEEEZZNS1_27merge_sort_block_merge_implIS3_NS6_6detail15normal_iteratorINS6_10device_ptrIjEEEENSD_INSE_IS9_EEEEjNS1_19radix_merge_compareILb0ELb1EjNS0_19identity_decomposerEEEEE10hipError_tT0_T1_T2_jT3_P12ihipStream_tbPNSt15iterator_traitsISN_E10value_typeEPNST_ISO_E10value_typeEPSP_NS1_7vsmem_tEENKUlT_SN_SO_SP_E_clISG_PjSI_PS9_EESM_S12_SN_SO_SP_EUlS12_E0_NS1_11comp_targetILNS1_3genE4ELNS1_11target_archE910ELNS1_3gpuE8ELNS1_3repE0EEENS1_38merge_mergepath_config_static_selectorELNS0_4arch9wavefront6targetE0EEEvSO_.has_dyn_sized_stack, 0
	.set _ZN7rocprim17ROCPRIM_400000_NS6detail17trampoline_kernelINS0_14default_configENS1_38merge_sort_block_merge_config_selectorIjN6thrust23THRUST_200600_302600_NS5tupleIffNS6_9null_typeES8_S8_S8_S8_S8_S8_S8_EEEEZZNS1_27merge_sort_block_merge_implIS3_NS6_6detail15normal_iteratorINS6_10device_ptrIjEEEENSD_INSE_IS9_EEEEjNS1_19radix_merge_compareILb0ELb1EjNS0_19identity_decomposerEEEEE10hipError_tT0_T1_T2_jT3_P12ihipStream_tbPNSt15iterator_traitsISN_E10value_typeEPNST_ISO_E10value_typeEPSP_NS1_7vsmem_tEENKUlT_SN_SO_SP_E_clISG_PjSI_PS9_EESM_S12_SN_SO_SP_EUlS12_E0_NS1_11comp_targetILNS1_3genE4ELNS1_11target_archE910ELNS1_3gpuE8ELNS1_3repE0EEENS1_38merge_mergepath_config_static_selectorELNS0_4arch9wavefront6targetE0EEEvSO_.has_recursion, 0
	.set _ZN7rocprim17ROCPRIM_400000_NS6detail17trampoline_kernelINS0_14default_configENS1_38merge_sort_block_merge_config_selectorIjN6thrust23THRUST_200600_302600_NS5tupleIffNS6_9null_typeES8_S8_S8_S8_S8_S8_S8_EEEEZZNS1_27merge_sort_block_merge_implIS3_NS6_6detail15normal_iteratorINS6_10device_ptrIjEEEENSD_INSE_IS9_EEEEjNS1_19radix_merge_compareILb0ELb1EjNS0_19identity_decomposerEEEEE10hipError_tT0_T1_T2_jT3_P12ihipStream_tbPNSt15iterator_traitsISN_E10value_typeEPNST_ISO_E10value_typeEPSP_NS1_7vsmem_tEENKUlT_SN_SO_SP_E_clISG_PjSI_PS9_EESM_S12_SN_SO_SP_EUlS12_E0_NS1_11comp_targetILNS1_3genE4ELNS1_11target_archE910ELNS1_3gpuE8ELNS1_3repE0EEENS1_38merge_mergepath_config_static_selectorELNS0_4arch9wavefront6targetE0EEEvSO_.has_indirect_call, 0
	.section	.AMDGPU.csdata,"",@progbits
; Kernel info:
; codeLenInByte = 0
; TotalNumSgprs: 0
; NumVgprs: 0
; ScratchSize: 0
; MemoryBound: 0
; FloatMode: 240
; IeeeMode: 1
; LDSByteSize: 0 bytes/workgroup (compile time only)
; SGPRBlocks: 0
; VGPRBlocks: 0
; NumSGPRsForWavesPerEU: 1
; NumVGPRsForWavesPerEU: 1
; Occupancy: 16
; WaveLimiterHint : 0
; COMPUTE_PGM_RSRC2:SCRATCH_EN: 0
; COMPUTE_PGM_RSRC2:USER_SGPR: 2
; COMPUTE_PGM_RSRC2:TRAP_HANDLER: 0
; COMPUTE_PGM_RSRC2:TGID_X_EN: 1
; COMPUTE_PGM_RSRC2:TGID_Y_EN: 0
; COMPUTE_PGM_RSRC2:TGID_Z_EN: 0
; COMPUTE_PGM_RSRC2:TIDIG_COMP_CNT: 0
	.section	.text._ZN7rocprim17ROCPRIM_400000_NS6detail17trampoline_kernelINS0_14default_configENS1_38merge_sort_block_merge_config_selectorIjN6thrust23THRUST_200600_302600_NS5tupleIffNS6_9null_typeES8_S8_S8_S8_S8_S8_S8_EEEEZZNS1_27merge_sort_block_merge_implIS3_NS6_6detail15normal_iteratorINS6_10device_ptrIjEEEENSD_INSE_IS9_EEEEjNS1_19radix_merge_compareILb0ELb1EjNS0_19identity_decomposerEEEEE10hipError_tT0_T1_T2_jT3_P12ihipStream_tbPNSt15iterator_traitsISN_E10value_typeEPNST_ISO_E10value_typeEPSP_NS1_7vsmem_tEENKUlT_SN_SO_SP_E_clISG_PjSI_PS9_EESM_S12_SN_SO_SP_EUlS12_E0_NS1_11comp_targetILNS1_3genE3ELNS1_11target_archE908ELNS1_3gpuE7ELNS1_3repE0EEENS1_38merge_mergepath_config_static_selectorELNS0_4arch9wavefront6targetE0EEEvSO_,"axG",@progbits,_ZN7rocprim17ROCPRIM_400000_NS6detail17trampoline_kernelINS0_14default_configENS1_38merge_sort_block_merge_config_selectorIjN6thrust23THRUST_200600_302600_NS5tupleIffNS6_9null_typeES8_S8_S8_S8_S8_S8_S8_EEEEZZNS1_27merge_sort_block_merge_implIS3_NS6_6detail15normal_iteratorINS6_10device_ptrIjEEEENSD_INSE_IS9_EEEEjNS1_19radix_merge_compareILb0ELb1EjNS0_19identity_decomposerEEEEE10hipError_tT0_T1_T2_jT3_P12ihipStream_tbPNSt15iterator_traitsISN_E10value_typeEPNST_ISO_E10value_typeEPSP_NS1_7vsmem_tEENKUlT_SN_SO_SP_E_clISG_PjSI_PS9_EESM_S12_SN_SO_SP_EUlS12_E0_NS1_11comp_targetILNS1_3genE3ELNS1_11target_archE908ELNS1_3gpuE7ELNS1_3repE0EEENS1_38merge_mergepath_config_static_selectorELNS0_4arch9wavefront6targetE0EEEvSO_,comdat
	.protected	_ZN7rocprim17ROCPRIM_400000_NS6detail17trampoline_kernelINS0_14default_configENS1_38merge_sort_block_merge_config_selectorIjN6thrust23THRUST_200600_302600_NS5tupleIffNS6_9null_typeES8_S8_S8_S8_S8_S8_S8_EEEEZZNS1_27merge_sort_block_merge_implIS3_NS6_6detail15normal_iteratorINS6_10device_ptrIjEEEENSD_INSE_IS9_EEEEjNS1_19radix_merge_compareILb0ELb1EjNS0_19identity_decomposerEEEEE10hipError_tT0_T1_T2_jT3_P12ihipStream_tbPNSt15iterator_traitsISN_E10value_typeEPNST_ISO_E10value_typeEPSP_NS1_7vsmem_tEENKUlT_SN_SO_SP_E_clISG_PjSI_PS9_EESM_S12_SN_SO_SP_EUlS12_E0_NS1_11comp_targetILNS1_3genE3ELNS1_11target_archE908ELNS1_3gpuE7ELNS1_3repE0EEENS1_38merge_mergepath_config_static_selectorELNS0_4arch9wavefront6targetE0EEEvSO_ ; -- Begin function _ZN7rocprim17ROCPRIM_400000_NS6detail17trampoline_kernelINS0_14default_configENS1_38merge_sort_block_merge_config_selectorIjN6thrust23THRUST_200600_302600_NS5tupleIffNS6_9null_typeES8_S8_S8_S8_S8_S8_S8_EEEEZZNS1_27merge_sort_block_merge_implIS3_NS6_6detail15normal_iteratorINS6_10device_ptrIjEEEENSD_INSE_IS9_EEEEjNS1_19radix_merge_compareILb0ELb1EjNS0_19identity_decomposerEEEEE10hipError_tT0_T1_T2_jT3_P12ihipStream_tbPNSt15iterator_traitsISN_E10value_typeEPNST_ISO_E10value_typeEPSP_NS1_7vsmem_tEENKUlT_SN_SO_SP_E_clISG_PjSI_PS9_EESM_S12_SN_SO_SP_EUlS12_E0_NS1_11comp_targetILNS1_3genE3ELNS1_11target_archE908ELNS1_3gpuE7ELNS1_3repE0EEENS1_38merge_mergepath_config_static_selectorELNS0_4arch9wavefront6targetE0EEEvSO_
	.globl	_ZN7rocprim17ROCPRIM_400000_NS6detail17trampoline_kernelINS0_14default_configENS1_38merge_sort_block_merge_config_selectorIjN6thrust23THRUST_200600_302600_NS5tupleIffNS6_9null_typeES8_S8_S8_S8_S8_S8_S8_EEEEZZNS1_27merge_sort_block_merge_implIS3_NS6_6detail15normal_iteratorINS6_10device_ptrIjEEEENSD_INSE_IS9_EEEEjNS1_19radix_merge_compareILb0ELb1EjNS0_19identity_decomposerEEEEE10hipError_tT0_T1_T2_jT3_P12ihipStream_tbPNSt15iterator_traitsISN_E10value_typeEPNST_ISO_E10value_typeEPSP_NS1_7vsmem_tEENKUlT_SN_SO_SP_E_clISG_PjSI_PS9_EESM_S12_SN_SO_SP_EUlS12_E0_NS1_11comp_targetILNS1_3genE3ELNS1_11target_archE908ELNS1_3gpuE7ELNS1_3repE0EEENS1_38merge_mergepath_config_static_selectorELNS0_4arch9wavefront6targetE0EEEvSO_
	.p2align	8
	.type	_ZN7rocprim17ROCPRIM_400000_NS6detail17trampoline_kernelINS0_14default_configENS1_38merge_sort_block_merge_config_selectorIjN6thrust23THRUST_200600_302600_NS5tupleIffNS6_9null_typeES8_S8_S8_S8_S8_S8_S8_EEEEZZNS1_27merge_sort_block_merge_implIS3_NS6_6detail15normal_iteratorINS6_10device_ptrIjEEEENSD_INSE_IS9_EEEEjNS1_19radix_merge_compareILb0ELb1EjNS0_19identity_decomposerEEEEE10hipError_tT0_T1_T2_jT3_P12ihipStream_tbPNSt15iterator_traitsISN_E10value_typeEPNST_ISO_E10value_typeEPSP_NS1_7vsmem_tEENKUlT_SN_SO_SP_E_clISG_PjSI_PS9_EESM_S12_SN_SO_SP_EUlS12_E0_NS1_11comp_targetILNS1_3genE3ELNS1_11target_archE908ELNS1_3gpuE7ELNS1_3repE0EEENS1_38merge_mergepath_config_static_selectorELNS0_4arch9wavefront6targetE0EEEvSO_,@function
_ZN7rocprim17ROCPRIM_400000_NS6detail17trampoline_kernelINS0_14default_configENS1_38merge_sort_block_merge_config_selectorIjN6thrust23THRUST_200600_302600_NS5tupleIffNS6_9null_typeES8_S8_S8_S8_S8_S8_S8_EEEEZZNS1_27merge_sort_block_merge_implIS3_NS6_6detail15normal_iteratorINS6_10device_ptrIjEEEENSD_INSE_IS9_EEEEjNS1_19radix_merge_compareILb0ELb1EjNS0_19identity_decomposerEEEEE10hipError_tT0_T1_T2_jT3_P12ihipStream_tbPNSt15iterator_traitsISN_E10value_typeEPNST_ISO_E10value_typeEPSP_NS1_7vsmem_tEENKUlT_SN_SO_SP_E_clISG_PjSI_PS9_EESM_S12_SN_SO_SP_EUlS12_E0_NS1_11comp_targetILNS1_3genE3ELNS1_11target_archE908ELNS1_3gpuE7ELNS1_3repE0EEENS1_38merge_mergepath_config_static_selectorELNS0_4arch9wavefront6targetE0EEEvSO_: ; @_ZN7rocprim17ROCPRIM_400000_NS6detail17trampoline_kernelINS0_14default_configENS1_38merge_sort_block_merge_config_selectorIjN6thrust23THRUST_200600_302600_NS5tupleIffNS6_9null_typeES8_S8_S8_S8_S8_S8_S8_EEEEZZNS1_27merge_sort_block_merge_implIS3_NS6_6detail15normal_iteratorINS6_10device_ptrIjEEEENSD_INSE_IS9_EEEEjNS1_19radix_merge_compareILb0ELb1EjNS0_19identity_decomposerEEEEE10hipError_tT0_T1_T2_jT3_P12ihipStream_tbPNSt15iterator_traitsISN_E10value_typeEPNST_ISO_E10value_typeEPSP_NS1_7vsmem_tEENKUlT_SN_SO_SP_E_clISG_PjSI_PS9_EESM_S12_SN_SO_SP_EUlS12_E0_NS1_11comp_targetILNS1_3genE3ELNS1_11target_archE908ELNS1_3gpuE7ELNS1_3repE0EEENS1_38merge_mergepath_config_static_selectorELNS0_4arch9wavefront6targetE0EEEvSO_
; %bb.0:
	.section	.rodata,"a",@progbits
	.p2align	6, 0x0
	.amdhsa_kernel _ZN7rocprim17ROCPRIM_400000_NS6detail17trampoline_kernelINS0_14default_configENS1_38merge_sort_block_merge_config_selectorIjN6thrust23THRUST_200600_302600_NS5tupleIffNS6_9null_typeES8_S8_S8_S8_S8_S8_S8_EEEEZZNS1_27merge_sort_block_merge_implIS3_NS6_6detail15normal_iteratorINS6_10device_ptrIjEEEENSD_INSE_IS9_EEEEjNS1_19radix_merge_compareILb0ELb1EjNS0_19identity_decomposerEEEEE10hipError_tT0_T1_T2_jT3_P12ihipStream_tbPNSt15iterator_traitsISN_E10value_typeEPNST_ISO_E10value_typeEPSP_NS1_7vsmem_tEENKUlT_SN_SO_SP_E_clISG_PjSI_PS9_EESM_S12_SN_SO_SP_EUlS12_E0_NS1_11comp_targetILNS1_3genE3ELNS1_11target_archE908ELNS1_3gpuE7ELNS1_3repE0EEENS1_38merge_mergepath_config_static_selectorELNS0_4arch9wavefront6targetE0EEEvSO_
		.amdhsa_group_segment_fixed_size 0
		.amdhsa_private_segment_fixed_size 0
		.amdhsa_kernarg_size 64
		.amdhsa_user_sgpr_count 2
		.amdhsa_user_sgpr_dispatch_ptr 0
		.amdhsa_user_sgpr_queue_ptr 0
		.amdhsa_user_sgpr_kernarg_segment_ptr 1
		.amdhsa_user_sgpr_dispatch_id 0
		.amdhsa_user_sgpr_private_segment_size 0
		.amdhsa_wavefront_size32 1
		.amdhsa_uses_dynamic_stack 0
		.amdhsa_enable_private_segment 0
		.amdhsa_system_sgpr_workgroup_id_x 1
		.amdhsa_system_sgpr_workgroup_id_y 0
		.amdhsa_system_sgpr_workgroup_id_z 0
		.amdhsa_system_sgpr_workgroup_info 0
		.amdhsa_system_vgpr_workitem_id 0
		.amdhsa_next_free_vgpr 1
		.amdhsa_next_free_sgpr 1
		.amdhsa_reserve_vcc 0
		.amdhsa_float_round_mode_32 0
		.amdhsa_float_round_mode_16_64 0
		.amdhsa_float_denorm_mode_32 3
		.amdhsa_float_denorm_mode_16_64 3
		.amdhsa_fp16_overflow 0
		.amdhsa_workgroup_processor_mode 1
		.amdhsa_memory_ordered 1
		.amdhsa_forward_progress 1
		.amdhsa_inst_pref_size 0
		.amdhsa_round_robin_scheduling 0
		.amdhsa_exception_fp_ieee_invalid_op 0
		.amdhsa_exception_fp_denorm_src 0
		.amdhsa_exception_fp_ieee_div_zero 0
		.amdhsa_exception_fp_ieee_overflow 0
		.amdhsa_exception_fp_ieee_underflow 0
		.amdhsa_exception_fp_ieee_inexact 0
		.amdhsa_exception_int_div_zero 0
	.end_amdhsa_kernel
	.section	.text._ZN7rocprim17ROCPRIM_400000_NS6detail17trampoline_kernelINS0_14default_configENS1_38merge_sort_block_merge_config_selectorIjN6thrust23THRUST_200600_302600_NS5tupleIffNS6_9null_typeES8_S8_S8_S8_S8_S8_S8_EEEEZZNS1_27merge_sort_block_merge_implIS3_NS6_6detail15normal_iteratorINS6_10device_ptrIjEEEENSD_INSE_IS9_EEEEjNS1_19radix_merge_compareILb0ELb1EjNS0_19identity_decomposerEEEEE10hipError_tT0_T1_T2_jT3_P12ihipStream_tbPNSt15iterator_traitsISN_E10value_typeEPNST_ISO_E10value_typeEPSP_NS1_7vsmem_tEENKUlT_SN_SO_SP_E_clISG_PjSI_PS9_EESM_S12_SN_SO_SP_EUlS12_E0_NS1_11comp_targetILNS1_3genE3ELNS1_11target_archE908ELNS1_3gpuE7ELNS1_3repE0EEENS1_38merge_mergepath_config_static_selectorELNS0_4arch9wavefront6targetE0EEEvSO_,"axG",@progbits,_ZN7rocprim17ROCPRIM_400000_NS6detail17trampoline_kernelINS0_14default_configENS1_38merge_sort_block_merge_config_selectorIjN6thrust23THRUST_200600_302600_NS5tupleIffNS6_9null_typeES8_S8_S8_S8_S8_S8_S8_EEEEZZNS1_27merge_sort_block_merge_implIS3_NS6_6detail15normal_iteratorINS6_10device_ptrIjEEEENSD_INSE_IS9_EEEEjNS1_19radix_merge_compareILb0ELb1EjNS0_19identity_decomposerEEEEE10hipError_tT0_T1_T2_jT3_P12ihipStream_tbPNSt15iterator_traitsISN_E10value_typeEPNST_ISO_E10value_typeEPSP_NS1_7vsmem_tEENKUlT_SN_SO_SP_E_clISG_PjSI_PS9_EESM_S12_SN_SO_SP_EUlS12_E0_NS1_11comp_targetILNS1_3genE3ELNS1_11target_archE908ELNS1_3gpuE7ELNS1_3repE0EEENS1_38merge_mergepath_config_static_selectorELNS0_4arch9wavefront6targetE0EEEvSO_,comdat
.Lfunc_end127:
	.size	_ZN7rocprim17ROCPRIM_400000_NS6detail17trampoline_kernelINS0_14default_configENS1_38merge_sort_block_merge_config_selectorIjN6thrust23THRUST_200600_302600_NS5tupleIffNS6_9null_typeES8_S8_S8_S8_S8_S8_S8_EEEEZZNS1_27merge_sort_block_merge_implIS3_NS6_6detail15normal_iteratorINS6_10device_ptrIjEEEENSD_INSE_IS9_EEEEjNS1_19radix_merge_compareILb0ELb1EjNS0_19identity_decomposerEEEEE10hipError_tT0_T1_T2_jT3_P12ihipStream_tbPNSt15iterator_traitsISN_E10value_typeEPNST_ISO_E10value_typeEPSP_NS1_7vsmem_tEENKUlT_SN_SO_SP_E_clISG_PjSI_PS9_EESM_S12_SN_SO_SP_EUlS12_E0_NS1_11comp_targetILNS1_3genE3ELNS1_11target_archE908ELNS1_3gpuE7ELNS1_3repE0EEENS1_38merge_mergepath_config_static_selectorELNS0_4arch9wavefront6targetE0EEEvSO_, .Lfunc_end127-_ZN7rocprim17ROCPRIM_400000_NS6detail17trampoline_kernelINS0_14default_configENS1_38merge_sort_block_merge_config_selectorIjN6thrust23THRUST_200600_302600_NS5tupleIffNS6_9null_typeES8_S8_S8_S8_S8_S8_S8_EEEEZZNS1_27merge_sort_block_merge_implIS3_NS6_6detail15normal_iteratorINS6_10device_ptrIjEEEENSD_INSE_IS9_EEEEjNS1_19radix_merge_compareILb0ELb1EjNS0_19identity_decomposerEEEEE10hipError_tT0_T1_T2_jT3_P12ihipStream_tbPNSt15iterator_traitsISN_E10value_typeEPNST_ISO_E10value_typeEPSP_NS1_7vsmem_tEENKUlT_SN_SO_SP_E_clISG_PjSI_PS9_EESM_S12_SN_SO_SP_EUlS12_E0_NS1_11comp_targetILNS1_3genE3ELNS1_11target_archE908ELNS1_3gpuE7ELNS1_3repE0EEENS1_38merge_mergepath_config_static_selectorELNS0_4arch9wavefront6targetE0EEEvSO_
                                        ; -- End function
	.set _ZN7rocprim17ROCPRIM_400000_NS6detail17trampoline_kernelINS0_14default_configENS1_38merge_sort_block_merge_config_selectorIjN6thrust23THRUST_200600_302600_NS5tupleIffNS6_9null_typeES8_S8_S8_S8_S8_S8_S8_EEEEZZNS1_27merge_sort_block_merge_implIS3_NS6_6detail15normal_iteratorINS6_10device_ptrIjEEEENSD_INSE_IS9_EEEEjNS1_19radix_merge_compareILb0ELb1EjNS0_19identity_decomposerEEEEE10hipError_tT0_T1_T2_jT3_P12ihipStream_tbPNSt15iterator_traitsISN_E10value_typeEPNST_ISO_E10value_typeEPSP_NS1_7vsmem_tEENKUlT_SN_SO_SP_E_clISG_PjSI_PS9_EESM_S12_SN_SO_SP_EUlS12_E0_NS1_11comp_targetILNS1_3genE3ELNS1_11target_archE908ELNS1_3gpuE7ELNS1_3repE0EEENS1_38merge_mergepath_config_static_selectorELNS0_4arch9wavefront6targetE0EEEvSO_.num_vgpr, 0
	.set _ZN7rocprim17ROCPRIM_400000_NS6detail17trampoline_kernelINS0_14default_configENS1_38merge_sort_block_merge_config_selectorIjN6thrust23THRUST_200600_302600_NS5tupleIffNS6_9null_typeES8_S8_S8_S8_S8_S8_S8_EEEEZZNS1_27merge_sort_block_merge_implIS3_NS6_6detail15normal_iteratorINS6_10device_ptrIjEEEENSD_INSE_IS9_EEEEjNS1_19radix_merge_compareILb0ELb1EjNS0_19identity_decomposerEEEEE10hipError_tT0_T1_T2_jT3_P12ihipStream_tbPNSt15iterator_traitsISN_E10value_typeEPNST_ISO_E10value_typeEPSP_NS1_7vsmem_tEENKUlT_SN_SO_SP_E_clISG_PjSI_PS9_EESM_S12_SN_SO_SP_EUlS12_E0_NS1_11comp_targetILNS1_3genE3ELNS1_11target_archE908ELNS1_3gpuE7ELNS1_3repE0EEENS1_38merge_mergepath_config_static_selectorELNS0_4arch9wavefront6targetE0EEEvSO_.num_agpr, 0
	.set _ZN7rocprim17ROCPRIM_400000_NS6detail17trampoline_kernelINS0_14default_configENS1_38merge_sort_block_merge_config_selectorIjN6thrust23THRUST_200600_302600_NS5tupleIffNS6_9null_typeES8_S8_S8_S8_S8_S8_S8_EEEEZZNS1_27merge_sort_block_merge_implIS3_NS6_6detail15normal_iteratorINS6_10device_ptrIjEEEENSD_INSE_IS9_EEEEjNS1_19radix_merge_compareILb0ELb1EjNS0_19identity_decomposerEEEEE10hipError_tT0_T1_T2_jT3_P12ihipStream_tbPNSt15iterator_traitsISN_E10value_typeEPNST_ISO_E10value_typeEPSP_NS1_7vsmem_tEENKUlT_SN_SO_SP_E_clISG_PjSI_PS9_EESM_S12_SN_SO_SP_EUlS12_E0_NS1_11comp_targetILNS1_3genE3ELNS1_11target_archE908ELNS1_3gpuE7ELNS1_3repE0EEENS1_38merge_mergepath_config_static_selectorELNS0_4arch9wavefront6targetE0EEEvSO_.numbered_sgpr, 0
	.set _ZN7rocprim17ROCPRIM_400000_NS6detail17trampoline_kernelINS0_14default_configENS1_38merge_sort_block_merge_config_selectorIjN6thrust23THRUST_200600_302600_NS5tupleIffNS6_9null_typeES8_S8_S8_S8_S8_S8_S8_EEEEZZNS1_27merge_sort_block_merge_implIS3_NS6_6detail15normal_iteratorINS6_10device_ptrIjEEEENSD_INSE_IS9_EEEEjNS1_19radix_merge_compareILb0ELb1EjNS0_19identity_decomposerEEEEE10hipError_tT0_T1_T2_jT3_P12ihipStream_tbPNSt15iterator_traitsISN_E10value_typeEPNST_ISO_E10value_typeEPSP_NS1_7vsmem_tEENKUlT_SN_SO_SP_E_clISG_PjSI_PS9_EESM_S12_SN_SO_SP_EUlS12_E0_NS1_11comp_targetILNS1_3genE3ELNS1_11target_archE908ELNS1_3gpuE7ELNS1_3repE0EEENS1_38merge_mergepath_config_static_selectorELNS0_4arch9wavefront6targetE0EEEvSO_.num_named_barrier, 0
	.set _ZN7rocprim17ROCPRIM_400000_NS6detail17trampoline_kernelINS0_14default_configENS1_38merge_sort_block_merge_config_selectorIjN6thrust23THRUST_200600_302600_NS5tupleIffNS6_9null_typeES8_S8_S8_S8_S8_S8_S8_EEEEZZNS1_27merge_sort_block_merge_implIS3_NS6_6detail15normal_iteratorINS6_10device_ptrIjEEEENSD_INSE_IS9_EEEEjNS1_19radix_merge_compareILb0ELb1EjNS0_19identity_decomposerEEEEE10hipError_tT0_T1_T2_jT3_P12ihipStream_tbPNSt15iterator_traitsISN_E10value_typeEPNST_ISO_E10value_typeEPSP_NS1_7vsmem_tEENKUlT_SN_SO_SP_E_clISG_PjSI_PS9_EESM_S12_SN_SO_SP_EUlS12_E0_NS1_11comp_targetILNS1_3genE3ELNS1_11target_archE908ELNS1_3gpuE7ELNS1_3repE0EEENS1_38merge_mergepath_config_static_selectorELNS0_4arch9wavefront6targetE0EEEvSO_.private_seg_size, 0
	.set _ZN7rocprim17ROCPRIM_400000_NS6detail17trampoline_kernelINS0_14default_configENS1_38merge_sort_block_merge_config_selectorIjN6thrust23THRUST_200600_302600_NS5tupleIffNS6_9null_typeES8_S8_S8_S8_S8_S8_S8_EEEEZZNS1_27merge_sort_block_merge_implIS3_NS6_6detail15normal_iteratorINS6_10device_ptrIjEEEENSD_INSE_IS9_EEEEjNS1_19radix_merge_compareILb0ELb1EjNS0_19identity_decomposerEEEEE10hipError_tT0_T1_T2_jT3_P12ihipStream_tbPNSt15iterator_traitsISN_E10value_typeEPNST_ISO_E10value_typeEPSP_NS1_7vsmem_tEENKUlT_SN_SO_SP_E_clISG_PjSI_PS9_EESM_S12_SN_SO_SP_EUlS12_E0_NS1_11comp_targetILNS1_3genE3ELNS1_11target_archE908ELNS1_3gpuE7ELNS1_3repE0EEENS1_38merge_mergepath_config_static_selectorELNS0_4arch9wavefront6targetE0EEEvSO_.uses_vcc, 0
	.set _ZN7rocprim17ROCPRIM_400000_NS6detail17trampoline_kernelINS0_14default_configENS1_38merge_sort_block_merge_config_selectorIjN6thrust23THRUST_200600_302600_NS5tupleIffNS6_9null_typeES8_S8_S8_S8_S8_S8_S8_EEEEZZNS1_27merge_sort_block_merge_implIS3_NS6_6detail15normal_iteratorINS6_10device_ptrIjEEEENSD_INSE_IS9_EEEEjNS1_19radix_merge_compareILb0ELb1EjNS0_19identity_decomposerEEEEE10hipError_tT0_T1_T2_jT3_P12ihipStream_tbPNSt15iterator_traitsISN_E10value_typeEPNST_ISO_E10value_typeEPSP_NS1_7vsmem_tEENKUlT_SN_SO_SP_E_clISG_PjSI_PS9_EESM_S12_SN_SO_SP_EUlS12_E0_NS1_11comp_targetILNS1_3genE3ELNS1_11target_archE908ELNS1_3gpuE7ELNS1_3repE0EEENS1_38merge_mergepath_config_static_selectorELNS0_4arch9wavefront6targetE0EEEvSO_.uses_flat_scratch, 0
	.set _ZN7rocprim17ROCPRIM_400000_NS6detail17trampoline_kernelINS0_14default_configENS1_38merge_sort_block_merge_config_selectorIjN6thrust23THRUST_200600_302600_NS5tupleIffNS6_9null_typeES8_S8_S8_S8_S8_S8_S8_EEEEZZNS1_27merge_sort_block_merge_implIS3_NS6_6detail15normal_iteratorINS6_10device_ptrIjEEEENSD_INSE_IS9_EEEEjNS1_19radix_merge_compareILb0ELb1EjNS0_19identity_decomposerEEEEE10hipError_tT0_T1_T2_jT3_P12ihipStream_tbPNSt15iterator_traitsISN_E10value_typeEPNST_ISO_E10value_typeEPSP_NS1_7vsmem_tEENKUlT_SN_SO_SP_E_clISG_PjSI_PS9_EESM_S12_SN_SO_SP_EUlS12_E0_NS1_11comp_targetILNS1_3genE3ELNS1_11target_archE908ELNS1_3gpuE7ELNS1_3repE0EEENS1_38merge_mergepath_config_static_selectorELNS0_4arch9wavefront6targetE0EEEvSO_.has_dyn_sized_stack, 0
	.set _ZN7rocprim17ROCPRIM_400000_NS6detail17trampoline_kernelINS0_14default_configENS1_38merge_sort_block_merge_config_selectorIjN6thrust23THRUST_200600_302600_NS5tupleIffNS6_9null_typeES8_S8_S8_S8_S8_S8_S8_EEEEZZNS1_27merge_sort_block_merge_implIS3_NS6_6detail15normal_iteratorINS6_10device_ptrIjEEEENSD_INSE_IS9_EEEEjNS1_19radix_merge_compareILb0ELb1EjNS0_19identity_decomposerEEEEE10hipError_tT0_T1_T2_jT3_P12ihipStream_tbPNSt15iterator_traitsISN_E10value_typeEPNST_ISO_E10value_typeEPSP_NS1_7vsmem_tEENKUlT_SN_SO_SP_E_clISG_PjSI_PS9_EESM_S12_SN_SO_SP_EUlS12_E0_NS1_11comp_targetILNS1_3genE3ELNS1_11target_archE908ELNS1_3gpuE7ELNS1_3repE0EEENS1_38merge_mergepath_config_static_selectorELNS0_4arch9wavefront6targetE0EEEvSO_.has_recursion, 0
	.set _ZN7rocprim17ROCPRIM_400000_NS6detail17trampoline_kernelINS0_14default_configENS1_38merge_sort_block_merge_config_selectorIjN6thrust23THRUST_200600_302600_NS5tupleIffNS6_9null_typeES8_S8_S8_S8_S8_S8_S8_EEEEZZNS1_27merge_sort_block_merge_implIS3_NS6_6detail15normal_iteratorINS6_10device_ptrIjEEEENSD_INSE_IS9_EEEEjNS1_19radix_merge_compareILb0ELb1EjNS0_19identity_decomposerEEEEE10hipError_tT0_T1_T2_jT3_P12ihipStream_tbPNSt15iterator_traitsISN_E10value_typeEPNST_ISO_E10value_typeEPSP_NS1_7vsmem_tEENKUlT_SN_SO_SP_E_clISG_PjSI_PS9_EESM_S12_SN_SO_SP_EUlS12_E0_NS1_11comp_targetILNS1_3genE3ELNS1_11target_archE908ELNS1_3gpuE7ELNS1_3repE0EEENS1_38merge_mergepath_config_static_selectorELNS0_4arch9wavefront6targetE0EEEvSO_.has_indirect_call, 0
	.section	.AMDGPU.csdata,"",@progbits
; Kernel info:
; codeLenInByte = 0
; TotalNumSgprs: 0
; NumVgprs: 0
; ScratchSize: 0
; MemoryBound: 0
; FloatMode: 240
; IeeeMode: 1
; LDSByteSize: 0 bytes/workgroup (compile time only)
; SGPRBlocks: 0
; VGPRBlocks: 0
; NumSGPRsForWavesPerEU: 1
; NumVGPRsForWavesPerEU: 1
; Occupancy: 16
; WaveLimiterHint : 0
; COMPUTE_PGM_RSRC2:SCRATCH_EN: 0
; COMPUTE_PGM_RSRC2:USER_SGPR: 2
; COMPUTE_PGM_RSRC2:TRAP_HANDLER: 0
; COMPUTE_PGM_RSRC2:TGID_X_EN: 1
; COMPUTE_PGM_RSRC2:TGID_Y_EN: 0
; COMPUTE_PGM_RSRC2:TGID_Z_EN: 0
; COMPUTE_PGM_RSRC2:TIDIG_COMP_CNT: 0
	.section	.text._ZN7rocprim17ROCPRIM_400000_NS6detail17trampoline_kernelINS0_14default_configENS1_38merge_sort_block_merge_config_selectorIjN6thrust23THRUST_200600_302600_NS5tupleIffNS6_9null_typeES8_S8_S8_S8_S8_S8_S8_EEEEZZNS1_27merge_sort_block_merge_implIS3_NS6_6detail15normal_iteratorINS6_10device_ptrIjEEEENSD_INSE_IS9_EEEEjNS1_19radix_merge_compareILb0ELb1EjNS0_19identity_decomposerEEEEE10hipError_tT0_T1_T2_jT3_P12ihipStream_tbPNSt15iterator_traitsISN_E10value_typeEPNST_ISO_E10value_typeEPSP_NS1_7vsmem_tEENKUlT_SN_SO_SP_E_clISG_PjSI_PS9_EESM_S12_SN_SO_SP_EUlS12_E0_NS1_11comp_targetILNS1_3genE2ELNS1_11target_archE906ELNS1_3gpuE6ELNS1_3repE0EEENS1_38merge_mergepath_config_static_selectorELNS0_4arch9wavefront6targetE0EEEvSO_,"axG",@progbits,_ZN7rocprim17ROCPRIM_400000_NS6detail17trampoline_kernelINS0_14default_configENS1_38merge_sort_block_merge_config_selectorIjN6thrust23THRUST_200600_302600_NS5tupleIffNS6_9null_typeES8_S8_S8_S8_S8_S8_S8_EEEEZZNS1_27merge_sort_block_merge_implIS3_NS6_6detail15normal_iteratorINS6_10device_ptrIjEEEENSD_INSE_IS9_EEEEjNS1_19radix_merge_compareILb0ELb1EjNS0_19identity_decomposerEEEEE10hipError_tT0_T1_T2_jT3_P12ihipStream_tbPNSt15iterator_traitsISN_E10value_typeEPNST_ISO_E10value_typeEPSP_NS1_7vsmem_tEENKUlT_SN_SO_SP_E_clISG_PjSI_PS9_EESM_S12_SN_SO_SP_EUlS12_E0_NS1_11comp_targetILNS1_3genE2ELNS1_11target_archE906ELNS1_3gpuE6ELNS1_3repE0EEENS1_38merge_mergepath_config_static_selectorELNS0_4arch9wavefront6targetE0EEEvSO_,comdat
	.protected	_ZN7rocprim17ROCPRIM_400000_NS6detail17trampoline_kernelINS0_14default_configENS1_38merge_sort_block_merge_config_selectorIjN6thrust23THRUST_200600_302600_NS5tupleIffNS6_9null_typeES8_S8_S8_S8_S8_S8_S8_EEEEZZNS1_27merge_sort_block_merge_implIS3_NS6_6detail15normal_iteratorINS6_10device_ptrIjEEEENSD_INSE_IS9_EEEEjNS1_19radix_merge_compareILb0ELb1EjNS0_19identity_decomposerEEEEE10hipError_tT0_T1_T2_jT3_P12ihipStream_tbPNSt15iterator_traitsISN_E10value_typeEPNST_ISO_E10value_typeEPSP_NS1_7vsmem_tEENKUlT_SN_SO_SP_E_clISG_PjSI_PS9_EESM_S12_SN_SO_SP_EUlS12_E0_NS1_11comp_targetILNS1_3genE2ELNS1_11target_archE906ELNS1_3gpuE6ELNS1_3repE0EEENS1_38merge_mergepath_config_static_selectorELNS0_4arch9wavefront6targetE0EEEvSO_ ; -- Begin function _ZN7rocprim17ROCPRIM_400000_NS6detail17trampoline_kernelINS0_14default_configENS1_38merge_sort_block_merge_config_selectorIjN6thrust23THRUST_200600_302600_NS5tupleIffNS6_9null_typeES8_S8_S8_S8_S8_S8_S8_EEEEZZNS1_27merge_sort_block_merge_implIS3_NS6_6detail15normal_iteratorINS6_10device_ptrIjEEEENSD_INSE_IS9_EEEEjNS1_19radix_merge_compareILb0ELb1EjNS0_19identity_decomposerEEEEE10hipError_tT0_T1_T2_jT3_P12ihipStream_tbPNSt15iterator_traitsISN_E10value_typeEPNST_ISO_E10value_typeEPSP_NS1_7vsmem_tEENKUlT_SN_SO_SP_E_clISG_PjSI_PS9_EESM_S12_SN_SO_SP_EUlS12_E0_NS1_11comp_targetILNS1_3genE2ELNS1_11target_archE906ELNS1_3gpuE6ELNS1_3repE0EEENS1_38merge_mergepath_config_static_selectorELNS0_4arch9wavefront6targetE0EEEvSO_
	.globl	_ZN7rocprim17ROCPRIM_400000_NS6detail17trampoline_kernelINS0_14default_configENS1_38merge_sort_block_merge_config_selectorIjN6thrust23THRUST_200600_302600_NS5tupleIffNS6_9null_typeES8_S8_S8_S8_S8_S8_S8_EEEEZZNS1_27merge_sort_block_merge_implIS3_NS6_6detail15normal_iteratorINS6_10device_ptrIjEEEENSD_INSE_IS9_EEEEjNS1_19radix_merge_compareILb0ELb1EjNS0_19identity_decomposerEEEEE10hipError_tT0_T1_T2_jT3_P12ihipStream_tbPNSt15iterator_traitsISN_E10value_typeEPNST_ISO_E10value_typeEPSP_NS1_7vsmem_tEENKUlT_SN_SO_SP_E_clISG_PjSI_PS9_EESM_S12_SN_SO_SP_EUlS12_E0_NS1_11comp_targetILNS1_3genE2ELNS1_11target_archE906ELNS1_3gpuE6ELNS1_3repE0EEENS1_38merge_mergepath_config_static_selectorELNS0_4arch9wavefront6targetE0EEEvSO_
	.p2align	8
	.type	_ZN7rocprim17ROCPRIM_400000_NS6detail17trampoline_kernelINS0_14default_configENS1_38merge_sort_block_merge_config_selectorIjN6thrust23THRUST_200600_302600_NS5tupleIffNS6_9null_typeES8_S8_S8_S8_S8_S8_S8_EEEEZZNS1_27merge_sort_block_merge_implIS3_NS6_6detail15normal_iteratorINS6_10device_ptrIjEEEENSD_INSE_IS9_EEEEjNS1_19radix_merge_compareILb0ELb1EjNS0_19identity_decomposerEEEEE10hipError_tT0_T1_T2_jT3_P12ihipStream_tbPNSt15iterator_traitsISN_E10value_typeEPNST_ISO_E10value_typeEPSP_NS1_7vsmem_tEENKUlT_SN_SO_SP_E_clISG_PjSI_PS9_EESM_S12_SN_SO_SP_EUlS12_E0_NS1_11comp_targetILNS1_3genE2ELNS1_11target_archE906ELNS1_3gpuE6ELNS1_3repE0EEENS1_38merge_mergepath_config_static_selectorELNS0_4arch9wavefront6targetE0EEEvSO_,@function
_ZN7rocprim17ROCPRIM_400000_NS6detail17trampoline_kernelINS0_14default_configENS1_38merge_sort_block_merge_config_selectorIjN6thrust23THRUST_200600_302600_NS5tupleIffNS6_9null_typeES8_S8_S8_S8_S8_S8_S8_EEEEZZNS1_27merge_sort_block_merge_implIS3_NS6_6detail15normal_iteratorINS6_10device_ptrIjEEEENSD_INSE_IS9_EEEEjNS1_19radix_merge_compareILb0ELb1EjNS0_19identity_decomposerEEEEE10hipError_tT0_T1_T2_jT3_P12ihipStream_tbPNSt15iterator_traitsISN_E10value_typeEPNST_ISO_E10value_typeEPSP_NS1_7vsmem_tEENKUlT_SN_SO_SP_E_clISG_PjSI_PS9_EESM_S12_SN_SO_SP_EUlS12_E0_NS1_11comp_targetILNS1_3genE2ELNS1_11target_archE906ELNS1_3gpuE6ELNS1_3repE0EEENS1_38merge_mergepath_config_static_selectorELNS0_4arch9wavefront6targetE0EEEvSO_: ; @_ZN7rocprim17ROCPRIM_400000_NS6detail17trampoline_kernelINS0_14default_configENS1_38merge_sort_block_merge_config_selectorIjN6thrust23THRUST_200600_302600_NS5tupleIffNS6_9null_typeES8_S8_S8_S8_S8_S8_S8_EEEEZZNS1_27merge_sort_block_merge_implIS3_NS6_6detail15normal_iteratorINS6_10device_ptrIjEEEENSD_INSE_IS9_EEEEjNS1_19radix_merge_compareILb0ELb1EjNS0_19identity_decomposerEEEEE10hipError_tT0_T1_T2_jT3_P12ihipStream_tbPNSt15iterator_traitsISN_E10value_typeEPNST_ISO_E10value_typeEPSP_NS1_7vsmem_tEENKUlT_SN_SO_SP_E_clISG_PjSI_PS9_EESM_S12_SN_SO_SP_EUlS12_E0_NS1_11comp_targetILNS1_3genE2ELNS1_11target_archE906ELNS1_3gpuE6ELNS1_3repE0EEENS1_38merge_mergepath_config_static_selectorELNS0_4arch9wavefront6targetE0EEEvSO_
; %bb.0:
	.section	.rodata,"a",@progbits
	.p2align	6, 0x0
	.amdhsa_kernel _ZN7rocprim17ROCPRIM_400000_NS6detail17trampoline_kernelINS0_14default_configENS1_38merge_sort_block_merge_config_selectorIjN6thrust23THRUST_200600_302600_NS5tupleIffNS6_9null_typeES8_S8_S8_S8_S8_S8_S8_EEEEZZNS1_27merge_sort_block_merge_implIS3_NS6_6detail15normal_iteratorINS6_10device_ptrIjEEEENSD_INSE_IS9_EEEEjNS1_19radix_merge_compareILb0ELb1EjNS0_19identity_decomposerEEEEE10hipError_tT0_T1_T2_jT3_P12ihipStream_tbPNSt15iterator_traitsISN_E10value_typeEPNST_ISO_E10value_typeEPSP_NS1_7vsmem_tEENKUlT_SN_SO_SP_E_clISG_PjSI_PS9_EESM_S12_SN_SO_SP_EUlS12_E0_NS1_11comp_targetILNS1_3genE2ELNS1_11target_archE906ELNS1_3gpuE6ELNS1_3repE0EEENS1_38merge_mergepath_config_static_selectorELNS0_4arch9wavefront6targetE0EEEvSO_
		.amdhsa_group_segment_fixed_size 0
		.amdhsa_private_segment_fixed_size 0
		.amdhsa_kernarg_size 64
		.amdhsa_user_sgpr_count 2
		.amdhsa_user_sgpr_dispatch_ptr 0
		.amdhsa_user_sgpr_queue_ptr 0
		.amdhsa_user_sgpr_kernarg_segment_ptr 1
		.amdhsa_user_sgpr_dispatch_id 0
		.amdhsa_user_sgpr_private_segment_size 0
		.amdhsa_wavefront_size32 1
		.amdhsa_uses_dynamic_stack 0
		.amdhsa_enable_private_segment 0
		.amdhsa_system_sgpr_workgroup_id_x 1
		.amdhsa_system_sgpr_workgroup_id_y 0
		.amdhsa_system_sgpr_workgroup_id_z 0
		.amdhsa_system_sgpr_workgroup_info 0
		.amdhsa_system_vgpr_workitem_id 0
		.amdhsa_next_free_vgpr 1
		.amdhsa_next_free_sgpr 1
		.amdhsa_reserve_vcc 0
		.amdhsa_float_round_mode_32 0
		.amdhsa_float_round_mode_16_64 0
		.amdhsa_float_denorm_mode_32 3
		.amdhsa_float_denorm_mode_16_64 3
		.amdhsa_fp16_overflow 0
		.amdhsa_workgroup_processor_mode 1
		.amdhsa_memory_ordered 1
		.amdhsa_forward_progress 1
		.amdhsa_inst_pref_size 0
		.amdhsa_round_robin_scheduling 0
		.amdhsa_exception_fp_ieee_invalid_op 0
		.amdhsa_exception_fp_denorm_src 0
		.amdhsa_exception_fp_ieee_div_zero 0
		.amdhsa_exception_fp_ieee_overflow 0
		.amdhsa_exception_fp_ieee_underflow 0
		.amdhsa_exception_fp_ieee_inexact 0
		.amdhsa_exception_int_div_zero 0
	.end_amdhsa_kernel
	.section	.text._ZN7rocprim17ROCPRIM_400000_NS6detail17trampoline_kernelINS0_14default_configENS1_38merge_sort_block_merge_config_selectorIjN6thrust23THRUST_200600_302600_NS5tupleIffNS6_9null_typeES8_S8_S8_S8_S8_S8_S8_EEEEZZNS1_27merge_sort_block_merge_implIS3_NS6_6detail15normal_iteratorINS6_10device_ptrIjEEEENSD_INSE_IS9_EEEEjNS1_19radix_merge_compareILb0ELb1EjNS0_19identity_decomposerEEEEE10hipError_tT0_T1_T2_jT3_P12ihipStream_tbPNSt15iterator_traitsISN_E10value_typeEPNST_ISO_E10value_typeEPSP_NS1_7vsmem_tEENKUlT_SN_SO_SP_E_clISG_PjSI_PS9_EESM_S12_SN_SO_SP_EUlS12_E0_NS1_11comp_targetILNS1_3genE2ELNS1_11target_archE906ELNS1_3gpuE6ELNS1_3repE0EEENS1_38merge_mergepath_config_static_selectorELNS0_4arch9wavefront6targetE0EEEvSO_,"axG",@progbits,_ZN7rocprim17ROCPRIM_400000_NS6detail17trampoline_kernelINS0_14default_configENS1_38merge_sort_block_merge_config_selectorIjN6thrust23THRUST_200600_302600_NS5tupleIffNS6_9null_typeES8_S8_S8_S8_S8_S8_S8_EEEEZZNS1_27merge_sort_block_merge_implIS3_NS6_6detail15normal_iteratorINS6_10device_ptrIjEEEENSD_INSE_IS9_EEEEjNS1_19radix_merge_compareILb0ELb1EjNS0_19identity_decomposerEEEEE10hipError_tT0_T1_T2_jT3_P12ihipStream_tbPNSt15iterator_traitsISN_E10value_typeEPNST_ISO_E10value_typeEPSP_NS1_7vsmem_tEENKUlT_SN_SO_SP_E_clISG_PjSI_PS9_EESM_S12_SN_SO_SP_EUlS12_E0_NS1_11comp_targetILNS1_3genE2ELNS1_11target_archE906ELNS1_3gpuE6ELNS1_3repE0EEENS1_38merge_mergepath_config_static_selectorELNS0_4arch9wavefront6targetE0EEEvSO_,comdat
.Lfunc_end128:
	.size	_ZN7rocprim17ROCPRIM_400000_NS6detail17trampoline_kernelINS0_14default_configENS1_38merge_sort_block_merge_config_selectorIjN6thrust23THRUST_200600_302600_NS5tupleIffNS6_9null_typeES8_S8_S8_S8_S8_S8_S8_EEEEZZNS1_27merge_sort_block_merge_implIS3_NS6_6detail15normal_iteratorINS6_10device_ptrIjEEEENSD_INSE_IS9_EEEEjNS1_19radix_merge_compareILb0ELb1EjNS0_19identity_decomposerEEEEE10hipError_tT0_T1_T2_jT3_P12ihipStream_tbPNSt15iterator_traitsISN_E10value_typeEPNST_ISO_E10value_typeEPSP_NS1_7vsmem_tEENKUlT_SN_SO_SP_E_clISG_PjSI_PS9_EESM_S12_SN_SO_SP_EUlS12_E0_NS1_11comp_targetILNS1_3genE2ELNS1_11target_archE906ELNS1_3gpuE6ELNS1_3repE0EEENS1_38merge_mergepath_config_static_selectorELNS0_4arch9wavefront6targetE0EEEvSO_, .Lfunc_end128-_ZN7rocprim17ROCPRIM_400000_NS6detail17trampoline_kernelINS0_14default_configENS1_38merge_sort_block_merge_config_selectorIjN6thrust23THRUST_200600_302600_NS5tupleIffNS6_9null_typeES8_S8_S8_S8_S8_S8_S8_EEEEZZNS1_27merge_sort_block_merge_implIS3_NS6_6detail15normal_iteratorINS6_10device_ptrIjEEEENSD_INSE_IS9_EEEEjNS1_19radix_merge_compareILb0ELb1EjNS0_19identity_decomposerEEEEE10hipError_tT0_T1_T2_jT3_P12ihipStream_tbPNSt15iterator_traitsISN_E10value_typeEPNST_ISO_E10value_typeEPSP_NS1_7vsmem_tEENKUlT_SN_SO_SP_E_clISG_PjSI_PS9_EESM_S12_SN_SO_SP_EUlS12_E0_NS1_11comp_targetILNS1_3genE2ELNS1_11target_archE906ELNS1_3gpuE6ELNS1_3repE0EEENS1_38merge_mergepath_config_static_selectorELNS0_4arch9wavefront6targetE0EEEvSO_
                                        ; -- End function
	.set _ZN7rocprim17ROCPRIM_400000_NS6detail17trampoline_kernelINS0_14default_configENS1_38merge_sort_block_merge_config_selectorIjN6thrust23THRUST_200600_302600_NS5tupleIffNS6_9null_typeES8_S8_S8_S8_S8_S8_S8_EEEEZZNS1_27merge_sort_block_merge_implIS3_NS6_6detail15normal_iteratorINS6_10device_ptrIjEEEENSD_INSE_IS9_EEEEjNS1_19radix_merge_compareILb0ELb1EjNS0_19identity_decomposerEEEEE10hipError_tT0_T1_T2_jT3_P12ihipStream_tbPNSt15iterator_traitsISN_E10value_typeEPNST_ISO_E10value_typeEPSP_NS1_7vsmem_tEENKUlT_SN_SO_SP_E_clISG_PjSI_PS9_EESM_S12_SN_SO_SP_EUlS12_E0_NS1_11comp_targetILNS1_3genE2ELNS1_11target_archE906ELNS1_3gpuE6ELNS1_3repE0EEENS1_38merge_mergepath_config_static_selectorELNS0_4arch9wavefront6targetE0EEEvSO_.num_vgpr, 0
	.set _ZN7rocprim17ROCPRIM_400000_NS6detail17trampoline_kernelINS0_14default_configENS1_38merge_sort_block_merge_config_selectorIjN6thrust23THRUST_200600_302600_NS5tupleIffNS6_9null_typeES8_S8_S8_S8_S8_S8_S8_EEEEZZNS1_27merge_sort_block_merge_implIS3_NS6_6detail15normal_iteratorINS6_10device_ptrIjEEEENSD_INSE_IS9_EEEEjNS1_19radix_merge_compareILb0ELb1EjNS0_19identity_decomposerEEEEE10hipError_tT0_T1_T2_jT3_P12ihipStream_tbPNSt15iterator_traitsISN_E10value_typeEPNST_ISO_E10value_typeEPSP_NS1_7vsmem_tEENKUlT_SN_SO_SP_E_clISG_PjSI_PS9_EESM_S12_SN_SO_SP_EUlS12_E0_NS1_11comp_targetILNS1_3genE2ELNS1_11target_archE906ELNS1_3gpuE6ELNS1_3repE0EEENS1_38merge_mergepath_config_static_selectorELNS0_4arch9wavefront6targetE0EEEvSO_.num_agpr, 0
	.set _ZN7rocprim17ROCPRIM_400000_NS6detail17trampoline_kernelINS0_14default_configENS1_38merge_sort_block_merge_config_selectorIjN6thrust23THRUST_200600_302600_NS5tupleIffNS6_9null_typeES8_S8_S8_S8_S8_S8_S8_EEEEZZNS1_27merge_sort_block_merge_implIS3_NS6_6detail15normal_iteratorINS6_10device_ptrIjEEEENSD_INSE_IS9_EEEEjNS1_19radix_merge_compareILb0ELb1EjNS0_19identity_decomposerEEEEE10hipError_tT0_T1_T2_jT3_P12ihipStream_tbPNSt15iterator_traitsISN_E10value_typeEPNST_ISO_E10value_typeEPSP_NS1_7vsmem_tEENKUlT_SN_SO_SP_E_clISG_PjSI_PS9_EESM_S12_SN_SO_SP_EUlS12_E0_NS1_11comp_targetILNS1_3genE2ELNS1_11target_archE906ELNS1_3gpuE6ELNS1_3repE0EEENS1_38merge_mergepath_config_static_selectorELNS0_4arch9wavefront6targetE0EEEvSO_.numbered_sgpr, 0
	.set _ZN7rocprim17ROCPRIM_400000_NS6detail17trampoline_kernelINS0_14default_configENS1_38merge_sort_block_merge_config_selectorIjN6thrust23THRUST_200600_302600_NS5tupleIffNS6_9null_typeES8_S8_S8_S8_S8_S8_S8_EEEEZZNS1_27merge_sort_block_merge_implIS3_NS6_6detail15normal_iteratorINS6_10device_ptrIjEEEENSD_INSE_IS9_EEEEjNS1_19radix_merge_compareILb0ELb1EjNS0_19identity_decomposerEEEEE10hipError_tT0_T1_T2_jT3_P12ihipStream_tbPNSt15iterator_traitsISN_E10value_typeEPNST_ISO_E10value_typeEPSP_NS1_7vsmem_tEENKUlT_SN_SO_SP_E_clISG_PjSI_PS9_EESM_S12_SN_SO_SP_EUlS12_E0_NS1_11comp_targetILNS1_3genE2ELNS1_11target_archE906ELNS1_3gpuE6ELNS1_3repE0EEENS1_38merge_mergepath_config_static_selectorELNS0_4arch9wavefront6targetE0EEEvSO_.num_named_barrier, 0
	.set _ZN7rocprim17ROCPRIM_400000_NS6detail17trampoline_kernelINS0_14default_configENS1_38merge_sort_block_merge_config_selectorIjN6thrust23THRUST_200600_302600_NS5tupleIffNS6_9null_typeES8_S8_S8_S8_S8_S8_S8_EEEEZZNS1_27merge_sort_block_merge_implIS3_NS6_6detail15normal_iteratorINS6_10device_ptrIjEEEENSD_INSE_IS9_EEEEjNS1_19radix_merge_compareILb0ELb1EjNS0_19identity_decomposerEEEEE10hipError_tT0_T1_T2_jT3_P12ihipStream_tbPNSt15iterator_traitsISN_E10value_typeEPNST_ISO_E10value_typeEPSP_NS1_7vsmem_tEENKUlT_SN_SO_SP_E_clISG_PjSI_PS9_EESM_S12_SN_SO_SP_EUlS12_E0_NS1_11comp_targetILNS1_3genE2ELNS1_11target_archE906ELNS1_3gpuE6ELNS1_3repE0EEENS1_38merge_mergepath_config_static_selectorELNS0_4arch9wavefront6targetE0EEEvSO_.private_seg_size, 0
	.set _ZN7rocprim17ROCPRIM_400000_NS6detail17trampoline_kernelINS0_14default_configENS1_38merge_sort_block_merge_config_selectorIjN6thrust23THRUST_200600_302600_NS5tupleIffNS6_9null_typeES8_S8_S8_S8_S8_S8_S8_EEEEZZNS1_27merge_sort_block_merge_implIS3_NS6_6detail15normal_iteratorINS6_10device_ptrIjEEEENSD_INSE_IS9_EEEEjNS1_19radix_merge_compareILb0ELb1EjNS0_19identity_decomposerEEEEE10hipError_tT0_T1_T2_jT3_P12ihipStream_tbPNSt15iterator_traitsISN_E10value_typeEPNST_ISO_E10value_typeEPSP_NS1_7vsmem_tEENKUlT_SN_SO_SP_E_clISG_PjSI_PS9_EESM_S12_SN_SO_SP_EUlS12_E0_NS1_11comp_targetILNS1_3genE2ELNS1_11target_archE906ELNS1_3gpuE6ELNS1_3repE0EEENS1_38merge_mergepath_config_static_selectorELNS0_4arch9wavefront6targetE0EEEvSO_.uses_vcc, 0
	.set _ZN7rocprim17ROCPRIM_400000_NS6detail17trampoline_kernelINS0_14default_configENS1_38merge_sort_block_merge_config_selectorIjN6thrust23THRUST_200600_302600_NS5tupleIffNS6_9null_typeES8_S8_S8_S8_S8_S8_S8_EEEEZZNS1_27merge_sort_block_merge_implIS3_NS6_6detail15normal_iteratorINS6_10device_ptrIjEEEENSD_INSE_IS9_EEEEjNS1_19radix_merge_compareILb0ELb1EjNS0_19identity_decomposerEEEEE10hipError_tT0_T1_T2_jT3_P12ihipStream_tbPNSt15iterator_traitsISN_E10value_typeEPNST_ISO_E10value_typeEPSP_NS1_7vsmem_tEENKUlT_SN_SO_SP_E_clISG_PjSI_PS9_EESM_S12_SN_SO_SP_EUlS12_E0_NS1_11comp_targetILNS1_3genE2ELNS1_11target_archE906ELNS1_3gpuE6ELNS1_3repE0EEENS1_38merge_mergepath_config_static_selectorELNS0_4arch9wavefront6targetE0EEEvSO_.uses_flat_scratch, 0
	.set _ZN7rocprim17ROCPRIM_400000_NS6detail17trampoline_kernelINS0_14default_configENS1_38merge_sort_block_merge_config_selectorIjN6thrust23THRUST_200600_302600_NS5tupleIffNS6_9null_typeES8_S8_S8_S8_S8_S8_S8_EEEEZZNS1_27merge_sort_block_merge_implIS3_NS6_6detail15normal_iteratorINS6_10device_ptrIjEEEENSD_INSE_IS9_EEEEjNS1_19radix_merge_compareILb0ELb1EjNS0_19identity_decomposerEEEEE10hipError_tT0_T1_T2_jT3_P12ihipStream_tbPNSt15iterator_traitsISN_E10value_typeEPNST_ISO_E10value_typeEPSP_NS1_7vsmem_tEENKUlT_SN_SO_SP_E_clISG_PjSI_PS9_EESM_S12_SN_SO_SP_EUlS12_E0_NS1_11comp_targetILNS1_3genE2ELNS1_11target_archE906ELNS1_3gpuE6ELNS1_3repE0EEENS1_38merge_mergepath_config_static_selectorELNS0_4arch9wavefront6targetE0EEEvSO_.has_dyn_sized_stack, 0
	.set _ZN7rocprim17ROCPRIM_400000_NS6detail17trampoline_kernelINS0_14default_configENS1_38merge_sort_block_merge_config_selectorIjN6thrust23THRUST_200600_302600_NS5tupleIffNS6_9null_typeES8_S8_S8_S8_S8_S8_S8_EEEEZZNS1_27merge_sort_block_merge_implIS3_NS6_6detail15normal_iteratorINS6_10device_ptrIjEEEENSD_INSE_IS9_EEEEjNS1_19radix_merge_compareILb0ELb1EjNS0_19identity_decomposerEEEEE10hipError_tT0_T1_T2_jT3_P12ihipStream_tbPNSt15iterator_traitsISN_E10value_typeEPNST_ISO_E10value_typeEPSP_NS1_7vsmem_tEENKUlT_SN_SO_SP_E_clISG_PjSI_PS9_EESM_S12_SN_SO_SP_EUlS12_E0_NS1_11comp_targetILNS1_3genE2ELNS1_11target_archE906ELNS1_3gpuE6ELNS1_3repE0EEENS1_38merge_mergepath_config_static_selectorELNS0_4arch9wavefront6targetE0EEEvSO_.has_recursion, 0
	.set _ZN7rocprim17ROCPRIM_400000_NS6detail17trampoline_kernelINS0_14default_configENS1_38merge_sort_block_merge_config_selectorIjN6thrust23THRUST_200600_302600_NS5tupleIffNS6_9null_typeES8_S8_S8_S8_S8_S8_S8_EEEEZZNS1_27merge_sort_block_merge_implIS3_NS6_6detail15normal_iteratorINS6_10device_ptrIjEEEENSD_INSE_IS9_EEEEjNS1_19radix_merge_compareILb0ELb1EjNS0_19identity_decomposerEEEEE10hipError_tT0_T1_T2_jT3_P12ihipStream_tbPNSt15iterator_traitsISN_E10value_typeEPNST_ISO_E10value_typeEPSP_NS1_7vsmem_tEENKUlT_SN_SO_SP_E_clISG_PjSI_PS9_EESM_S12_SN_SO_SP_EUlS12_E0_NS1_11comp_targetILNS1_3genE2ELNS1_11target_archE906ELNS1_3gpuE6ELNS1_3repE0EEENS1_38merge_mergepath_config_static_selectorELNS0_4arch9wavefront6targetE0EEEvSO_.has_indirect_call, 0
	.section	.AMDGPU.csdata,"",@progbits
; Kernel info:
; codeLenInByte = 0
; TotalNumSgprs: 0
; NumVgprs: 0
; ScratchSize: 0
; MemoryBound: 0
; FloatMode: 240
; IeeeMode: 1
; LDSByteSize: 0 bytes/workgroup (compile time only)
; SGPRBlocks: 0
; VGPRBlocks: 0
; NumSGPRsForWavesPerEU: 1
; NumVGPRsForWavesPerEU: 1
; Occupancy: 16
; WaveLimiterHint : 0
; COMPUTE_PGM_RSRC2:SCRATCH_EN: 0
; COMPUTE_PGM_RSRC2:USER_SGPR: 2
; COMPUTE_PGM_RSRC2:TRAP_HANDLER: 0
; COMPUTE_PGM_RSRC2:TGID_X_EN: 1
; COMPUTE_PGM_RSRC2:TGID_Y_EN: 0
; COMPUTE_PGM_RSRC2:TGID_Z_EN: 0
; COMPUTE_PGM_RSRC2:TIDIG_COMP_CNT: 0
	.section	.text._ZN7rocprim17ROCPRIM_400000_NS6detail17trampoline_kernelINS0_14default_configENS1_38merge_sort_block_merge_config_selectorIjN6thrust23THRUST_200600_302600_NS5tupleIffNS6_9null_typeES8_S8_S8_S8_S8_S8_S8_EEEEZZNS1_27merge_sort_block_merge_implIS3_NS6_6detail15normal_iteratorINS6_10device_ptrIjEEEENSD_INSE_IS9_EEEEjNS1_19radix_merge_compareILb0ELb1EjNS0_19identity_decomposerEEEEE10hipError_tT0_T1_T2_jT3_P12ihipStream_tbPNSt15iterator_traitsISN_E10value_typeEPNST_ISO_E10value_typeEPSP_NS1_7vsmem_tEENKUlT_SN_SO_SP_E_clISG_PjSI_PS9_EESM_S12_SN_SO_SP_EUlS12_E0_NS1_11comp_targetILNS1_3genE9ELNS1_11target_archE1100ELNS1_3gpuE3ELNS1_3repE0EEENS1_38merge_mergepath_config_static_selectorELNS0_4arch9wavefront6targetE0EEEvSO_,"axG",@progbits,_ZN7rocprim17ROCPRIM_400000_NS6detail17trampoline_kernelINS0_14default_configENS1_38merge_sort_block_merge_config_selectorIjN6thrust23THRUST_200600_302600_NS5tupleIffNS6_9null_typeES8_S8_S8_S8_S8_S8_S8_EEEEZZNS1_27merge_sort_block_merge_implIS3_NS6_6detail15normal_iteratorINS6_10device_ptrIjEEEENSD_INSE_IS9_EEEEjNS1_19radix_merge_compareILb0ELb1EjNS0_19identity_decomposerEEEEE10hipError_tT0_T1_T2_jT3_P12ihipStream_tbPNSt15iterator_traitsISN_E10value_typeEPNST_ISO_E10value_typeEPSP_NS1_7vsmem_tEENKUlT_SN_SO_SP_E_clISG_PjSI_PS9_EESM_S12_SN_SO_SP_EUlS12_E0_NS1_11comp_targetILNS1_3genE9ELNS1_11target_archE1100ELNS1_3gpuE3ELNS1_3repE0EEENS1_38merge_mergepath_config_static_selectorELNS0_4arch9wavefront6targetE0EEEvSO_,comdat
	.protected	_ZN7rocprim17ROCPRIM_400000_NS6detail17trampoline_kernelINS0_14default_configENS1_38merge_sort_block_merge_config_selectorIjN6thrust23THRUST_200600_302600_NS5tupleIffNS6_9null_typeES8_S8_S8_S8_S8_S8_S8_EEEEZZNS1_27merge_sort_block_merge_implIS3_NS6_6detail15normal_iteratorINS6_10device_ptrIjEEEENSD_INSE_IS9_EEEEjNS1_19radix_merge_compareILb0ELb1EjNS0_19identity_decomposerEEEEE10hipError_tT0_T1_T2_jT3_P12ihipStream_tbPNSt15iterator_traitsISN_E10value_typeEPNST_ISO_E10value_typeEPSP_NS1_7vsmem_tEENKUlT_SN_SO_SP_E_clISG_PjSI_PS9_EESM_S12_SN_SO_SP_EUlS12_E0_NS1_11comp_targetILNS1_3genE9ELNS1_11target_archE1100ELNS1_3gpuE3ELNS1_3repE0EEENS1_38merge_mergepath_config_static_selectorELNS0_4arch9wavefront6targetE0EEEvSO_ ; -- Begin function _ZN7rocprim17ROCPRIM_400000_NS6detail17trampoline_kernelINS0_14default_configENS1_38merge_sort_block_merge_config_selectorIjN6thrust23THRUST_200600_302600_NS5tupleIffNS6_9null_typeES8_S8_S8_S8_S8_S8_S8_EEEEZZNS1_27merge_sort_block_merge_implIS3_NS6_6detail15normal_iteratorINS6_10device_ptrIjEEEENSD_INSE_IS9_EEEEjNS1_19radix_merge_compareILb0ELb1EjNS0_19identity_decomposerEEEEE10hipError_tT0_T1_T2_jT3_P12ihipStream_tbPNSt15iterator_traitsISN_E10value_typeEPNST_ISO_E10value_typeEPSP_NS1_7vsmem_tEENKUlT_SN_SO_SP_E_clISG_PjSI_PS9_EESM_S12_SN_SO_SP_EUlS12_E0_NS1_11comp_targetILNS1_3genE9ELNS1_11target_archE1100ELNS1_3gpuE3ELNS1_3repE0EEENS1_38merge_mergepath_config_static_selectorELNS0_4arch9wavefront6targetE0EEEvSO_
	.globl	_ZN7rocprim17ROCPRIM_400000_NS6detail17trampoline_kernelINS0_14default_configENS1_38merge_sort_block_merge_config_selectorIjN6thrust23THRUST_200600_302600_NS5tupleIffNS6_9null_typeES8_S8_S8_S8_S8_S8_S8_EEEEZZNS1_27merge_sort_block_merge_implIS3_NS6_6detail15normal_iteratorINS6_10device_ptrIjEEEENSD_INSE_IS9_EEEEjNS1_19radix_merge_compareILb0ELb1EjNS0_19identity_decomposerEEEEE10hipError_tT0_T1_T2_jT3_P12ihipStream_tbPNSt15iterator_traitsISN_E10value_typeEPNST_ISO_E10value_typeEPSP_NS1_7vsmem_tEENKUlT_SN_SO_SP_E_clISG_PjSI_PS9_EESM_S12_SN_SO_SP_EUlS12_E0_NS1_11comp_targetILNS1_3genE9ELNS1_11target_archE1100ELNS1_3gpuE3ELNS1_3repE0EEENS1_38merge_mergepath_config_static_selectorELNS0_4arch9wavefront6targetE0EEEvSO_
	.p2align	8
	.type	_ZN7rocprim17ROCPRIM_400000_NS6detail17trampoline_kernelINS0_14default_configENS1_38merge_sort_block_merge_config_selectorIjN6thrust23THRUST_200600_302600_NS5tupleIffNS6_9null_typeES8_S8_S8_S8_S8_S8_S8_EEEEZZNS1_27merge_sort_block_merge_implIS3_NS6_6detail15normal_iteratorINS6_10device_ptrIjEEEENSD_INSE_IS9_EEEEjNS1_19radix_merge_compareILb0ELb1EjNS0_19identity_decomposerEEEEE10hipError_tT0_T1_T2_jT3_P12ihipStream_tbPNSt15iterator_traitsISN_E10value_typeEPNST_ISO_E10value_typeEPSP_NS1_7vsmem_tEENKUlT_SN_SO_SP_E_clISG_PjSI_PS9_EESM_S12_SN_SO_SP_EUlS12_E0_NS1_11comp_targetILNS1_3genE9ELNS1_11target_archE1100ELNS1_3gpuE3ELNS1_3repE0EEENS1_38merge_mergepath_config_static_selectorELNS0_4arch9wavefront6targetE0EEEvSO_,@function
_ZN7rocprim17ROCPRIM_400000_NS6detail17trampoline_kernelINS0_14default_configENS1_38merge_sort_block_merge_config_selectorIjN6thrust23THRUST_200600_302600_NS5tupleIffNS6_9null_typeES8_S8_S8_S8_S8_S8_S8_EEEEZZNS1_27merge_sort_block_merge_implIS3_NS6_6detail15normal_iteratorINS6_10device_ptrIjEEEENSD_INSE_IS9_EEEEjNS1_19radix_merge_compareILb0ELb1EjNS0_19identity_decomposerEEEEE10hipError_tT0_T1_T2_jT3_P12ihipStream_tbPNSt15iterator_traitsISN_E10value_typeEPNST_ISO_E10value_typeEPSP_NS1_7vsmem_tEENKUlT_SN_SO_SP_E_clISG_PjSI_PS9_EESM_S12_SN_SO_SP_EUlS12_E0_NS1_11comp_targetILNS1_3genE9ELNS1_11target_archE1100ELNS1_3gpuE3ELNS1_3repE0EEENS1_38merge_mergepath_config_static_selectorELNS0_4arch9wavefront6targetE0EEEvSO_: ; @_ZN7rocprim17ROCPRIM_400000_NS6detail17trampoline_kernelINS0_14default_configENS1_38merge_sort_block_merge_config_selectorIjN6thrust23THRUST_200600_302600_NS5tupleIffNS6_9null_typeES8_S8_S8_S8_S8_S8_S8_EEEEZZNS1_27merge_sort_block_merge_implIS3_NS6_6detail15normal_iteratorINS6_10device_ptrIjEEEENSD_INSE_IS9_EEEEjNS1_19radix_merge_compareILb0ELb1EjNS0_19identity_decomposerEEEEE10hipError_tT0_T1_T2_jT3_P12ihipStream_tbPNSt15iterator_traitsISN_E10value_typeEPNST_ISO_E10value_typeEPSP_NS1_7vsmem_tEENKUlT_SN_SO_SP_E_clISG_PjSI_PS9_EESM_S12_SN_SO_SP_EUlS12_E0_NS1_11comp_targetILNS1_3genE9ELNS1_11target_archE1100ELNS1_3gpuE3ELNS1_3repE0EEENS1_38merge_mergepath_config_static_selectorELNS0_4arch9wavefront6targetE0EEEvSO_
; %bb.0:
	.section	.rodata,"a",@progbits
	.p2align	6, 0x0
	.amdhsa_kernel _ZN7rocprim17ROCPRIM_400000_NS6detail17trampoline_kernelINS0_14default_configENS1_38merge_sort_block_merge_config_selectorIjN6thrust23THRUST_200600_302600_NS5tupleIffNS6_9null_typeES8_S8_S8_S8_S8_S8_S8_EEEEZZNS1_27merge_sort_block_merge_implIS3_NS6_6detail15normal_iteratorINS6_10device_ptrIjEEEENSD_INSE_IS9_EEEEjNS1_19radix_merge_compareILb0ELb1EjNS0_19identity_decomposerEEEEE10hipError_tT0_T1_T2_jT3_P12ihipStream_tbPNSt15iterator_traitsISN_E10value_typeEPNST_ISO_E10value_typeEPSP_NS1_7vsmem_tEENKUlT_SN_SO_SP_E_clISG_PjSI_PS9_EESM_S12_SN_SO_SP_EUlS12_E0_NS1_11comp_targetILNS1_3genE9ELNS1_11target_archE1100ELNS1_3gpuE3ELNS1_3repE0EEENS1_38merge_mergepath_config_static_selectorELNS0_4arch9wavefront6targetE0EEEvSO_
		.amdhsa_group_segment_fixed_size 0
		.amdhsa_private_segment_fixed_size 0
		.amdhsa_kernarg_size 64
		.amdhsa_user_sgpr_count 2
		.amdhsa_user_sgpr_dispatch_ptr 0
		.amdhsa_user_sgpr_queue_ptr 0
		.amdhsa_user_sgpr_kernarg_segment_ptr 1
		.amdhsa_user_sgpr_dispatch_id 0
		.amdhsa_user_sgpr_private_segment_size 0
		.amdhsa_wavefront_size32 1
		.amdhsa_uses_dynamic_stack 0
		.amdhsa_enable_private_segment 0
		.amdhsa_system_sgpr_workgroup_id_x 1
		.amdhsa_system_sgpr_workgroup_id_y 0
		.amdhsa_system_sgpr_workgroup_id_z 0
		.amdhsa_system_sgpr_workgroup_info 0
		.amdhsa_system_vgpr_workitem_id 0
		.amdhsa_next_free_vgpr 1
		.amdhsa_next_free_sgpr 1
		.amdhsa_reserve_vcc 0
		.amdhsa_float_round_mode_32 0
		.amdhsa_float_round_mode_16_64 0
		.amdhsa_float_denorm_mode_32 3
		.amdhsa_float_denorm_mode_16_64 3
		.amdhsa_fp16_overflow 0
		.amdhsa_workgroup_processor_mode 1
		.amdhsa_memory_ordered 1
		.amdhsa_forward_progress 1
		.amdhsa_inst_pref_size 0
		.amdhsa_round_robin_scheduling 0
		.amdhsa_exception_fp_ieee_invalid_op 0
		.amdhsa_exception_fp_denorm_src 0
		.amdhsa_exception_fp_ieee_div_zero 0
		.amdhsa_exception_fp_ieee_overflow 0
		.amdhsa_exception_fp_ieee_underflow 0
		.amdhsa_exception_fp_ieee_inexact 0
		.amdhsa_exception_int_div_zero 0
	.end_amdhsa_kernel
	.section	.text._ZN7rocprim17ROCPRIM_400000_NS6detail17trampoline_kernelINS0_14default_configENS1_38merge_sort_block_merge_config_selectorIjN6thrust23THRUST_200600_302600_NS5tupleIffNS6_9null_typeES8_S8_S8_S8_S8_S8_S8_EEEEZZNS1_27merge_sort_block_merge_implIS3_NS6_6detail15normal_iteratorINS6_10device_ptrIjEEEENSD_INSE_IS9_EEEEjNS1_19radix_merge_compareILb0ELb1EjNS0_19identity_decomposerEEEEE10hipError_tT0_T1_T2_jT3_P12ihipStream_tbPNSt15iterator_traitsISN_E10value_typeEPNST_ISO_E10value_typeEPSP_NS1_7vsmem_tEENKUlT_SN_SO_SP_E_clISG_PjSI_PS9_EESM_S12_SN_SO_SP_EUlS12_E0_NS1_11comp_targetILNS1_3genE9ELNS1_11target_archE1100ELNS1_3gpuE3ELNS1_3repE0EEENS1_38merge_mergepath_config_static_selectorELNS0_4arch9wavefront6targetE0EEEvSO_,"axG",@progbits,_ZN7rocprim17ROCPRIM_400000_NS6detail17trampoline_kernelINS0_14default_configENS1_38merge_sort_block_merge_config_selectorIjN6thrust23THRUST_200600_302600_NS5tupleIffNS6_9null_typeES8_S8_S8_S8_S8_S8_S8_EEEEZZNS1_27merge_sort_block_merge_implIS3_NS6_6detail15normal_iteratorINS6_10device_ptrIjEEEENSD_INSE_IS9_EEEEjNS1_19radix_merge_compareILb0ELb1EjNS0_19identity_decomposerEEEEE10hipError_tT0_T1_T2_jT3_P12ihipStream_tbPNSt15iterator_traitsISN_E10value_typeEPNST_ISO_E10value_typeEPSP_NS1_7vsmem_tEENKUlT_SN_SO_SP_E_clISG_PjSI_PS9_EESM_S12_SN_SO_SP_EUlS12_E0_NS1_11comp_targetILNS1_3genE9ELNS1_11target_archE1100ELNS1_3gpuE3ELNS1_3repE0EEENS1_38merge_mergepath_config_static_selectorELNS0_4arch9wavefront6targetE0EEEvSO_,comdat
.Lfunc_end129:
	.size	_ZN7rocprim17ROCPRIM_400000_NS6detail17trampoline_kernelINS0_14default_configENS1_38merge_sort_block_merge_config_selectorIjN6thrust23THRUST_200600_302600_NS5tupleIffNS6_9null_typeES8_S8_S8_S8_S8_S8_S8_EEEEZZNS1_27merge_sort_block_merge_implIS3_NS6_6detail15normal_iteratorINS6_10device_ptrIjEEEENSD_INSE_IS9_EEEEjNS1_19radix_merge_compareILb0ELb1EjNS0_19identity_decomposerEEEEE10hipError_tT0_T1_T2_jT3_P12ihipStream_tbPNSt15iterator_traitsISN_E10value_typeEPNST_ISO_E10value_typeEPSP_NS1_7vsmem_tEENKUlT_SN_SO_SP_E_clISG_PjSI_PS9_EESM_S12_SN_SO_SP_EUlS12_E0_NS1_11comp_targetILNS1_3genE9ELNS1_11target_archE1100ELNS1_3gpuE3ELNS1_3repE0EEENS1_38merge_mergepath_config_static_selectorELNS0_4arch9wavefront6targetE0EEEvSO_, .Lfunc_end129-_ZN7rocprim17ROCPRIM_400000_NS6detail17trampoline_kernelINS0_14default_configENS1_38merge_sort_block_merge_config_selectorIjN6thrust23THRUST_200600_302600_NS5tupleIffNS6_9null_typeES8_S8_S8_S8_S8_S8_S8_EEEEZZNS1_27merge_sort_block_merge_implIS3_NS6_6detail15normal_iteratorINS6_10device_ptrIjEEEENSD_INSE_IS9_EEEEjNS1_19radix_merge_compareILb0ELb1EjNS0_19identity_decomposerEEEEE10hipError_tT0_T1_T2_jT3_P12ihipStream_tbPNSt15iterator_traitsISN_E10value_typeEPNST_ISO_E10value_typeEPSP_NS1_7vsmem_tEENKUlT_SN_SO_SP_E_clISG_PjSI_PS9_EESM_S12_SN_SO_SP_EUlS12_E0_NS1_11comp_targetILNS1_3genE9ELNS1_11target_archE1100ELNS1_3gpuE3ELNS1_3repE0EEENS1_38merge_mergepath_config_static_selectorELNS0_4arch9wavefront6targetE0EEEvSO_
                                        ; -- End function
	.set _ZN7rocprim17ROCPRIM_400000_NS6detail17trampoline_kernelINS0_14default_configENS1_38merge_sort_block_merge_config_selectorIjN6thrust23THRUST_200600_302600_NS5tupleIffNS6_9null_typeES8_S8_S8_S8_S8_S8_S8_EEEEZZNS1_27merge_sort_block_merge_implIS3_NS6_6detail15normal_iteratorINS6_10device_ptrIjEEEENSD_INSE_IS9_EEEEjNS1_19radix_merge_compareILb0ELb1EjNS0_19identity_decomposerEEEEE10hipError_tT0_T1_T2_jT3_P12ihipStream_tbPNSt15iterator_traitsISN_E10value_typeEPNST_ISO_E10value_typeEPSP_NS1_7vsmem_tEENKUlT_SN_SO_SP_E_clISG_PjSI_PS9_EESM_S12_SN_SO_SP_EUlS12_E0_NS1_11comp_targetILNS1_3genE9ELNS1_11target_archE1100ELNS1_3gpuE3ELNS1_3repE0EEENS1_38merge_mergepath_config_static_selectorELNS0_4arch9wavefront6targetE0EEEvSO_.num_vgpr, 0
	.set _ZN7rocprim17ROCPRIM_400000_NS6detail17trampoline_kernelINS0_14default_configENS1_38merge_sort_block_merge_config_selectorIjN6thrust23THRUST_200600_302600_NS5tupleIffNS6_9null_typeES8_S8_S8_S8_S8_S8_S8_EEEEZZNS1_27merge_sort_block_merge_implIS3_NS6_6detail15normal_iteratorINS6_10device_ptrIjEEEENSD_INSE_IS9_EEEEjNS1_19radix_merge_compareILb0ELb1EjNS0_19identity_decomposerEEEEE10hipError_tT0_T1_T2_jT3_P12ihipStream_tbPNSt15iterator_traitsISN_E10value_typeEPNST_ISO_E10value_typeEPSP_NS1_7vsmem_tEENKUlT_SN_SO_SP_E_clISG_PjSI_PS9_EESM_S12_SN_SO_SP_EUlS12_E0_NS1_11comp_targetILNS1_3genE9ELNS1_11target_archE1100ELNS1_3gpuE3ELNS1_3repE0EEENS1_38merge_mergepath_config_static_selectorELNS0_4arch9wavefront6targetE0EEEvSO_.num_agpr, 0
	.set _ZN7rocprim17ROCPRIM_400000_NS6detail17trampoline_kernelINS0_14default_configENS1_38merge_sort_block_merge_config_selectorIjN6thrust23THRUST_200600_302600_NS5tupleIffNS6_9null_typeES8_S8_S8_S8_S8_S8_S8_EEEEZZNS1_27merge_sort_block_merge_implIS3_NS6_6detail15normal_iteratorINS6_10device_ptrIjEEEENSD_INSE_IS9_EEEEjNS1_19radix_merge_compareILb0ELb1EjNS0_19identity_decomposerEEEEE10hipError_tT0_T1_T2_jT3_P12ihipStream_tbPNSt15iterator_traitsISN_E10value_typeEPNST_ISO_E10value_typeEPSP_NS1_7vsmem_tEENKUlT_SN_SO_SP_E_clISG_PjSI_PS9_EESM_S12_SN_SO_SP_EUlS12_E0_NS1_11comp_targetILNS1_3genE9ELNS1_11target_archE1100ELNS1_3gpuE3ELNS1_3repE0EEENS1_38merge_mergepath_config_static_selectorELNS0_4arch9wavefront6targetE0EEEvSO_.numbered_sgpr, 0
	.set _ZN7rocprim17ROCPRIM_400000_NS6detail17trampoline_kernelINS0_14default_configENS1_38merge_sort_block_merge_config_selectorIjN6thrust23THRUST_200600_302600_NS5tupleIffNS6_9null_typeES8_S8_S8_S8_S8_S8_S8_EEEEZZNS1_27merge_sort_block_merge_implIS3_NS6_6detail15normal_iteratorINS6_10device_ptrIjEEEENSD_INSE_IS9_EEEEjNS1_19radix_merge_compareILb0ELb1EjNS0_19identity_decomposerEEEEE10hipError_tT0_T1_T2_jT3_P12ihipStream_tbPNSt15iterator_traitsISN_E10value_typeEPNST_ISO_E10value_typeEPSP_NS1_7vsmem_tEENKUlT_SN_SO_SP_E_clISG_PjSI_PS9_EESM_S12_SN_SO_SP_EUlS12_E0_NS1_11comp_targetILNS1_3genE9ELNS1_11target_archE1100ELNS1_3gpuE3ELNS1_3repE0EEENS1_38merge_mergepath_config_static_selectorELNS0_4arch9wavefront6targetE0EEEvSO_.num_named_barrier, 0
	.set _ZN7rocprim17ROCPRIM_400000_NS6detail17trampoline_kernelINS0_14default_configENS1_38merge_sort_block_merge_config_selectorIjN6thrust23THRUST_200600_302600_NS5tupleIffNS6_9null_typeES8_S8_S8_S8_S8_S8_S8_EEEEZZNS1_27merge_sort_block_merge_implIS3_NS6_6detail15normal_iteratorINS6_10device_ptrIjEEEENSD_INSE_IS9_EEEEjNS1_19radix_merge_compareILb0ELb1EjNS0_19identity_decomposerEEEEE10hipError_tT0_T1_T2_jT3_P12ihipStream_tbPNSt15iterator_traitsISN_E10value_typeEPNST_ISO_E10value_typeEPSP_NS1_7vsmem_tEENKUlT_SN_SO_SP_E_clISG_PjSI_PS9_EESM_S12_SN_SO_SP_EUlS12_E0_NS1_11comp_targetILNS1_3genE9ELNS1_11target_archE1100ELNS1_3gpuE3ELNS1_3repE0EEENS1_38merge_mergepath_config_static_selectorELNS0_4arch9wavefront6targetE0EEEvSO_.private_seg_size, 0
	.set _ZN7rocprim17ROCPRIM_400000_NS6detail17trampoline_kernelINS0_14default_configENS1_38merge_sort_block_merge_config_selectorIjN6thrust23THRUST_200600_302600_NS5tupleIffNS6_9null_typeES8_S8_S8_S8_S8_S8_S8_EEEEZZNS1_27merge_sort_block_merge_implIS3_NS6_6detail15normal_iteratorINS6_10device_ptrIjEEEENSD_INSE_IS9_EEEEjNS1_19radix_merge_compareILb0ELb1EjNS0_19identity_decomposerEEEEE10hipError_tT0_T1_T2_jT3_P12ihipStream_tbPNSt15iterator_traitsISN_E10value_typeEPNST_ISO_E10value_typeEPSP_NS1_7vsmem_tEENKUlT_SN_SO_SP_E_clISG_PjSI_PS9_EESM_S12_SN_SO_SP_EUlS12_E0_NS1_11comp_targetILNS1_3genE9ELNS1_11target_archE1100ELNS1_3gpuE3ELNS1_3repE0EEENS1_38merge_mergepath_config_static_selectorELNS0_4arch9wavefront6targetE0EEEvSO_.uses_vcc, 0
	.set _ZN7rocprim17ROCPRIM_400000_NS6detail17trampoline_kernelINS0_14default_configENS1_38merge_sort_block_merge_config_selectorIjN6thrust23THRUST_200600_302600_NS5tupleIffNS6_9null_typeES8_S8_S8_S8_S8_S8_S8_EEEEZZNS1_27merge_sort_block_merge_implIS3_NS6_6detail15normal_iteratorINS6_10device_ptrIjEEEENSD_INSE_IS9_EEEEjNS1_19radix_merge_compareILb0ELb1EjNS0_19identity_decomposerEEEEE10hipError_tT0_T1_T2_jT3_P12ihipStream_tbPNSt15iterator_traitsISN_E10value_typeEPNST_ISO_E10value_typeEPSP_NS1_7vsmem_tEENKUlT_SN_SO_SP_E_clISG_PjSI_PS9_EESM_S12_SN_SO_SP_EUlS12_E0_NS1_11comp_targetILNS1_3genE9ELNS1_11target_archE1100ELNS1_3gpuE3ELNS1_3repE0EEENS1_38merge_mergepath_config_static_selectorELNS0_4arch9wavefront6targetE0EEEvSO_.uses_flat_scratch, 0
	.set _ZN7rocprim17ROCPRIM_400000_NS6detail17trampoline_kernelINS0_14default_configENS1_38merge_sort_block_merge_config_selectorIjN6thrust23THRUST_200600_302600_NS5tupleIffNS6_9null_typeES8_S8_S8_S8_S8_S8_S8_EEEEZZNS1_27merge_sort_block_merge_implIS3_NS6_6detail15normal_iteratorINS6_10device_ptrIjEEEENSD_INSE_IS9_EEEEjNS1_19radix_merge_compareILb0ELb1EjNS0_19identity_decomposerEEEEE10hipError_tT0_T1_T2_jT3_P12ihipStream_tbPNSt15iterator_traitsISN_E10value_typeEPNST_ISO_E10value_typeEPSP_NS1_7vsmem_tEENKUlT_SN_SO_SP_E_clISG_PjSI_PS9_EESM_S12_SN_SO_SP_EUlS12_E0_NS1_11comp_targetILNS1_3genE9ELNS1_11target_archE1100ELNS1_3gpuE3ELNS1_3repE0EEENS1_38merge_mergepath_config_static_selectorELNS0_4arch9wavefront6targetE0EEEvSO_.has_dyn_sized_stack, 0
	.set _ZN7rocprim17ROCPRIM_400000_NS6detail17trampoline_kernelINS0_14default_configENS1_38merge_sort_block_merge_config_selectorIjN6thrust23THRUST_200600_302600_NS5tupleIffNS6_9null_typeES8_S8_S8_S8_S8_S8_S8_EEEEZZNS1_27merge_sort_block_merge_implIS3_NS6_6detail15normal_iteratorINS6_10device_ptrIjEEEENSD_INSE_IS9_EEEEjNS1_19radix_merge_compareILb0ELb1EjNS0_19identity_decomposerEEEEE10hipError_tT0_T1_T2_jT3_P12ihipStream_tbPNSt15iterator_traitsISN_E10value_typeEPNST_ISO_E10value_typeEPSP_NS1_7vsmem_tEENKUlT_SN_SO_SP_E_clISG_PjSI_PS9_EESM_S12_SN_SO_SP_EUlS12_E0_NS1_11comp_targetILNS1_3genE9ELNS1_11target_archE1100ELNS1_3gpuE3ELNS1_3repE0EEENS1_38merge_mergepath_config_static_selectorELNS0_4arch9wavefront6targetE0EEEvSO_.has_recursion, 0
	.set _ZN7rocprim17ROCPRIM_400000_NS6detail17trampoline_kernelINS0_14default_configENS1_38merge_sort_block_merge_config_selectorIjN6thrust23THRUST_200600_302600_NS5tupleIffNS6_9null_typeES8_S8_S8_S8_S8_S8_S8_EEEEZZNS1_27merge_sort_block_merge_implIS3_NS6_6detail15normal_iteratorINS6_10device_ptrIjEEEENSD_INSE_IS9_EEEEjNS1_19radix_merge_compareILb0ELb1EjNS0_19identity_decomposerEEEEE10hipError_tT0_T1_T2_jT3_P12ihipStream_tbPNSt15iterator_traitsISN_E10value_typeEPNST_ISO_E10value_typeEPSP_NS1_7vsmem_tEENKUlT_SN_SO_SP_E_clISG_PjSI_PS9_EESM_S12_SN_SO_SP_EUlS12_E0_NS1_11comp_targetILNS1_3genE9ELNS1_11target_archE1100ELNS1_3gpuE3ELNS1_3repE0EEENS1_38merge_mergepath_config_static_selectorELNS0_4arch9wavefront6targetE0EEEvSO_.has_indirect_call, 0
	.section	.AMDGPU.csdata,"",@progbits
; Kernel info:
; codeLenInByte = 0
; TotalNumSgprs: 0
; NumVgprs: 0
; ScratchSize: 0
; MemoryBound: 0
; FloatMode: 240
; IeeeMode: 1
; LDSByteSize: 0 bytes/workgroup (compile time only)
; SGPRBlocks: 0
; VGPRBlocks: 0
; NumSGPRsForWavesPerEU: 1
; NumVGPRsForWavesPerEU: 1
; Occupancy: 16
; WaveLimiterHint : 0
; COMPUTE_PGM_RSRC2:SCRATCH_EN: 0
; COMPUTE_PGM_RSRC2:USER_SGPR: 2
; COMPUTE_PGM_RSRC2:TRAP_HANDLER: 0
; COMPUTE_PGM_RSRC2:TGID_X_EN: 1
; COMPUTE_PGM_RSRC2:TGID_Y_EN: 0
; COMPUTE_PGM_RSRC2:TGID_Z_EN: 0
; COMPUTE_PGM_RSRC2:TIDIG_COMP_CNT: 0
	.section	.text._ZN7rocprim17ROCPRIM_400000_NS6detail17trampoline_kernelINS0_14default_configENS1_38merge_sort_block_merge_config_selectorIjN6thrust23THRUST_200600_302600_NS5tupleIffNS6_9null_typeES8_S8_S8_S8_S8_S8_S8_EEEEZZNS1_27merge_sort_block_merge_implIS3_NS6_6detail15normal_iteratorINS6_10device_ptrIjEEEENSD_INSE_IS9_EEEEjNS1_19radix_merge_compareILb0ELb1EjNS0_19identity_decomposerEEEEE10hipError_tT0_T1_T2_jT3_P12ihipStream_tbPNSt15iterator_traitsISN_E10value_typeEPNST_ISO_E10value_typeEPSP_NS1_7vsmem_tEENKUlT_SN_SO_SP_E_clISG_PjSI_PS9_EESM_S12_SN_SO_SP_EUlS12_E0_NS1_11comp_targetILNS1_3genE8ELNS1_11target_archE1030ELNS1_3gpuE2ELNS1_3repE0EEENS1_38merge_mergepath_config_static_selectorELNS0_4arch9wavefront6targetE0EEEvSO_,"axG",@progbits,_ZN7rocprim17ROCPRIM_400000_NS6detail17trampoline_kernelINS0_14default_configENS1_38merge_sort_block_merge_config_selectorIjN6thrust23THRUST_200600_302600_NS5tupleIffNS6_9null_typeES8_S8_S8_S8_S8_S8_S8_EEEEZZNS1_27merge_sort_block_merge_implIS3_NS6_6detail15normal_iteratorINS6_10device_ptrIjEEEENSD_INSE_IS9_EEEEjNS1_19radix_merge_compareILb0ELb1EjNS0_19identity_decomposerEEEEE10hipError_tT0_T1_T2_jT3_P12ihipStream_tbPNSt15iterator_traitsISN_E10value_typeEPNST_ISO_E10value_typeEPSP_NS1_7vsmem_tEENKUlT_SN_SO_SP_E_clISG_PjSI_PS9_EESM_S12_SN_SO_SP_EUlS12_E0_NS1_11comp_targetILNS1_3genE8ELNS1_11target_archE1030ELNS1_3gpuE2ELNS1_3repE0EEENS1_38merge_mergepath_config_static_selectorELNS0_4arch9wavefront6targetE0EEEvSO_,comdat
	.protected	_ZN7rocprim17ROCPRIM_400000_NS6detail17trampoline_kernelINS0_14default_configENS1_38merge_sort_block_merge_config_selectorIjN6thrust23THRUST_200600_302600_NS5tupleIffNS6_9null_typeES8_S8_S8_S8_S8_S8_S8_EEEEZZNS1_27merge_sort_block_merge_implIS3_NS6_6detail15normal_iteratorINS6_10device_ptrIjEEEENSD_INSE_IS9_EEEEjNS1_19radix_merge_compareILb0ELb1EjNS0_19identity_decomposerEEEEE10hipError_tT0_T1_T2_jT3_P12ihipStream_tbPNSt15iterator_traitsISN_E10value_typeEPNST_ISO_E10value_typeEPSP_NS1_7vsmem_tEENKUlT_SN_SO_SP_E_clISG_PjSI_PS9_EESM_S12_SN_SO_SP_EUlS12_E0_NS1_11comp_targetILNS1_3genE8ELNS1_11target_archE1030ELNS1_3gpuE2ELNS1_3repE0EEENS1_38merge_mergepath_config_static_selectorELNS0_4arch9wavefront6targetE0EEEvSO_ ; -- Begin function _ZN7rocprim17ROCPRIM_400000_NS6detail17trampoline_kernelINS0_14default_configENS1_38merge_sort_block_merge_config_selectorIjN6thrust23THRUST_200600_302600_NS5tupleIffNS6_9null_typeES8_S8_S8_S8_S8_S8_S8_EEEEZZNS1_27merge_sort_block_merge_implIS3_NS6_6detail15normal_iteratorINS6_10device_ptrIjEEEENSD_INSE_IS9_EEEEjNS1_19radix_merge_compareILb0ELb1EjNS0_19identity_decomposerEEEEE10hipError_tT0_T1_T2_jT3_P12ihipStream_tbPNSt15iterator_traitsISN_E10value_typeEPNST_ISO_E10value_typeEPSP_NS1_7vsmem_tEENKUlT_SN_SO_SP_E_clISG_PjSI_PS9_EESM_S12_SN_SO_SP_EUlS12_E0_NS1_11comp_targetILNS1_3genE8ELNS1_11target_archE1030ELNS1_3gpuE2ELNS1_3repE0EEENS1_38merge_mergepath_config_static_selectorELNS0_4arch9wavefront6targetE0EEEvSO_
	.globl	_ZN7rocprim17ROCPRIM_400000_NS6detail17trampoline_kernelINS0_14default_configENS1_38merge_sort_block_merge_config_selectorIjN6thrust23THRUST_200600_302600_NS5tupleIffNS6_9null_typeES8_S8_S8_S8_S8_S8_S8_EEEEZZNS1_27merge_sort_block_merge_implIS3_NS6_6detail15normal_iteratorINS6_10device_ptrIjEEEENSD_INSE_IS9_EEEEjNS1_19radix_merge_compareILb0ELb1EjNS0_19identity_decomposerEEEEE10hipError_tT0_T1_T2_jT3_P12ihipStream_tbPNSt15iterator_traitsISN_E10value_typeEPNST_ISO_E10value_typeEPSP_NS1_7vsmem_tEENKUlT_SN_SO_SP_E_clISG_PjSI_PS9_EESM_S12_SN_SO_SP_EUlS12_E0_NS1_11comp_targetILNS1_3genE8ELNS1_11target_archE1030ELNS1_3gpuE2ELNS1_3repE0EEENS1_38merge_mergepath_config_static_selectorELNS0_4arch9wavefront6targetE0EEEvSO_
	.p2align	8
	.type	_ZN7rocprim17ROCPRIM_400000_NS6detail17trampoline_kernelINS0_14default_configENS1_38merge_sort_block_merge_config_selectorIjN6thrust23THRUST_200600_302600_NS5tupleIffNS6_9null_typeES8_S8_S8_S8_S8_S8_S8_EEEEZZNS1_27merge_sort_block_merge_implIS3_NS6_6detail15normal_iteratorINS6_10device_ptrIjEEEENSD_INSE_IS9_EEEEjNS1_19radix_merge_compareILb0ELb1EjNS0_19identity_decomposerEEEEE10hipError_tT0_T1_T2_jT3_P12ihipStream_tbPNSt15iterator_traitsISN_E10value_typeEPNST_ISO_E10value_typeEPSP_NS1_7vsmem_tEENKUlT_SN_SO_SP_E_clISG_PjSI_PS9_EESM_S12_SN_SO_SP_EUlS12_E0_NS1_11comp_targetILNS1_3genE8ELNS1_11target_archE1030ELNS1_3gpuE2ELNS1_3repE0EEENS1_38merge_mergepath_config_static_selectorELNS0_4arch9wavefront6targetE0EEEvSO_,@function
_ZN7rocprim17ROCPRIM_400000_NS6detail17trampoline_kernelINS0_14default_configENS1_38merge_sort_block_merge_config_selectorIjN6thrust23THRUST_200600_302600_NS5tupleIffNS6_9null_typeES8_S8_S8_S8_S8_S8_S8_EEEEZZNS1_27merge_sort_block_merge_implIS3_NS6_6detail15normal_iteratorINS6_10device_ptrIjEEEENSD_INSE_IS9_EEEEjNS1_19radix_merge_compareILb0ELb1EjNS0_19identity_decomposerEEEEE10hipError_tT0_T1_T2_jT3_P12ihipStream_tbPNSt15iterator_traitsISN_E10value_typeEPNST_ISO_E10value_typeEPSP_NS1_7vsmem_tEENKUlT_SN_SO_SP_E_clISG_PjSI_PS9_EESM_S12_SN_SO_SP_EUlS12_E0_NS1_11comp_targetILNS1_3genE8ELNS1_11target_archE1030ELNS1_3gpuE2ELNS1_3repE0EEENS1_38merge_mergepath_config_static_selectorELNS0_4arch9wavefront6targetE0EEEvSO_: ; @_ZN7rocprim17ROCPRIM_400000_NS6detail17trampoline_kernelINS0_14default_configENS1_38merge_sort_block_merge_config_selectorIjN6thrust23THRUST_200600_302600_NS5tupleIffNS6_9null_typeES8_S8_S8_S8_S8_S8_S8_EEEEZZNS1_27merge_sort_block_merge_implIS3_NS6_6detail15normal_iteratorINS6_10device_ptrIjEEEENSD_INSE_IS9_EEEEjNS1_19radix_merge_compareILb0ELb1EjNS0_19identity_decomposerEEEEE10hipError_tT0_T1_T2_jT3_P12ihipStream_tbPNSt15iterator_traitsISN_E10value_typeEPNST_ISO_E10value_typeEPSP_NS1_7vsmem_tEENKUlT_SN_SO_SP_E_clISG_PjSI_PS9_EESM_S12_SN_SO_SP_EUlS12_E0_NS1_11comp_targetILNS1_3genE8ELNS1_11target_archE1030ELNS1_3gpuE2ELNS1_3repE0EEENS1_38merge_mergepath_config_static_selectorELNS0_4arch9wavefront6targetE0EEEvSO_
; %bb.0:
	.section	.rodata,"a",@progbits
	.p2align	6, 0x0
	.amdhsa_kernel _ZN7rocprim17ROCPRIM_400000_NS6detail17trampoline_kernelINS0_14default_configENS1_38merge_sort_block_merge_config_selectorIjN6thrust23THRUST_200600_302600_NS5tupleIffNS6_9null_typeES8_S8_S8_S8_S8_S8_S8_EEEEZZNS1_27merge_sort_block_merge_implIS3_NS6_6detail15normal_iteratorINS6_10device_ptrIjEEEENSD_INSE_IS9_EEEEjNS1_19radix_merge_compareILb0ELb1EjNS0_19identity_decomposerEEEEE10hipError_tT0_T1_T2_jT3_P12ihipStream_tbPNSt15iterator_traitsISN_E10value_typeEPNST_ISO_E10value_typeEPSP_NS1_7vsmem_tEENKUlT_SN_SO_SP_E_clISG_PjSI_PS9_EESM_S12_SN_SO_SP_EUlS12_E0_NS1_11comp_targetILNS1_3genE8ELNS1_11target_archE1030ELNS1_3gpuE2ELNS1_3repE0EEENS1_38merge_mergepath_config_static_selectorELNS0_4arch9wavefront6targetE0EEEvSO_
		.amdhsa_group_segment_fixed_size 0
		.amdhsa_private_segment_fixed_size 0
		.amdhsa_kernarg_size 64
		.amdhsa_user_sgpr_count 2
		.amdhsa_user_sgpr_dispatch_ptr 0
		.amdhsa_user_sgpr_queue_ptr 0
		.amdhsa_user_sgpr_kernarg_segment_ptr 1
		.amdhsa_user_sgpr_dispatch_id 0
		.amdhsa_user_sgpr_private_segment_size 0
		.amdhsa_wavefront_size32 1
		.amdhsa_uses_dynamic_stack 0
		.amdhsa_enable_private_segment 0
		.amdhsa_system_sgpr_workgroup_id_x 1
		.amdhsa_system_sgpr_workgroup_id_y 0
		.amdhsa_system_sgpr_workgroup_id_z 0
		.amdhsa_system_sgpr_workgroup_info 0
		.amdhsa_system_vgpr_workitem_id 0
		.amdhsa_next_free_vgpr 1
		.amdhsa_next_free_sgpr 1
		.amdhsa_reserve_vcc 0
		.amdhsa_float_round_mode_32 0
		.amdhsa_float_round_mode_16_64 0
		.amdhsa_float_denorm_mode_32 3
		.amdhsa_float_denorm_mode_16_64 3
		.amdhsa_fp16_overflow 0
		.amdhsa_workgroup_processor_mode 1
		.amdhsa_memory_ordered 1
		.amdhsa_forward_progress 1
		.amdhsa_inst_pref_size 0
		.amdhsa_round_robin_scheduling 0
		.amdhsa_exception_fp_ieee_invalid_op 0
		.amdhsa_exception_fp_denorm_src 0
		.amdhsa_exception_fp_ieee_div_zero 0
		.amdhsa_exception_fp_ieee_overflow 0
		.amdhsa_exception_fp_ieee_underflow 0
		.amdhsa_exception_fp_ieee_inexact 0
		.amdhsa_exception_int_div_zero 0
	.end_amdhsa_kernel
	.section	.text._ZN7rocprim17ROCPRIM_400000_NS6detail17trampoline_kernelINS0_14default_configENS1_38merge_sort_block_merge_config_selectorIjN6thrust23THRUST_200600_302600_NS5tupleIffNS6_9null_typeES8_S8_S8_S8_S8_S8_S8_EEEEZZNS1_27merge_sort_block_merge_implIS3_NS6_6detail15normal_iteratorINS6_10device_ptrIjEEEENSD_INSE_IS9_EEEEjNS1_19radix_merge_compareILb0ELb1EjNS0_19identity_decomposerEEEEE10hipError_tT0_T1_T2_jT3_P12ihipStream_tbPNSt15iterator_traitsISN_E10value_typeEPNST_ISO_E10value_typeEPSP_NS1_7vsmem_tEENKUlT_SN_SO_SP_E_clISG_PjSI_PS9_EESM_S12_SN_SO_SP_EUlS12_E0_NS1_11comp_targetILNS1_3genE8ELNS1_11target_archE1030ELNS1_3gpuE2ELNS1_3repE0EEENS1_38merge_mergepath_config_static_selectorELNS0_4arch9wavefront6targetE0EEEvSO_,"axG",@progbits,_ZN7rocprim17ROCPRIM_400000_NS6detail17trampoline_kernelINS0_14default_configENS1_38merge_sort_block_merge_config_selectorIjN6thrust23THRUST_200600_302600_NS5tupleIffNS6_9null_typeES8_S8_S8_S8_S8_S8_S8_EEEEZZNS1_27merge_sort_block_merge_implIS3_NS6_6detail15normal_iteratorINS6_10device_ptrIjEEEENSD_INSE_IS9_EEEEjNS1_19radix_merge_compareILb0ELb1EjNS0_19identity_decomposerEEEEE10hipError_tT0_T1_T2_jT3_P12ihipStream_tbPNSt15iterator_traitsISN_E10value_typeEPNST_ISO_E10value_typeEPSP_NS1_7vsmem_tEENKUlT_SN_SO_SP_E_clISG_PjSI_PS9_EESM_S12_SN_SO_SP_EUlS12_E0_NS1_11comp_targetILNS1_3genE8ELNS1_11target_archE1030ELNS1_3gpuE2ELNS1_3repE0EEENS1_38merge_mergepath_config_static_selectorELNS0_4arch9wavefront6targetE0EEEvSO_,comdat
.Lfunc_end130:
	.size	_ZN7rocprim17ROCPRIM_400000_NS6detail17trampoline_kernelINS0_14default_configENS1_38merge_sort_block_merge_config_selectorIjN6thrust23THRUST_200600_302600_NS5tupleIffNS6_9null_typeES8_S8_S8_S8_S8_S8_S8_EEEEZZNS1_27merge_sort_block_merge_implIS3_NS6_6detail15normal_iteratorINS6_10device_ptrIjEEEENSD_INSE_IS9_EEEEjNS1_19radix_merge_compareILb0ELb1EjNS0_19identity_decomposerEEEEE10hipError_tT0_T1_T2_jT3_P12ihipStream_tbPNSt15iterator_traitsISN_E10value_typeEPNST_ISO_E10value_typeEPSP_NS1_7vsmem_tEENKUlT_SN_SO_SP_E_clISG_PjSI_PS9_EESM_S12_SN_SO_SP_EUlS12_E0_NS1_11comp_targetILNS1_3genE8ELNS1_11target_archE1030ELNS1_3gpuE2ELNS1_3repE0EEENS1_38merge_mergepath_config_static_selectorELNS0_4arch9wavefront6targetE0EEEvSO_, .Lfunc_end130-_ZN7rocprim17ROCPRIM_400000_NS6detail17trampoline_kernelINS0_14default_configENS1_38merge_sort_block_merge_config_selectorIjN6thrust23THRUST_200600_302600_NS5tupleIffNS6_9null_typeES8_S8_S8_S8_S8_S8_S8_EEEEZZNS1_27merge_sort_block_merge_implIS3_NS6_6detail15normal_iteratorINS6_10device_ptrIjEEEENSD_INSE_IS9_EEEEjNS1_19radix_merge_compareILb0ELb1EjNS0_19identity_decomposerEEEEE10hipError_tT0_T1_T2_jT3_P12ihipStream_tbPNSt15iterator_traitsISN_E10value_typeEPNST_ISO_E10value_typeEPSP_NS1_7vsmem_tEENKUlT_SN_SO_SP_E_clISG_PjSI_PS9_EESM_S12_SN_SO_SP_EUlS12_E0_NS1_11comp_targetILNS1_3genE8ELNS1_11target_archE1030ELNS1_3gpuE2ELNS1_3repE0EEENS1_38merge_mergepath_config_static_selectorELNS0_4arch9wavefront6targetE0EEEvSO_
                                        ; -- End function
	.set _ZN7rocprim17ROCPRIM_400000_NS6detail17trampoline_kernelINS0_14default_configENS1_38merge_sort_block_merge_config_selectorIjN6thrust23THRUST_200600_302600_NS5tupleIffNS6_9null_typeES8_S8_S8_S8_S8_S8_S8_EEEEZZNS1_27merge_sort_block_merge_implIS3_NS6_6detail15normal_iteratorINS6_10device_ptrIjEEEENSD_INSE_IS9_EEEEjNS1_19radix_merge_compareILb0ELb1EjNS0_19identity_decomposerEEEEE10hipError_tT0_T1_T2_jT3_P12ihipStream_tbPNSt15iterator_traitsISN_E10value_typeEPNST_ISO_E10value_typeEPSP_NS1_7vsmem_tEENKUlT_SN_SO_SP_E_clISG_PjSI_PS9_EESM_S12_SN_SO_SP_EUlS12_E0_NS1_11comp_targetILNS1_3genE8ELNS1_11target_archE1030ELNS1_3gpuE2ELNS1_3repE0EEENS1_38merge_mergepath_config_static_selectorELNS0_4arch9wavefront6targetE0EEEvSO_.num_vgpr, 0
	.set _ZN7rocprim17ROCPRIM_400000_NS6detail17trampoline_kernelINS0_14default_configENS1_38merge_sort_block_merge_config_selectorIjN6thrust23THRUST_200600_302600_NS5tupleIffNS6_9null_typeES8_S8_S8_S8_S8_S8_S8_EEEEZZNS1_27merge_sort_block_merge_implIS3_NS6_6detail15normal_iteratorINS6_10device_ptrIjEEEENSD_INSE_IS9_EEEEjNS1_19radix_merge_compareILb0ELb1EjNS0_19identity_decomposerEEEEE10hipError_tT0_T1_T2_jT3_P12ihipStream_tbPNSt15iterator_traitsISN_E10value_typeEPNST_ISO_E10value_typeEPSP_NS1_7vsmem_tEENKUlT_SN_SO_SP_E_clISG_PjSI_PS9_EESM_S12_SN_SO_SP_EUlS12_E0_NS1_11comp_targetILNS1_3genE8ELNS1_11target_archE1030ELNS1_3gpuE2ELNS1_3repE0EEENS1_38merge_mergepath_config_static_selectorELNS0_4arch9wavefront6targetE0EEEvSO_.num_agpr, 0
	.set _ZN7rocprim17ROCPRIM_400000_NS6detail17trampoline_kernelINS0_14default_configENS1_38merge_sort_block_merge_config_selectorIjN6thrust23THRUST_200600_302600_NS5tupleIffNS6_9null_typeES8_S8_S8_S8_S8_S8_S8_EEEEZZNS1_27merge_sort_block_merge_implIS3_NS6_6detail15normal_iteratorINS6_10device_ptrIjEEEENSD_INSE_IS9_EEEEjNS1_19radix_merge_compareILb0ELb1EjNS0_19identity_decomposerEEEEE10hipError_tT0_T1_T2_jT3_P12ihipStream_tbPNSt15iterator_traitsISN_E10value_typeEPNST_ISO_E10value_typeEPSP_NS1_7vsmem_tEENKUlT_SN_SO_SP_E_clISG_PjSI_PS9_EESM_S12_SN_SO_SP_EUlS12_E0_NS1_11comp_targetILNS1_3genE8ELNS1_11target_archE1030ELNS1_3gpuE2ELNS1_3repE0EEENS1_38merge_mergepath_config_static_selectorELNS0_4arch9wavefront6targetE0EEEvSO_.numbered_sgpr, 0
	.set _ZN7rocprim17ROCPRIM_400000_NS6detail17trampoline_kernelINS0_14default_configENS1_38merge_sort_block_merge_config_selectorIjN6thrust23THRUST_200600_302600_NS5tupleIffNS6_9null_typeES8_S8_S8_S8_S8_S8_S8_EEEEZZNS1_27merge_sort_block_merge_implIS3_NS6_6detail15normal_iteratorINS6_10device_ptrIjEEEENSD_INSE_IS9_EEEEjNS1_19radix_merge_compareILb0ELb1EjNS0_19identity_decomposerEEEEE10hipError_tT0_T1_T2_jT3_P12ihipStream_tbPNSt15iterator_traitsISN_E10value_typeEPNST_ISO_E10value_typeEPSP_NS1_7vsmem_tEENKUlT_SN_SO_SP_E_clISG_PjSI_PS9_EESM_S12_SN_SO_SP_EUlS12_E0_NS1_11comp_targetILNS1_3genE8ELNS1_11target_archE1030ELNS1_3gpuE2ELNS1_3repE0EEENS1_38merge_mergepath_config_static_selectorELNS0_4arch9wavefront6targetE0EEEvSO_.num_named_barrier, 0
	.set _ZN7rocprim17ROCPRIM_400000_NS6detail17trampoline_kernelINS0_14default_configENS1_38merge_sort_block_merge_config_selectorIjN6thrust23THRUST_200600_302600_NS5tupleIffNS6_9null_typeES8_S8_S8_S8_S8_S8_S8_EEEEZZNS1_27merge_sort_block_merge_implIS3_NS6_6detail15normal_iteratorINS6_10device_ptrIjEEEENSD_INSE_IS9_EEEEjNS1_19radix_merge_compareILb0ELb1EjNS0_19identity_decomposerEEEEE10hipError_tT0_T1_T2_jT3_P12ihipStream_tbPNSt15iterator_traitsISN_E10value_typeEPNST_ISO_E10value_typeEPSP_NS1_7vsmem_tEENKUlT_SN_SO_SP_E_clISG_PjSI_PS9_EESM_S12_SN_SO_SP_EUlS12_E0_NS1_11comp_targetILNS1_3genE8ELNS1_11target_archE1030ELNS1_3gpuE2ELNS1_3repE0EEENS1_38merge_mergepath_config_static_selectorELNS0_4arch9wavefront6targetE0EEEvSO_.private_seg_size, 0
	.set _ZN7rocprim17ROCPRIM_400000_NS6detail17trampoline_kernelINS0_14default_configENS1_38merge_sort_block_merge_config_selectorIjN6thrust23THRUST_200600_302600_NS5tupleIffNS6_9null_typeES8_S8_S8_S8_S8_S8_S8_EEEEZZNS1_27merge_sort_block_merge_implIS3_NS6_6detail15normal_iteratorINS6_10device_ptrIjEEEENSD_INSE_IS9_EEEEjNS1_19radix_merge_compareILb0ELb1EjNS0_19identity_decomposerEEEEE10hipError_tT0_T1_T2_jT3_P12ihipStream_tbPNSt15iterator_traitsISN_E10value_typeEPNST_ISO_E10value_typeEPSP_NS1_7vsmem_tEENKUlT_SN_SO_SP_E_clISG_PjSI_PS9_EESM_S12_SN_SO_SP_EUlS12_E0_NS1_11comp_targetILNS1_3genE8ELNS1_11target_archE1030ELNS1_3gpuE2ELNS1_3repE0EEENS1_38merge_mergepath_config_static_selectorELNS0_4arch9wavefront6targetE0EEEvSO_.uses_vcc, 0
	.set _ZN7rocprim17ROCPRIM_400000_NS6detail17trampoline_kernelINS0_14default_configENS1_38merge_sort_block_merge_config_selectorIjN6thrust23THRUST_200600_302600_NS5tupleIffNS6_9null_typeES8_S8_S8_S8_S8_S8_S8_EEEEZZNS1_27merge_sort_block_merge_implIS3_NS6_6detail15normal_iteratorINS6_10device_ptrIjEEEENSD_INSE_IS9_EEEEjNS1_19radix_merge_compareILb0ELb1EjNS0_19identity_decomposerEEEEE10hipError_tT0_T1_T2_jT3_P12ihipStream_tbPNSt15iterator_traitsISN_E10value_typeEPNST_ISO_E10value_typeEPSP_NS1_7vsmem_tEENKUlT_SN_SO_SP_E_clISG_PjSI_PS9_EESM_S12_SN_SO_SP_EUlS12_E0_NS1_11comp_targetILNS1_3genE8ELNS1_11target_archE1030ELNS1_3gpuE2ELNS1_3repE0EEENS1_38merge_mergepath_config_static_selectorELNS0_4arch9wavefront6targetE0EEEvSO_.uses_flat_scratch, 0
	.set _ZN7rocprim17ROCPRIM_400000_NS6detail17trampoline_kernelINS0_14default_configENS1_38merge_sort_block_merge_config_selectorIjN6thrust23THRUST_200600_302600_NS5tupleIffNS6_9null_typeES8_S8_S8_S8_S8_S8_S8_EEEEZZNS1_27merge_sort_block_merge_implIS3_NS6_6detail15normal_iteratorINS6_10device_ptrIjEEEENSD_INSE_IS9_EEEEjNS1_19radix_merge_compareILb0ELb1EjNS0_19identity_decomposerEEEEE10hipError_tT0_T1_T2_jT3_P12ihipStream_tbPNSt15iterator_traitsISN_E10value_typeEPNST_ISO_E10value_typeEPSP_NS1_7vsmem_tEENKUlT_SN_SO_SP_E_clISG_PjSI_PS9_EESM_S12_SN_SO_SP_EUlS12_E0_NS1_11comp_targetILNS1_3genE8ELNS1_11target_archE1030ELNS1_3gpuE2ELNS1_3repE0EEENS1_38merge_mergepath_config_static_selectorELNS0_4arch9wavefront6targetE0EEEvSO_.has_dyn_sized_stack, 0
	.set _ZN7rocprim17ROCPRIM_400000_NS6detail17trampoline_kernelINS0_14default_configENS1_38merge_sort_block_merge_config_selectorIjN6thrust23THRUST_200600_302600_NS5tupleIffNS6_9null_typeES8_S8_S8_S8_S8_S8_S8_EEEEZZNS1_27merge_sort_block_merge_implIS3_NS6_6detail15normal_iteratorINS6_10device_ptrIjEEEENSD_INSE_IS9_EEEEjNS1_19radix_merge_compareILb0ELb1EjNS0_19identity_decomposerEEEEE10hipError_tT0_T1_T2_jT3_P12ihipStream_tbPNSt15iterator_traitsISN_E10value_typeEPNST_ISO_E10value_typeEPSP_NS1_7vsmem_tEENKUlT_SN_SO_SP_E_clISG_PjSI_PS9_EESM_S12_SN_SO_SP_EUlS12_E0_NS1_11comp_targetILNS1_3genE8ELNS1_11target_archE1030ELNS1_3gpuE2ELNS1_3repE0EEENS1_38merge_mergepath_config_static_selectorELNS0_4arch9wavefront6targetE0EEEvSO_.has_recursion, 0
	.set _ZN7rocprim17ROCPRIM_400000_NS6detail17trampoline_kernelINS0_14default_configENS1_38merge_sort_block_merge_config_selectorIjN6thrust23THRUST_200600_302600_NS5tupleIffNS6_9null_typeES8_S8_S8_S8_S8_S8_S8_EEEEZZNS1_27merge_sort_block_merge_implIS3_NS6_6detail15normal_iteratorINS6_10device_ptrIjEEEENSD_INSE_IS9_EEEEjNS1_19radix_merge_compareILb0ELb1EjNS0_19identity_decomposerEEEEE10hipError_tT0_T1_T2_jT3_P12ihipStream_tbPNSt15iterator_traitsISN_E10value_typeEPNST_ISO_E10value_typeEPSP_NS1_7vsmem_tEENKUlT_SN_SO_SP_E_clISG_PjSI_PS9_EESM_S12_SN_SO_SP_EUlS12_E0_NS1_11comp_targetILNS1_3genE8ELNS1_11target_archE1030ELNS1_3gpuE2ELNS1_3repE0EEENS1_38merge_mergepath_config_static_selectorELNS0_4arch9wavefront6targetE0EEEvSO_.has_indirect_call, 0
	.section	.AMDGPU.csdata,"",@progbits
; Kernel info:
; codeLenInByte = 0
; TotalNumSgprs: 0
; NumVgprs: 0
; ScratchSize: 0
; MemoryBound: 0
; FloatMode: 240
; IeeeMode: 1
; LDSByteSize: 0 bytes/workgroup (compile time only)
; SGPRBlocks: 0
; VGPRBlocks: 0
; NumSGPRsForWavesPerEU: 1
; NumVGPRsForWavesPerEU: 1
; Occupancy: 16
; WaveLimiterHint : 0
; COMPUTE_PGM_RSRC2:SCRATCH_EN: 0
; COMPUTE_PGM_RSRC2:USER_SGPR: 2
; COMPUTE_PGM_RSRC2:TRAP_HANDLER: 0
; COMPUTE_PGM_RSRC2:TGID_X_EN: 1
; COMPUTE_PGM_RSRC2:TGID_Y_EN: 0
; COMPUTE_PGM_RSRC2:TGID_Z_EN: 0
; COMPUTE_PGM_RSRC2:TIDIG_COMP_CNT: 0
	.section	.text._ZN7rocprim17ROCPRIM_400000_NS6detail17trampoline_kernelINS0_14default_configENS1_38merge_sort_block_merge_config_selectorIjN6thrust23THRUST_200600_302600_NS5tupleIffNS6_9null_typeES8_S8_S8_S8_S8_S8_S8_EEEEZZNS1_27merge_sort_block_merge_implIS3_NS6_6detail15normal_iteratorINS6_10device_ptrIjEEEENSD_INSE_IS9_EEEEjNS1_19radix_merge_compareILb0ELb1EjNS0_19identity_decomposerEEEEE10hipError_tT0_T1_T2_jT3_P12ihipStream_tbPNSt15iterator_traitsISN_E10value_typeEPNST_ISO_E10value_typeEPSP_NS1_7vsmem_tEENKUlT_SN_SO_SP_E_clISG_PjSI_PS9_EESM_S12_SN_SO_SP_EUlS12_E1_NS1_11comp_targetILNS1_3genE0ELNS1_11target_archE4294967295ELNS1_3gpuE0ELNS1_3repE0EEENS1_36merge_oddeven_config_static_selectorELNS0_4arch9wavefront6targetE0EEEvSO_,"axG",@progbits,_ZN7rocprim17ROCPRIM_400000_NS6detail17trampoline_kernelINS0_14default_configENS1_38merge_sort_block_merge_config_selectorIjN6thrust23THRUST_200600_302600_NS5tupleIffNS6_9null_typeES8_S8_S8_S8_S8_S8_S8_EEEEZZNS1_27merge_sort_block_merge_implIS3_NS6_6detail15normal_iteratorINS6_10device_ptrIjEEEENSD_INSE_IS9_EEEEjNS1_19radix_merge_compareILb0ELb1EjNS0_19identity_decomposerEEEEE10hipError_tT0_T1_T2_jT3_P12ihipStream_tbPNSt15iterator_traitsISN_E10value_typeEPNST_ISO_E10value_typeEPSP_NS1_7vsmem_tEENKUlT_SN_SO_SP_E_clISG_PjSI_PS9_EESM_S12_SN_SO_SP_EUlS12_E1_NS1_11comp_targetILNS1_3genE0ELNS1_11target_archE4294967295ELNS1_3gpuE0ELNS1_3repE0EEENS1_36merge_oddeven_config_static_selectorELNS0_4arch9wavefront6targetE0EEEvSO_,comdat
	.protected	_ZN7rocprim17ROCPRIM_400000_NS6detail17trampoline_kernelINS0_14default_configENS1_38merge_sort_block_merge_config_selectorIjN6thrust23THRUST_200600_302600_NS5tupleIffNS6_9null_typeES8_S8_S8_S8_S8_S8_S8_EEEEZZNS1_27merge_sort_block_merge_implIS3_NS6_6detail15normal_iteratorINS6_10device_ptrIjEEEENSD_INSE_IS9_EEEEjNS1_19radix_merge_compareILb0ELb1EjNS0_19identity_decomposerEEEEE10hipError_tT0_T1_T2_jT3_P12ihipStream_tbPNSt15iterator_traitsISN_E10value_typeEPNST_ISO_E10value_typeEPSP_NS1_7vsmem_tEENKUlT_SN_SO_SP_E_clISG_PjSI_PS9_EESM_S12_SN_SO_SP_EUlS12_E1_NS1_11comp_targetILNS1_3genE0ELNS1_11target_archE4294967295ELNS1_3gpuE0ELNS1_3repE0EEENS1_36merge_oddeven_config_static_selectorELNS0_4arch9wavefront6targetE0EEEvSO_ ; -- Begin function _ZN7rocprim17ROCPRIM_400000_NS6detail17trampoline_kernelINS0_14default_configENS1_38merge_sort_block_merge_config_selectorIjN6thrust23THRUST_200600_302600_NS5tupleIffNS6_9null_typeES8_S8_S8_S8_S8_S8_S8_EEEEZZNS1_27merge_sort_block_merge_implIS3_NS6_6detail15normal_iteratorINS6_10device_ptrIjEEEENSD_INSE_IS9_EEEEjNS1_19radix_merge_compareILb0ELb1EjNS0_19identity_decomposerEEEEE10hipError_tT0_T1_T2_jT3_P12ihipStream_tbPNSt15iterator_traitsISN_E10value_typeEPNST_ISO_E10value_typeEPSP_NS1_7vsmem_tEENKUlT_SN_SO_SP_E_clISG_PjSI_PS9_EESM_S12_SN_SO_SP_EUlS12_E1_NS1_11comp_targetILNS1_3genE0ELNS1_11target_archE4294967295ELNS1_3gpuE0ELNS1_3repE0EEENS1_36merge_oddeven_config_static_selectorELNS0_4arch9wavefront6targetE0EEEvSO_
	.globl	_ZN7rocprim17ROCPRIM_400000_NS6detail17trampoline_kernelINS0_14default_configENS1_38merge_sort_block_merge_config_selectorIjN6thrust23THRUST_200600_302600_NS5tupleIffNS6_9null_typeES8_S8_S8_S8_S8_S8_S8_EEEEZZNS1_27merge_sort_block_merge_implIS3_NS6_6detail15normal_iteratorINS6_10device_ptrIjEEEENSD_INSE_IS9_EEEEjNS1_19radix_merge_compareILb0ELb1EjNS0_19identity_decomposerEEEEE10hipError_tT0_T1_T2_jT3_P12ihipStream_tbPNSt15iterator_traitsISN_E10value_typeEPNST_ISO_E10value_typeEPSP_NS1_7vsmem_tEENKUlT_SN_SO_SP_E_clISG_PjSI_PS9_EESM_S12_SN_SO_SP_EUlS12_E1_NS1_11comp_targetILNS1_3genE0ELNS1_11target_archE4294967295ELNS1_3gpuE0ELNS1_3repE0EEENS1_36merge_oddeven_config_static_selectorELNS0_4arch9wavefront6targetE0EEEvSO_
	.p2align	8
	.type	_ZN7rocprim17ROCPRIM_400000_NS6detail17trampoline_kernelINS0_14default_configENS1_38merge_sort_block_merge_config_selectorIjN6thrust23THRUST_200600_302600_NS5tupleIffNS6_9null_typeES8_S8_S8_S8_S8_S8_S8_EEEEZZNS1_27merge_sort_block_merge_implIS3_NS6_6detail15normal_iteratorINS6_10device_ptrIjEEEENSD_INSE_IS9_EEEEjNS1_19radix_merge_compareILb0ELb1EjNS0_19identity_decomposerEEEEE10hipError_tT0_T1_T2_jT3_P12ihipStream_tbPNSt15iterator_traitsISN_E10value_typeEPNST_ISO_E10value_typeEPSP_NS1_7vsmem_tEENKUlT_SN_SO_SP_E_clISG_PjSI_PS9_EESM_S12_SN_SO_SP_EUlS12_E1_NS1_11comp_targetILNS1_3genE0ELNS1_11target_archE4294967295ELNS1_3gpuE0ELNS1_3repE0EEENS1_36merge_oddeven_config_static_selectorELNS0_4arch9wavefront6targetE0EEEvSO_,@function
_ZN7rocprim17ROCPRIM_400000_NS6detail17trampoline_kernelINS0_14default_configENS1_38merge_sort_block_merge_config_selectorIjN6thrust23THRUST_200600_302600_NS5tupleIffNS6_9null_typeES8_S8_S8_S8_S8_S8_S8_EEEEZZNS1_27merge_sort_block_merge_implIS3_NS6_6detail15normal_iteratorINS6_10device_ptrIjEEEENSD_INSE_IS9_EEEEjNS1_19radix_merge_compareILb0ELb1EjNS0_19identity_decomposerEEEEE10hipError_tT0_T1_T2_jT3_P12ihipStream_tbPNSt15iterator_traitsISN_E10value_typeEPNST_ISO_E10value_typeEPSP_NS1_7vsmem_tEENKUlT_SN_SO_SP_E_clISG_PjSI_PS9_EESM_S12_SN_SO_SP_EUlS12_E1_NS1_11comp_targetILNS1_3genE0ELNS1_11target_archE4294967295ELNS1_3gpuE0ELNS1_3repE0EEENS1_36merge_oddeven_config_static_selectorELNS0_4arch9wavefront6targetE0EEEvSO_: ; @_ZN7rocprim17ROCPRIM_400000_NS6detail17trampoline_kernelINS0_14default_configENS1_38merge_sort_block_merge_config_selectorIjN6thrust23THRUST_200600_302600_NS5tupleIffNS6_9null_typeES8_S8_S8_S8_S8_S8_S8_EEEEZZNS1_27merge_sort_block_merge_implIS3_NS6_6detail15normal_iteratorINS6_10device_ptrIjEEEENSD_INSE_IS9_EEEEjNS1_19radix_merge_compareILb0ELb1EjNS0_19identity_decomposerEEEEE10hipError_tT0_T1_T2_jT3_P12ihipStream_tbPNSt15iterator_traitsISN_E10value_typeEPNST_ISO_E10value_typeEPSP_NS1_7vsmem_tEENKUlT_SN_SO_SP_E_clISG_PjSI_PS9_EESM_S12_SN_SO_SP_EUlS12_E1_NS1_11comp_targetILNS1_3genE0ELNS1_11target_archE4294967295ELNS1_3gpuE0ELNS1_3repE0EEENS1_36merge_oddeven_config_static_selectorELNS0_4arch9wavefront6targetE0EEEvSO_
; %bb.0:
	.section	.rodata,"a",@progbits
	.p2align	6, 0x0
	.amdhsa_kernel _ZN7rocprim17ROCPRIM_400000_NS6detail17trampoline_kernelINS0_14default_configENS1_38merge_sort_block_merge_config_selectorIjN6thrust23THRUST_200600_302600_NS5tupleIffNS6_9null_typeES8_S8_S8_S8_S8_S8_S8_EEEEZZNS1_27merge_sort_block_merge_implIS3_NS6_6detail15normal_iteratorINS6_10device_ptrIjEEEENSD_INSE_IS9_EEEEjNS1_19radix_merge_compareILb0ELb1EjNS0_19identity_decomposerEEEEE10hipError_tT0_T1_T2_jT3_P12ihipStream_tbPNSt15iterator_traitsISN_E10value_typeEPNST_ISO_E10value_typeEPSP_NS1_7vsmem_tEENKUlT_SN_SO_SP_E_clISG_PjSI_PS9_EESM_S12_SN_SO_SP_EUlS12_E1_NS1_11comp_targetILNS1_3genE0ELNS1_11target_archE4294967295ELNS1_3gpuE0ELNS1_3repE0EEENS1_36merge_oddeven_config_static_selectorELNS0_4arch9wavefront6targetE0EEEvSO_
		.amdhsa_group_segment_fixed_size 0
		.amdhsa_private_segment_fixed_size 0
		.amdhsa_kernarg_size 48
		.amdhsa_user_sgpr_count 2
		.amdhsa_user_sgpr_dispatch_ptr 0
		.amdhsa_user_sgpr_queue_ptr 0
		.amdhsa_user_sgpr_kernarg_segment_ptr 1
		.amdhsa_user_sgpr_dispatch_id 0
		.amdhsa_user_sgpr_private_segment_size 0
		.amdhsa_wavefront_size32 1
		.amdhsa_uses_dynamic_stack 0
		.amdhsa_enable_private_segment 0
		.amdhsa_system_sgpr_workgroup_id_x 1
		.amdhsa_system_sgpr_workgroup_id_y 0
		.amdhsa_system_sgpr_workgroup_id_z 0
		.amdhsa_system_sgpr_workgroup_info 0
		.amdhsa_system_vgpr_workitem_id 0
		.amdhsa_next_free_vgpr 1
		.amdhsa_next_free_sgpr 1
		.amdhsa_reserve_vcc 0
		.amdhsa_float_round_mode_32 0
		.amdhsa_float_round_mode_16_64 0
		.amdhsa_float_denorm_mode_32 3
		.amdhsa_float_denorm_mode_16_64 3
		.amdhsa_fp16_overflow 0
		.amdhsa_workgroup_processor_mode 1
		.amdhsa_memory_ordered 1
		.amdhsa_forward_progress 1
		.amdhsa_inst_pref_size 0
		.amdhsa_round_robin_scheduling 0
		.amdhsa_exception_fp_ieee_invalid_op 0
		.amdhsa_exception_fp_denorm_src 0
		.amdhsa_exception_fp_ieee_div_zero 0
		.amdhsa_exception_fp_ieee_overflow 0
		.amdhsa_exception_fp_ieee_underflow 0
		.amdhsa_exception_fp_ieee_inexact 0
		.amdhsa_exception_int_div_zero 0
	.end_amdhsa_kernel
	.section	.text._ZN7rocprim17ROCPRIM_400000_NS6detail17trampoline_kernelINS0_14default_configENS1_38merge_sort_block_merge_config_selectorIjN6thrust23THRUST_200600_302600_NS5tupleIffNS6_9null_typeES8_S8_S8_S8_S8_S8_S8_EEEEZZNS1_27merge_sort_block_merge_implIS3_NS6_6detail15normal_iteratorINS6_10device_ptrIjEEEENSD_INSE_IS9_EEEEjNS1_19radix_merge_compareILb0ELb1EjNS0_19identity_decomposerEEEEE10hipError_tT0_T1_T2_jT3_P12ihipStream_tbPNSt15iterator_traitsISN_E10value_typeEPNST_ISO_E10value_typeEPSP_NS1_7vsmem_tEENKUlT_SN_SO_SP_E_clISG_PjSI_PS9_EESM_S12_SN_SO_SP_EUlS12_E1_NS1_11comp_targetILNS1_3genE0ELNS1_11target_archE4294967295ELNS1_3gpuE0ELNS1_3repE0EEENS1_36merge_oddeven_config_static_selectorELNS0_4arch9wavefront6targetE0EEEvSO_,"axG",@progbits,_ZN7rocprim17ROCPRIM_400000_NS6detail17trampoline_kernelINS0_14default_configENS1_38merge_sort_block_merge_config_selectorIjN6thrust23THRUST_200600_302600_NS5tupleIffNS6_9null_typeES8_S8_S8_S8_S8_S8_S8_EEEEZZNS1_27merge_sort_block_merge_implIS3_NS6_6detail15normal_iteratorINS6_10device_ptrIjEEEENSD_INSE_IS9_EEEEjNS1_19radix_merge_compareILb0ELb1EjNS0_19identity_decomposerEEEEE10hipError_tT0_T1_T2_jT3_P12ihipStream_tbPNSt15iterator_traitsISN_E10value_typeEPNST_ISO_E10value_typeEPSP_NS1_7vsmem_tEENKUlT_SN_SO_SP_E_clISG_PjSI_PS9_EESM_S12_SN_SO_SP_EUlS12_E1_NS1_11comp_targetILNS1_3genE0ELNS1_11target_archE4294967295ELNS1_3gpuE0ELNS1_3repE0EEENS1_36merge_oddeven_config_static_selectorELNS0_4arch9wavefront6targetE0EEEvSO_,comdat
.Lfunc_end131:
	.size	_ZN7rocprim17ROCPRIM_400000_NS6detail17trampoline_kernelINS0_14default_configENS1_38merge_sort_block_merge_config_selectorIjN6thrust23THRUST_200600_302600_NS5tupleIffNS6_9null_typeES8_S8_S8_S8_S8_S8_S8_EEEEZZNS1_27merge_sort_block_merge_implIS3_NS6_6detail15normal_iteratorINS6_10device_ptrIjEEEENSD_INSE_IS9_EEEEjNS1_19radix_merge_compareILb0ELb1EjNS0_19identity_decomposerEEEEE10hipError_tT0_T1_T2_jT3_P12ihipStream_tbPNSt15iterator_traitsISN_E10value_typeEPNST_ISO_E10value_typeEPSP_NS1_7vsmem_tEENKUlT_SN_SO_SP_E_clISG_PjSI_PS9_EESM_S12_SN_SO_SP_EUlS12_E1_NS1_11comp_targetILNS1_3genE0ELNS1_11target_archE4294967295ELNS1_3gpuE0ELNS1_3repE0EEENS1_36merge_oddeven_config_static_selectorELNS0_4arch9wavefront6targetE0EEEvSO_, .Lfunc_end131-_ZN7rocprim17ROCPRIM_400000_NS6detail17trampoline_kernelINS0_14default_configENS1_38merge_sort_block_merge_config_selectorIjN6thrust23THRUST_200600_302600_NS5tupleIffNS6_9null_typeES8_S8_S8_S8_S8_S8_S8_EEEEZZNS1_27merge_sort_block_merge_implIS3_NS6_6detail15normal_iteratorINS6_10device_ptrIjEEEENSD_INSE_IS9_EEEEjNS1_19radix_merge_compareILb0ELb1EjNS0_19identity_decomposerEEEEE10hipError_tT0_T1_T2_jT3_P12ihipStream_tbPNSt15iterator_traitsISN_E10value_typeEPNST_ISO_E10value_typeEPSP_NS1_7vsmem_tEENKUlT_SN_SO_SP_E_clISG_PjSI_PS9_EESM_S12_SN_SO_SP_EUlS12_E1_NS1_11comp_targetILNS1_3genE0ELNS1_11target_archE4294967295ELNS1_3gpuE0ELNS1_3repE0EEENS1_36merge_oddeven_config_static_selectorELNS0_4arch9wavefront6targetE0EEEvSO_
                                        ; -- End function
	.set _ZN7rocprim17ROCPRIM_400000_NS6detail17trampoline_kernelINS0_14default_configENS1_38merge_sort_block_merge_config_selectorIjN6thrust23THRUST_200600_302600_NS5tupleIffNS6_9null_typeES8_S8_S8_S8_S8_S8_S8_EEEEZZNS1_27merge_sort_block_merge_implIS3_NS6_6detail15normal_iteratorINS6_10device_ptrIjEEEENSD_INSE_IS9_EEEEjNS1_19radix_merge_compareILb0ELb1EjNS0_19identity_decomposerEEEEE10hipError_tT0_T1_T2_jT3_P12ihipStream_tbPNSt15iterator_traitsISN_E10value_typeEPNST_ISO_E10value_typeEPSP_NS1_7vsmem_tEENKUlT_SN_SO_SP_E_clISG_PjSI_PS9_EESM_S12_SN_SO_SP_EUlS12_E1_NS1_11comp_targetILNS1_3genE0ELNS1_11target_archE4294967295ELNS1_3gpuE0ELNS1_3repE0EEENS1_36merge_oddeven_config_static_selectorELNS0_4arch9wavefront6targetE0EEEvSO_.num_vgpr, 0
	.set _ZN7rocprim17ROCPRIM_400000_NS6detail17trampoline_kernelINS0_14default_configENS1_38merge_sort_block_merge_config_selectorIjN6thrust23THRUST_200600_302600_NS5tupleIffNS6_9null_typeES8_S8_S8_S8_S8_S8_S8_EEEEZZNS1_27merge_sort_block_merge_implIS3_NS6_6detail15normal_iteratorINS6_10device_ptrIjEEEENSD_INSE_IS9_EEEEjNS1_19radix_merge_compareILb0ELb1EjNS0_19identity_decomposerEEEEE10hipError_tT0_T1_T2_jT3_P12ihipStream_tbPNSt15iterator_traitsISN_E10value_typeEPNST_ISO_E10value_typeEPSP_NS1_7vsmem_tEENKUlT_SN_SO_SP_E_clISG_PjSI_PS9_EESM_S12_SN_SO_SP_EUlS12_E1_NS1_11comp_targetILNS1_3genE0ELNS1_11target_archE4294967295ELNS1_3gpuE0ELNS1_3repE0EEENS1_36merge_oddeven_config_static_selectorELNS0_4arch9wavefront6targetE0EEEvSO_.num_agpr, 0
	.set _ZN7rocprim17ROCPRIM_400000_NS6detail17trampoline_kernelINS0_14default_configENS1_38merge_sort_block_merge_config_selectorIjN6thrust23THRUST_200600_302600_NS5tupleIffNS6_9null_typeES8_S8_S8_S8_S8_S8_S8_EEEEZZNS1_27merge_sort_block_merge_implIS3_NS6_6detail15normal_iteratorINS6_10device_ptrIjEEEENSD_INSE_IS9_EEEEjNS1_19radix_merge_compareILb0ELb1EjNS0_19identity_decomposerEEEEE10hipError_tT0_T1_T2_jT3_P12ihipStream_tbPNSt15iterator_traitsISN_E10value_typeEPNST_ISO_E10value_typeEPSP_NS1_7vsmem_tEENKUlT_SN_SO_SP_E_clISG_PjSI_PS9_EESM_S12_SN_SO_SP_EUlS12_E1_NS1_11comp_targetILNS1_3genE0ELNS1_11target_archE4294967295ELNS1_3gpuE0ELNS1_3repE0EEENS1_36merge_oddeven_config_static_selectorELNS0_4arch9wavefront6targetE0EEEvSO_.numbered_sgpr, 0
	.set _ZN7rocprim17ROCPRIM_400000_NS6detail17trampoline_kernelINS0_14default_configENS1_38merge_sort_block_merge_config_selectorIjN6thrust23THRUST_200600_302600_NS5tupleIffNS6_9null_typeES8_S8_S8_S8_S8_S8_S8_EEEEZZNS1_27merge_sort_block_merge_implIS3_NS6_6detail15normal_iteratorINS6_10device_ptrIjEEEENSD_INSE_IS9_EEEEjNS1_19radix_merge_compareILb0ELb1EjNS0_19identity_decomposerEEEEE10hipError_tT0_T1_T2_jT3_P12ihipStream_tbPNSt15iterator_traitsISN_E10value_typeEPNST_ISO_E10value_typeEPSP_NS1_7vsmem_tEENKUlT_SN_SO_SP_E_clISG_PjSI_PS9_EESM_S12_SN_SO_SP_EUlS12_E1_NS1_11comp_targetILNS1_3genE0ELNS1_11target_archE4294967295ELNS1_3gpuE0ELNS1_3repE0EEENS1_36merge_oddeven_config_static_selectorELNS0_4arch9wavefront6targetE0EEEvSO_.num_named_barrier, 0
	.set _ZN7rocprim17ROCPRIM_400000_NS6detail17trampoline_kernelINS0_14default_configENS1_38merge_sort_block_merge_config_selectorIjN6thrust23THRUST_200600_302600_NS5tupleIffNS6_9null_typeES8_S8_S8_S8_S8_S8_S8_EEEEZZNS1_27merge_sort_block_merge_implIS3_NS6_6detail15normal_iteratorINS6_10device_ptrIjEEEENSD_INSE_IS9_EEEEjNS1_19radix_merge_compareILb0ELb1EjNS0_19identity_decomposerEEEEE10hipError_tT0_T1_T2_jT3_P12ihipStream_tbPNSt15iterator_traitsISN_E10value_typeEPNST_ISO_E10value_typeEPSP_NS1_7vsmem_tEENKUlT_SN_SO_SP_E_clISG_PjSI_PS9_EESM_S12_SN_SO_SP_EUlS12_E1_NS1_11comp_targetILNS1_3genE0ELNS1_11target_archE4294967295ELNS1_3gpuE0ELNS1_3repE0EEENS1_36merge_oddeven_config_static_selectorELNS0_4arch9wavefront6targetE0EEEvSO_.private_seg_size, 0
	.set _ZN7rocprim17ROCPRIM_400000_NS6detail17trampoline_kernelINS0_14default_configENS1_38merge_sort_block_merge_config_selectorIjN6thrust23THRUST_200600_302600_NS5tupleIffNS6_9null_typeES8_S8_S8_S8_S8_S8_S8_EEEEZZNS1_27merge_sort_block_merge_implIS3_NS6_6detail15normal_iteratorINS6_10device_ptrIjEEEENSD_INSE_IS9_EEEEjNS1_19radix_merge_compareILb0ELb1EjNS0_19identity_decomposerEEEEE10hipError_tT0_T1_T2_jT3_P12ihipStream_tbPNSt15iterator_traitsISN_E10value_typeEPNST_ISO_E10value_typeEPSP_NS1_7vsmem_tEENKUlT_SN_SO_SP_E_clISG_PjSI_PS9_EESM_S12_SN_SO_SP_EUlS12_E1_NS1_11comp_targetILNS1_3genE0ELNS1_11target_archE4294967295ELNS1_3gpuE0ELNS1_3repE0EEENS1_36merge_oddeven_config_static_selectorELNS0_4arch9wavefront6targetE0EEEvSO_.uses_vcc, 0
	.set _ZN7rocprim17ROCPRIM_400000_NS6detail17trampoline_kernelINS0_14default_configENS1_38merge_sort_block_merge_config_selectorIjN6thrust23THRUST_200600_302600_NS5tupleIffNS6_9null_typeES8_S8_S8_S8_S8_S8_S8_EEEEZZNS1_27merge_sort_block_merge_implIS3_NS6_6detail15normal_iteratorINS6_10device_ptrIjEEEENSD_INSE_IS9_EEEEjNS1_19radix_merge_compareILb0ELb1EjNS0_19identity_decomposerEEEEE10hipError_tT0_T1_T2_jT3_P12ihipStream_tbPNSt15iterator_traitsISN_E10value_typeEPNST_ISO_E10value_typeEPSP_NS1_7vsmem_tEENKUlT_SN_SO_SP_E_clISG_PjSI_PS9_EESM_S12_SN_SO_SP_EUlS12_E1_NS1_11comp_targetILNS1_3genE0ELNS1_11target_archE4294967295ELNS1_3gpuE0ELNS1_3repE0EEENS1_36merge_oddeven_config_static_selectorELNS0_4arch9wavefront6targetE0EEEvSO_.uses_flat_scratch, 0
	.set _ZN7rocprim17ROCPRIM_400000_NS6detail17trampoline_kernelINS0_14default_configENS1_38merge_sort_block_merge_config_selectorIjN6thrust23THRUST_200600_302600_NS5tupleIffNS6_9null_typeES8_S8_S8_S8_S8_S8_S8_EEEEZZNS1_27merge_sort_block_merge_implIS3_NS6_6detail15normal_iteratorINS6_10device_ptrIjEEEENSD_INSE_IS9_EEEEjNS1_19radix_merge_compareILb0ELb1EjNS0_19identity_decomposerEEEEE10hipError_tT0_T1_T2_jT3_P12ihipStream_tbPNSt15iterator_traitsISN_E10value_typeEPNST_ISO_E10value_typeEPSP_NS1_7vsmem_tEENKUlT_SN_SO_SP_E_clISG_PjSI_PS9_EESM_S12_SN_SO_SP_EUlS12_E1_NS1_11comp_targetILNS1_3genE0ELNS1_11target_archE4294967295ELNS1_3gpuE0ELNS1_3repE0EEENS1_36merge_oddeven_config_static_selectorELNS0_4arch9wavefront6targetE0EEEvSO_.has_dyn_sized_stack, 0
	.set _ZN7rocprim17ROCPRIM_400000_NS6detail17trampoline_kernelINS0_14default_configENS1_38merge_sort_block_merge_config_selectorIjN6thrust23THRUST_200600_302600_NS5tupleIffNS6_9null_typeES8_S8_S8_S8_S8_S8_S8_EEEEZZNS1_27merge_sort_block_merge_implIS3_NS6_6detail15normal_iteratorINS6_10device_ptrIjEEEENSD_INSE_IS9_EEEEjNS1_19radix_merge_compareILb0ELb1EjNS0_19identity_decomposerEEEEE10hipError_tT0_T1_T2_jT3_P12ihipStream_tbPNSt15iterator_traitsISN_E10value_typeEPNST_ISO_E10value_typeEPSP_NS1_7vsmem_tEENKUlT_SN_SO_SP_E_clISG_PjSI_PS9_EESM_S12_SN_SO_SP_EUlS12_E1_NS1_11comp_targetILNS1_3genE0ELNS1_11target_archE4294967295ELNS1_3gpuE0ELNS1_3repE0EEENS1_36merge_oddeven_config_static_selectorELNS0_4arch9wavefront6targetE0EEEvSO_.has_recursion, 0
	.set _ZN7rocprim17ROCPRIM_400000_NS6detail17trampoline_kernelINS0_14default_configENS1_38merge_sort_block_merge_config_selectorIjN6thrust23THRUST_200600_302600_NS5tupleIffNS6_9null_typeES8_S8_S8_S8_S8_S8_S8_EEEEZZNS1_27merge_sort_block_merge_implIS3_NS6_6detail15normal_iteratorINS6_10device_ptrIjEEEENSD_INSE_IS9_EEEEjNS1_19radix_merge_compareILb0ELb1EjNS0_19identity_decomposerEEEEE10hipError_tT0_T1_T2_jT3_P12ihipStream_tbPNSt15iterator_traitsISN_E10value_typeEPNST_ISO_E10value_typeEPSP_NS1_7vsmem_tEENKUlT_SN_SO_SP_E_clISG_PjSI_PS9_EESM_S12_SN_SO_SP_EUlS12_E1_NS1_11comp_targetILNS1_3genE0ELNS1_11target_archE4294967295ELNS1_3gpuE0ELNS1_3repE0EEENS1_36merge_oddeven_config_static_selectorELNS0_4arch9wavefront6targetE0EEEvSO_.has_indirect_call, 0
	.section	.AMDGPU.csdata,"",@progbits
; Kernel info:
; codeLenInByte = 0
; TotalNumSgprs: 0
; NumVgprs: 0
; ScratchSize: 0
; MemoryBound: 0
; FloatMode: 240
; IeeeMode: 1
; LDSByteSize: 0 bytes/workgroup (compile time only)
; SGPRBlocks: 0
; VGPRBlocks: 0
; NumSGPRsForWavesPerEU: 1
; NumVGPRsForWavesPerEU: 1
; Occupancy: 16
; WaveLimiterHint : 0
; COMPUTE_PGM_RSRC2:SCRATCH_EN: 0
; COMPUTE_PGM_RSRC2:USER_SGPR: 2
; COMPUTE_PGM_RSRC2:TRAP_HANDLER: 0
; COMPUTE_PGM_RSRC2:TGID_X_EN: 1
; COMPUTE_PGM_RSRC2:TGID_Y_EN: 0
; COMPUTE_PGM_RSRC2:TGID_Z_EN: 0
; COMPUTE_PGM_RSRC2:TIDIG_COMP_CNT: 0
	.section	.text._ZN7rocprim17ROCPRIM_400000_NS6detail17trampoline_kernelINS0_14default_configENS1_38merge_sort_block_merge_config_selectorIjN6thrust23THRUST_200600_302600_NS5tupleIffNS6_9null_typeES8_S8_S8_S8_S8_S8_S8_EEEEZZNS1_27merge_sort_block_merge_implIS3_NS6_6detail15normal_iteratorINS6_10device_ptrIjEEEENSD_INSE_IS9_EEEEjNS1_19radix_merge_compareILb0ELb1EjNS0_19identity_decomposerEEEEE10hipError_tT0_T1_T2_jT3_P12ihipStream_tbPNSt15iterator_traitsISN_E10value_typeEPNST_ISO_E10value_typeEPSP_NS1_7vsmem_tEENKUlT_SN_SO_SP_E_clISG_PjSI_PS9_EESM_S12_SN_SO_SP_EUlS12_E1_NS1_11comp_targetILNS1_3genE10ELNS1_11target_archE1201ELNS1_3gpuE5ELNS1_3repE0EEENS1_36merge_oddeven_config_static_selectorELNS0_4arch9wavefront6targetE0EEEvSO_,"axG",@progbits,_ZN7rocprim17ROCPRIM_400000_NS6detail17trampoline_kernelINS0_14default_configENS1_38merge_sort_block_merge_config_selectorIjN6thrust23THRUST_200600_302600_NS5tupleIffNS6_9null_typeES8_S8_S8_S8_S8_S8_S8_EEEEZZNS1_27merge_sort_block_merge_implIS3_NS6_6detail15normal_iteratorINS6_10device_ptrIjEEEENSD_INSE_IS9_EEEEjNS1_19radix_merge_compareILb0ELb1EjNS0_19identity_decomposerEEEEE10hipError_tT0_T1_T2_jT3_P12ihipStream_tbPNSt15iterator_traitsISN_E10value_typeEPNST_ISO_E10value_typeEPSP_NS1_7vsmem_tEENKUlT_SN_SO_SP_E_clISG_PjSI_PS9_EESM_S12_SN_SO_SP_EUlS12_E1_NS1_11comp_targetILNS1_3genE10ELNS1_11target_archE1201ELNS1_3gpuE5ELNS1_3repE0EEENS1_36merge_oddeven_config_static_selectorELNS0_4arch9wavefront6targetE0EEEvSO_,comdat
	.protected	_ZN7rocprim17ROCPRIM_400000_NS6detail17trampoline_kernelINS0_14default_configENS1_38merge_sort_block_merge_config_selectorIjN6thrust23THRUST_200600_302600_NS5tupleIffNS6_9null_typeES8_S8_S8_S8_S8_S8_S8_EEEEZZNS1_27merge_sort_block_merge_implIS3_NS6_6detail15normal_iteratorINS6_10device_ptrIjEEEENSD_INSE_IS9_EEEEjNS1_19radix_merge_compareILb0ELb1EjNS0_19identity_decomposerEEEEE10hipError_tT0_T1_T2_jT3_P12ihipStream_tbPNSt15iterator_traitsISN_E10value_typeEPNST_ISO_E10value_typeEPSP_NS1_7vsmem_tEENKUlT_SN_SO_SP_E_clISG_PjSI_PS9_EESM_S12_SN_SO_SP_EUlS12_E1_NS1_11comp_targetILNS1_3genE10ELNS1_11target_archE1201ELNS1_3gpuE5ELNS1_3repE0EEENS1_36merge_oddeven_config_static_selectorELNS0_4arch9wavefront6targetE0EEEvSO_ ; -- Begin function _ZN7rocprim17ROCPRIM_400000_NS6detail17trampoline_kernelINS0_14default_configENS1_38merge_sort_block_merge_config_selectorIjN6thrust23THRUST_200600_302600_NS5tupleIffNS6_9null_typeES8_S8_S8_S8_S8_S8_S8_EEEEZZNS1_27merge_sort_block_merge_implIS3_NS6_6detail15normal_iteratorINS6_10device_ptrIjEEEENSD_INSE_IS9_EEEEjNS1_19radix_merge_compareILb0ELb1EjNS0_19identity_decomposerEEEEE10hipError_tT0_T1_T2_jT3_P12ihipStream_tbPNSt15iterator_traitsISN_E10value_typeEPNST_ISO_E10value_typeEPSP_NS1_7vsmem_tEENKUlT_SN_SO_SP_E_clISG_PjSI_PS9_EESM_S12_SN_SO_SP_EUlS12_E1_NS1_11comp_targetILNS1_3genE10ELNS1_11target_archE1201ELNS1_3gpuE5ELNS1_3repE0EEENS1_36merge_oddeven_config_static_selectorELNS0_4arch9wavefront6targetE0EEEvSO_
	.globl	_ZN7rocprim17ROCPRIM_400000_NS6detail17trampoline_kernelINS0_14default_configENS1_38merge_sort_block_merge_config_selectorIjN6thrust23THRUST_200600_302600_NS5tupleIffNS6_9null_typeES8_S8_S8_S8_S8_S8_S8_EEEEZZNS1_27merge_sort_block_merge_implIS3_NS6_6detail15normal_iteratorINS6_10device_ptrIjEEEENSD_INSE_IS9_EEEEjNS1_19radix_merge_compareILb0ELb1EjNS0_19identity_decomposerEEEEE10hipError_tT0_T1_T2_jT3_P12ihipStream_tbPNSt15iterator_traitsISN_E10value_typeEPNST_ISO_E10value_typeEPSP_NS1_7vsmem_tEENKUlT_SN_SO_SP_E_clISG_PjSI_PS9_EESM_S12_SN_SO_SP_EUlS12_E1_NS1_11comp_targetILNS1_3genE10ELNS1_11target_archE1201ELNS1_3gpuE5ELNS1_3repE0EEENS1_36merge_oddeven_config_static_selectorELNS0_4arch9wavefront6targetE0EEEvSO_
	.p2align	8
	.type	_ZN7rocprim17ROCPRIM_400000_NS6detail17trampoline_kernelINS0_14default_configENS1_38merge_sort_block_merge_config_selectorIjN6thrust23THRUST_200600_302600_NS5tupleIffNS6_9null_typeES8_S8_S8_S8_S8_S8_S8_EEEEZZNS1_27merge_sort_block_merge_implIS3_NS6_6detail15normal_iteratorINS6_10device_ptrIjEEEENSD_INSE_IS9_EEEEjNS1_19radix_merge_compareILb0ELb1EjNS0_19identity_decomposerEEEEE10hipError_tT0_T1_T2_jT3_P12ihipStream_tbPNSt15iterator_traitsISN_E10value_typeEPNST_ISO_E10value_typeEPSP_NS1_7vsmem_tEENKUlT_SN_SO_SP_E_clISG_PjSI_PS9_EESM_S12_SN_SO_SP_EUlS12_E1_NS1_11comp_targetILNS1_3genE10ELNS1_11target_archE1201ELNS1_3gpuE5ELNS1_3repE0EEENS1_36merge_oddeven_config_static_selectorELNS0_4arch9wavefront6targetE0EEEvSO_,@function
_ZN7rocprim17ROCPRIM_400000_NS6detail17trampoline_kernelINS0_14default_configENS1_38merge_sort_block_merge_config_selectorIjN6thrust23THRUST_200600_302600_NS5tupleIffNS6_9null_typeES8_S8_S8_S8_S8_S8_S8_EEEEZZNS1_27merge_sort_block_merge_implIS3_NS6_6detail15normal_iteratorINS6_10device_ptrIjEEEENSD_INSE_IS9_EEEEjNS1_19radix_merge_compareILb0ELb1EjNS0_19identity_decomposerEEEEE10hipError_tT0_T1_T2_jT3_P12ihipStream_tbPNSt15iterator_traitsISN_E10value_typeEPNST_ISO_E10value_typeEPSP_NS1_7vsmem_tEENKUlT_SN_SO_SP_E_clISG_PjSI_PS9_EESM_S12_SN_SO_SP_EUlS12_E1_NS1_11comp_targetILNS1_3genE10ELNS1_11target_archE1201ELNS1_3gpuE5ELNS1_3repE0EEENS1_36merge_oddeven_config_static_selectorELNS0_4arch9wavefront6targetE0EEEvSO_: ; @_ZN7rocprim17ROCPRIM_400000_NS6detail17trampoline_kernelINS0_14default_configENS1_38merge_sort_block_merge_config_selectorIjN6thrust23THRUST_200600_302600_NS5tupleIffNS6_9null_typeES8_S8_S8_S8_S8_S8_S8_EEEEZZNS1_27merge_sort_block_merge_implIS3_NS6_6detail15normal_iteratorINS6_10device_ptrIjEEEENSD_INSE_IS9_EEEEjNS1_19radix_merge_compareILb0ELb1EjNS0_19identity_decomposerEEEEE10hipError_tT0_T1_T2_jT3_P12ihipStream_tbPNSt15iterator_traitsISN_E10value_typeEPNST_ISO_E10value_typeEPSP_NS1_7vsmem_tEENKUlT_SN_SO_SP_E_clISG_PjSI_PS9_EESM_S12_SN_SO_SP_EUlS12_E1_NS1_11comp_targetILNS1_3genE10ELNS1_11target_archE1201ELNS1_3gpuE5ELNS1_3repE0EEENS1_36merge_oddeven_config_static_selectorELNS0_4arch9wavefront6targetE0EEEvSO_
; %bb.0:
	s_load_b32 s14, s[0:1], 0x20
	s_lshl_b32 s12, ttmp9, 8
	s_wait_kmcnt 0x0
	s_lshr_b32 s2, s14, 8
	s_delay_alu instid0(SALU_CYCLE_1) | instskip(SKIP_4) | instid1(SALU_CYCLE_1)
	s_cmp_eq_u32 ttmp9, s2
	s_cselect_b32 s15, -1, 0
	s_cmp_lg_u32 ttmp9, s2
	s_cselect_b32 s2, -1, 0
	s_sub_co_i32 s3, s14, s12
	v_cmp_gt_u32_e64 s3, s3, v0
	s_or_b32 s2, s2, s3
	s_wait_alu 0xfffe
	s_and_saveexec_b32 s4, s2
	s_cbranch_execz .LBB132_24
; %bb.1:
	s_load_b256 s[4:11], s[0:1], 0x0
	s_mov_b32 s13, 0
	v_lshlrev_b32_e32 v1, 2, v0
	v_lshlrev_b32_e32 v2, 3, v0
	s_lshl_b64 s[16:17], s[12:13], 2
	s_lshl_b64 s[18:19], s[12:13], 3
	v_add_nc_u32_e32 v3, s12, v0
	s_mov_b32 s12, -1
	s_wait_kmcnt 0x0
	s_add_nc_u64 s[16:17], s[4:5], s[16:17]
	s_add_nc_u64 s[8:9], s[8:9], s[18:19]
	global_load_b32 v5, v1, s[16:17]
	global_load_b64 v[1:2], v2, s[8:9]
	s_load_b32 s9, s[0:1], 0x24
	s_wait_kmcnt 0x0
	s_lshr_b32 s2, s9, 8
	s_wait_alu 0xfffe
	s_sub_co_i32 s8, 0, s2
	s_delay_alu instid0(SALU_CYCLE_1) | instskip(NEXT) | instid1(SALU_CYCLE_1)
	s_and_b32 s8, ttmp9, s8
	s_and_b32 s2, s8, s2
	s_lshl_b32 s13, s8, 8
	s_sub_co_i32 s8, 0, s9
	s_wait_alu 0xfffe
	s_cmp_eq_u32 s2, 0
	s_cselect_b32 s2, -1, 0
	s_wait_alu 0xfffe
	s_and_b32 s16, s2, exec_lo
	s_cselect_b32 s8, s9, s8
	s_delay_alu instid0(SALU_CYCLE_1) | instskip(NEXT) | instid1(SALU_CYCLE_1)
	s_add_co_i32 s8, s8, s13
	s_cmp_gt_u32 s14, s8
	s_cbranch_scc1 .LBB132_9
; %bb.2:
	s_and_b32 vcc_lo, exec_lo, s15
	s_cbranch_vccz .LBB132_6
; %bb.3:
	s_mov_b32 s12, exec_lo
	v_cmpx_gt_u32_e64 s14, v3
	s_cbranch_execz .LBB132_5
; %bb.4:
	v_mov_b32_e32 v4, 0
	s_delay_alu instid0(VALU_DEP_1) | instskip(SKIP_1) | instid1(VALU_DEP_2)
	v_lshlrev_b64_e32 v[6:7], 2, v[3:4]
	v_lshlrev_b64_e32 v[8:9], 3, v[3:4]
	v_add_co_u32 v6, vcc_lo, s6, v6
	s_delay_alu instid0(VALU_DEP_1) | instskip(NEXT) | instid1(VALU_DEP_3)
	v_add_co_ci_u32_e64 v7, null, s7, v7, vcc_lo
	v_add_co_u32 v8, vcc_lo, s10, v8
	s_wait_alu 0xfffd
	s_delay_alu instid0(VALU_DEP_4)
	v_add_co_ci_u32_e64 v9, null, s11, v9, vcc_lo
	s_wait_loadcnt 0x1
	global_store_b32 v[6:7], v5, off
	s_wait_loadcnt 0x0
	global_store_b64 v[8:9], v[1:2], off
.LBB132_5:
	s_wait_alu 0xfffe
	s_or_b32 exec_lo, exec_lo, s12
	s_mov_b32 s12, 0
.LBB132_6:
	s_wait_alu 0xfffe
	s_and_not1_b32 vcc_lo, exec_lo, s12
	s_wait_alu 0xfffe
	s_cbranch_vccnz .LBB132_8
; %bb.7:
	v_mov_b32_e32 v4, 0
	s_delay_alu instid0(VALU_DEP_1) | instskip(SKIP_1) | instid1(VALU_DEP_2)
	v_lshlrev_b64_e32 v[6:7], 2, v[3:4]
	v_lshlrev_b64_e32 v[8:9], 3, v[3:4]
	v_add_co_u32 v6, vcc_lo, s6, v6
	s_wait_alu 0xfffd
	s_delay_alu instid0(VALU_DEP_3) | instskip(NEXT) | instid1(VALU_DEP_3)
	v_add_co_ci_u32_e64 v7, null, s7, v7, vcc_lo
	v_add_co_u32 v8, vcc_lo, s10, v8
	s_wait_alu 0xfffd
	v_add_co_ci_u32_e64 v9, null, s11, v9, vcc_lo
	s_wait_loadcnt 0x1
	global_store_b32 v[6:7], v5, off
	s_wait_loadcnt 0x0
	global_store_b64 v[8:9], v[1:2], off
.LBB132_8:
	s_mov_b32 s12, 0
.LBB132_9:
	s_wait_alu 0xfffe
	s_and_not1_b32 vcc_lo, exec_lo, s12
	s_wait_alu 0xfffe
	s_cbranch_vccnz .LBB132_24
; %bb.10:
	s_load_b32 s0, s[0:1], 0x28
	s_min_u32 s1, s8, s14
	s_and_b32 vcc_lo, exec_lo, s15
	s_add_co_i32 s12, s13, s1
	s_add_co_i32 s9, s1, s9
	s_wait_alu 0xfffe
	v_subrev_nc_u32_e32 v0, s12, v3
	s_min_u32 s12, s13, s1
	s_min_u32 s9, s9, s14
	s_wait_alu 0xfffe
	s_delay_alu instid0(VALU_DEP_1)
	v_add_nc_u32_e32 v0, s12, v0
	s_mov_b32 s12, -1
	s_wait_loadcnt 0x1
	s_wait_kmcnt 0x0
	v_and_b32_e32 v6, s0, v5
	s_cbranch_vccz .LBB132_18
; %bb.11:
	s_and_saveexec_b32 s12, s3
	s_cbranch_execz .LBB132_17
; %bb.12:
	v_mov_b32_e32 v7, s1
	s_cmp_ge_u32 s8, s9
	s_cbranch_scc1 .LBB132_16
; %bb.13:
	v_dual_mov_b32 v8, s9 :: v_dual_mov_b32 v7, s1
	v_mov_b32_e32 v4, 0
	s_mov_b32 s3, 0
.LBB132_14:                             ; =>This Inner Loop Header: Depth=1
	s_delay_alu instid0(VALU_DEP_2) | instskip(NEXT) | instid1(VALU_DEP_1)
	v_add_nc_u32_e32 v3, v7, v8
	v_lshrrev_b32_e32 v3, 1, v3
	s_delay_alu instid0(VALU_DEP_1) | instskip(NEXT) | instid1(VALU_DEP_1)
	v_lshlrev_b64_e32 v[9:10], 2, v[3:4]
	v_add_co_u32 v9, vcc_lo, s4, v9
	s_wait_alu 0xfffd
	s_delay_alu instid0(VALU_DEP_2) | instskip(SKIP_3) | instid1(VALU_DEP_1)
	v_add_co_ci_u32_e64 v10, null, s5, v10, vcc_lo
	global_load_b32 v9, v[9:10], off
	s_wait_loadcnt 0x0
	v_and_b32_e32 v9, s0, v9
	v_cmp_gt_u32_e32 vcc_lo, v6, v9
	s_wait_alu 0xfffd
	v_cndmask_b32_e64 v10, 0, 1, vcc_lo
	v_cmp_le_u32_e32 vcc_lo, v9, v6
	s_wait_alu 0xfffd
	v_cndmask_b32_e64 v9, 0, 1, vcc_lo
	s_delay_alu instid0(VALU_DEP_1) | instskip(SKIP_1) | instid1(VALU_DEP_2)
	v_cndmask_b32_e64 v9, v9, v10, s2
	v_add_nc_u32_e32 v10, 1, v3
	v_and_b32_e32 v9, 1, v9
	s_delay_alu instid0(VALU_DEP_1) | instskip(SKIP_3) | instid1(VALU_DEP_1)
	v_cmp_eq_u32_e32 vcc_lo, 1, v9
	s_wait_alu 0xfffd
	v_cndmask_b32_e32 v8, v3, v8, vcc_lo
	v_cndmask_b32_e32 v7, v7, v10, vcc_lo
	v_cmp_ge_u32_e32 vcc_lo, v7, v8
	s_wait_alu 0xfffe
	s_or_b32 s3, vcc_lo, s3
	s_wait_alu 0xfffe
	s_and_not1_b32 exec_lo, exec_lo, s3
	s_cbranch_execnz .LBB132_14
; %bb.15:
	s_or_b32 exec_lo, exec_lo, s3
.LBB132_16:
	s_delay_alu instid0(VALU_DEP_1) | instskip(NEXT) | instid1(VALU_DEP_1)
	v_dual_mov_b32 v4, 0 :: v_dual_add_nc_u32 v3, v7, v0
	v_lshlrev_b64_e32 v[7:8], 2, v[3:4]
	v_lshlrev_b64_e32 v[3:4], 3, v[3:4]
	s_delay_alu instid0(VALU_DEP_2) | instskip(SKIP_1) | instid1(VALU_DEP_3)
	v_add_co_u32 v7, vcc_lo, s6, v7
	s_wait_alu 0xfffd
	v_add_co_ci_u32_e64 v8, null, s7, v8, vcc_lo
	s_delay_alu instid0(VALU_DEP_3)
	v_add_co_u32 v3, vcc_lo, s10, v3
	s_wait_alu 0xfffd
	v_add_co_ci_u32_e64 v4, null, s11, v4, vcc_lo
	global_store_b32 v[7:8], v5, off
	s_wait_loadcnt 0x0
	global_store_b64 v[3:4], v[1:2], off
.LBB132_17:
	s_wait_alu 0xfffe
	s_or_b32 exec_lo, exec_lo, s12
	s_mov_b32 s12, 0
.LBB132_18:
	s_wait_alu 0xfffe
	s_and_not1_b32 vcc_lo, exec_lo, s12
	s_wait_alu 0xfffe
	s_cbranch_vccnz .LBB132_24
; %bb.19:
	v_mov_b32_e32 v7, s1
	s_cmp_ge_u32 s8, s9
	s_cbranch_scc1 .LBB132_23
; %bb.20:
	v_dual_mov_b32 v8, s9 :: v_dual_mov_b32 v7, s1
	v_mov_b32_e32 v4, 0
	s_mov_b32 s1, 0
.LBB132_21:                             ; =>This Inner Loop Header: Depth=1
	s_delay_alu instid0(VALU_DEP_2) | instskip(NEXT) | instid1(VALU_DEP_1)
	v_add_nc_u32_e32 v3, v7, v8
	v_lshrrev_b32_e32 v3, 1, v3
	s_delay_alu instid0(VALU_DEP_1) | instskip(NEXT) | instid1(VALU_DEP_1)
	v_lshlrev_b64_e32 v[9:10], 2, v[3:4]
	v_add_co_u32 v9, vcc_lo, s4, v9
	s_wait_alu 0xfffd
	s_delay_alu instid0(VALU_DEP_2) | instskip(SKIP_3) | instid1(VALU_DEP_1)
	v_add_co_ci_u32_e64 v10, null, s5, v10, vcc_lo
	global_load_b32 v9, v[9:10], off
	s_wait_loadcnt 0x0
	v_and_b32_e32 v9, s0, v9
	v_cmp_gt_u32_e32 vcc_lo, v6, v9
	s_wait_alu 0xfffd
	v_cndmask_b32_e64 v10, 0, 1, vcc_lo
	v_cmp_le_u32_e32 vcc_lo, v9, v6
	s_wait_alu 0xfffd
	v_cndmask_b32_e64 v9, 0, 1, vcc_lo
	s_delay_alu instid0(VALU_DEP_1) | instskip(SKIP_1) | instid1(VALU_DEP_2)
	v_cndmask_b32_e64 v9, v9, v10, s2
	v_add_nc_u32_e32 v10, 1, v3
	v_and_b32_e32 v9, 1, v9
	s_delay_alu instid0(VALU_DEP_1) | instskip(SKIP_3) | instid1(VALU_DEP_1)
	v_cmp_eq_u32_e32 vcc_lo, 1, v9
	s_wait_alu 0xfffd
	v_cndmask_b32_e32 v8, v3, v8, vcc_lo
	v_cndmask_b32_e32 v7, v7, v10, vcc_lo
	v_cmp_ge_u32_e32 vcc_lo, v7, v8
	s_wait_alu 0xfffe
	s_or_b32 s1, vcc_lo, s1
	s_wait_alu 0xfffe
	s_and_not1_b32 exec_lo, exec_lo, s1
	s_cbranch_execnz .LBB132_21
; %bb.22:
	s_or_b32 exec_lo, exec_lo, s1
.LBB132_23:
	s_delay_alu instid0(VALU_DEP_1) | instskip(NEXT) | instid1(VALU_DEP_1)
	v_dual_mov_b32 v4, 0 :: v_dual_add_nc_u32 v3, v7, v0
	v_lshlrev_b64_e32 v[6:7], 2, v[3:4]
	v_lshlrev_b64_e32 v[3:4], 3, v[3:4]
	s_delay_alu instid0(VALU_DEP_2) | instskip(SKIP_1) | instid1(VALU_DEP_3)
	v_add_co_u32 v6, vcc_lo, s6, v6
	s_wait_alu 0xfffd
	v_add_co_ci_u32_e64 v7, null, s7, v7, vcc_lo
	s_delay_alu instid0(VALU_DEP_3)
	v_add_co_u32 v3, vcc_lo, s10, v3
	s_wait_alu 0xfffd
	v_add_co_ci_u32_e64 v4, null, s11, v4, vcc_lo
	global_store_b32 v[6:7], v5, off
	s_wait_loadcnt 0x0
	global_store_b64 v[3:4], v[1:2], off
.LBB132_24:
	s_endpgm
	.section	.rodata,"a",@progbits
	.p2align	6, 0x0
	.amdhsa_kernel _ZN7rocprim17ROCPRIM_400000_NS6detail17trampoline_kernelINS0_14default_configENS1_38merge_sort_block_merge_config_selectorIjN6thrust23THRUST_200600_302600_NS5tupleIffNS6_9null_typeES8_S8_S8_S8_S8_S8_S8_EEEEZZNS1_27merge_sort_block_merge_implIS3_NS6_6detail15normal_iteratorINS6_10device_ptrIjEEEENSD_INSE_IS9_EEEEjNS1_19radix_merge_compareILb0ELb1EjNS0_19identity_decomposerEEEEE10hipError_tT0_T1_T2_jT3_P12ihipStream_tbPNSt15iterator_traitsISN_E10value_typeEPNST_ISO_E10value_typeEPSP_NS1_7vsmem_tEENKUlT_SN_SO_SP_E_clISG_PjSI_PS9_EESM_S12_SN_SO_SP_EUlS12_E1_NS1_11comp_targetILNS1_3genE10ELNS1_11target_archE1201ELNS1_3gpuE5ELNS1_3repE0EEENS1_36merge_oddeven_config_static_selectorELNS0_4arch9wavefront6targetE0EEEvSO_
		.amdhsa_group_segment_fixed_size 0
		.amdhsa_private_segment_fixed_size 0
		.amdhsa_kernarg_size 48
		.amdhsa_user_sgpr_count 2
		.amdhsa_user_sgpr_dispatch_ptr 0
		.amdhsa_user_sgpr_queue_ptr 0
		.amdhsa_user_sgpr_kernarg_segment_ptr 1
		.amdhsa_user_sgpr_dispatch_id 0
		.amdhsa_user_sgpr_private_segment_size 0
		.amdhsa_wavefront_size32 1
		.amdhsa_uses_dynamic_stack 0
		.amdhsa_enable_private_segment 0
		.amdhsa_system_sgpr_workgroup_id_x 1
		.amdhsa_system_sgpr_workgroup_id_y 0
		.amdhsa_system_sgpr_workgroup_id_z 0
		.amdhsa_system_sgpr_workgroup_info 0
		.amdhsa_system_vgpr_workitem_id 0
		.amdhsa_next_free_vgpr 11
		.amdhsa_next_free_sgpr 20
		.amdhsa_reserve_vcc 1
		.amdhsa_float_round_mode_32 0
		.amdhsa_float_round_mode_16_64 0
		.amdhsa_float_denorm_mode_32 3
		.amdhsa_float_denorm_mode_16_64 3
		.amdhsa_fp16_overflow 0
		.amdhsa_workgroup_processor_mode 1
		.amdhsa_memory_ordered 1
		.amdhsa_forward_progress 1
		.amdhsa_inst_pref_size 10
		.amdhsa_round_robin_scheduling 0
		.amdhsa_exception_fp_ieee_invalid_op 0
		.amdhsa_exception_fp_denorm_src 0
		.amdhsa_exception_fp_ieee_div_zero 0
		.amdhsa_exception_fp_ieee_overflow 0
		.amdhsa_exception_fp_ieee_underflow 0
		.amdhsa_exception_fp_ieee_inexact 0
		.amdhsa_exception_int_div_zero 0
	.end_amdhsa_kernel
	.section	.text._ZN7rocprim17ROCPRIM_400000_NS6detail17trampoline_kernelINS0_14default_configENS1_38merge_sort_block_merge_config_selectorIjN6thrust23THRUST_200600_302600_NS5tupleIffNS6_9null_typeES8_S8_S8_S8_S8_S8_S8_EEEEZZNS1_27merge_sort_block_merge_implIS3_NS6_6detail15normal_iteratorINS6_10device_ptrIjEEEENSD_INSE_IS9_EEEEjNS1_19radix_merge_compareILb0ELb1EjNS0_19identity_decomposerEEEEE10hipError_tT0_T1_T2_jT3_P12ihipStream_tbPNSt15iterator_traitsISN_E10value_typeEPNST_ISO_E10value_typeEPSP_NS1_7vsmem_tEENKUlT_SN_SO_SP_E_clISG_PjSI_PS9_EESM_S12_SN_SO_SP_EUlS12_E1_NS1_11comp_targetILNS1_3genE10ELNS1_11target_archE1201ELNS1_3gpuE5ELNS1_3repE0EEENS1_36merge_oddeven_config_static_selectorELNS0_4arch9wavefront6targetE0EEEvSO_,"axG",@progbits,_ZN7rocprim17ROCPRIM_400000_NS6detail17trampoline_kernelINS0_14default_configENS1_38merge_sort_block_merge_config_selectorIjN6thrust23THRUST_200600_302600_NS5tupleIffNS6_9null_typeES8_S8_S8_S8_S8_S8_S8_EEEEZZNS1_27merge_sort_block_merge_implIS3_NS6_6detail15normal_iteratorINS6_10device_ptrIjEEEENSD_INSE_IS9_EEEEjNS1_19radix_merge_compareILb0ELb1EjNS0_19identity_decomposerEEEEE10hipError_tT0_T1_T2_jT3_P12ihipStream_tbPNSt15iterator_traitsISN_E10value_typeEPNST_ISO_E10value_typeEPSP_NS1_7vsmem_tEENKUlT_SN_SO_SP_E_clISG_PjSI_PS9_EESM_S12_SN_SO_SP_EUlS12_E1_NS1_11comp_targetILNS1_3genE10ELNS1_11target_archE1201ELNS1_3gpuE5ELNS1_3repE0EEENS1_36merge_oddeven_config_static_selectorELNS0_4arch9wavefront6targetE0EEEvSO_,comdat
.Lfunc_end132:
	.size	_ZN7rocprim17ROCPRIM_400000_NS6detail17trampoline_kernelINS0_14default_configENS1_38merge_sort_block_merge_config_selectorIjN6thrust23THRUST_200600_302600_NS5tupleIffNS6_9null_typeES8_S8_S8_S8_S8_S8_S8_EEEEZZNS1_27merge_sort_block_merge_implIS3_NS6_6detail15normal_iteratorINS6_10device_ptrIjEEEENSD_INSE_IS9_EEEEjNS1_19radix_merge_compareILb0ELb1EjNS0_19identity_decomposerEEEEE10hipError_tT0_T1_T2_jT3_P12ihipStream_tbPNSt15iterator_traitsISN_E10value_typeEPNST_ISO_E10value_typeEPSP_NS1_7vsmem_tEENKUlT_SN_SO_SP_E_clISG_PjSI_PS9_EESM_S12_SN_SO_SP_EUlS12_E1_NS1_11comp_targetILNS1_3genE10ELNS1_11target_archE1201ELNS1_3gpuE5ELNS1_3repE0EEENS1_36merge_oddeven_config_static_selectorELNS0_4arch9wavefront6targetE0EEEvSO_, .Lfunc_end132-_ZN7rocprim17ROCPRIM_400000_NS6detail17trampoline_kernelINS0_14default_configENS1_38merge_sort_block_merge_config_selectorIjN6thrust23THRUST_200600_302600_NS5tupleIffNS6_9null_typeES8_S8_S8_S8_S8_S8_S8_EEEEZZNS1_27merge_sort_block_merge_implIS3_NS6_6detail15normal_iteratorINS6_10device_ptrIjEEEENSD_INSE_IS9_EEEEjNS1_19radix_merge_compareILb0ELb1EjNS0_19identity_decomposerEEEEE10hipError_tT0_T1_T2_jT3_P12ihipStream_tbPNSt15iterator_traitsISN_E10value_typeEPNST_ISO_E10value_typeEPSP_NS1_7vsmem_tEENKUlT_SN_SO_SP_E_clISG_PjSI_PS9_EESM_S12_SN_SO_SP_EUlS12_E1_NS1_11comp_targetILNS1_3genE10ELNS1_11target_archE1201ELNS1_3gpuE5ELNS1_3repE0EEENS1_36merge_oddeven_config_static_selectorELNS0_4arch9wavefront6targetE0EEEvSO_
                                        ; -- End function
	.set _ZN7rocprim17ROCPRIM_400000_NS6detail17trampoline_kernelINS0_14default_configENS1_38merge_sort_block_merge_config_selectorIjN6thrust23THRUST_200600_302600_NS5tupleIffNS6_9null_typeES8_S8_S8_S8_S8_S8_S8_EEEEZZNS1_27merge_sort_block_merge_implIS3_NS6_6detail15normal_iteratorINS6_10device_ptrIjEEEENSD_INSE_IS9_EEEEjNS1_19radix_merge_compareILb0ELb1EjNS0_19identity_decomposerEEEEE10hipError_tT0_T1_T2_jT3_P12ihipStream_tbPNSt15iterator_traitsISN_E10value_typeEPNST_ISO_E10value_typeEPSP_NS1_7vsmem_tEENKUlT_SN_SO_SP_E_clISG_PjSI_PS9_EESM_S12_SN_SO_SP_EUlS12_E1_NS1_11comp_targetILNS1_3genE10ELNS1_11target_archE1201ELNS1_3gpuE5ELNS1_3repE0EEENS1_36merge_oddeven_config_static_selectorELNS0_4arch9wavefront6targetE0EEEvSO_.num_vgpr, 11
	.set _ZN7rocprim17ROCPRIM_400000_NS6detail17trampoline_kernelINS0_14default_configENS1_38merge_sort_block_merge_config_selectorIjN6thrust23THRUST_200600_302600_NS5tupleIffNS6_9null_typeES8_S8_S8_S8_S8_S8_S8_EEEEZZNS1_27merge_sort_block_merge_implIS3_NS6_6detail15normal_iteratorINS6_10device_ptrIjEEEENSD_INSE_IS9_EEEEjNS1_19radix_merge_compareILb0ELb1EjNS0_19identity_decomposerEEEEE10hipError_tT0_T1_T2_jT3_P12ihipStream_tbPNSt15iterator_traitsISN_E10value_typeEPNST_ISO_E10value_typeEPSP_NS1_7vsmem_tEENKUlT_SN_SO_SP_E_clISG_PjSI_PS9_EESM_S12_SN_SO_SP_EUlS12_E1_NS1_11comp_targetILNS1_3genE10ELNS1_11target_archE1201ELNS1_3gpuE5ELNS1_3repE0EEENS1_36merge_oddeven_config_static_selectorELNS0_4arch9wavefront6targetE0EEEvSO_.num_agpr, 0
	.set _ZN7rocprim17ROCPRIM_400000_NS6detail17trampoline_kernelINS0_14default_configENS1_38merge_sort_block_merge_config_selectorIjN6thrust23THRUST_200600_302600_NS5tupleIffNS6_9null_typeES8_S8_S8_S8_S8_S8_S8_EEEEZZNS1_27merge_sort_block_merge_implIS3_NS6_6detail15normal_iteratorINS6_10device_ptrIjEEEENSD_INSE_IS9_EEEEjNS1_19radix_merge_compareILb0ELb1EjNS0_19identity_decomposerEEEEE10hipError_tT0_T1_T2_jT3_P12ihipStream_tbPNSt15iterator_traitsISN_E10value_typeEPNST_ISO_E10value_typeEPSP_NS1_7vsmem_tEENKUlT_SN_SO_SP_E_clISG_PjSI_PS9_EESM_S12_SN_SO_SP_EUlS12_E1_NS1_11comp_targetILNS1_3genE10ELNS1_11target_archE1201ELNS1_3gpuE5ELNS1_3repE0EEENS1_36merge_oddeven_config_static_selectorELNS0_4arch9wavefront6targetE0EEEvSO_.numbered_sgpr, 20
	.set _ZN7rocprim17ROCPRIM_400000_NS6detail17trampoline_kernelINS0_14default_configENS1_38merge_sort_block_merge_config_selectorIjN6thrust23THRUST_200600_302600_NS5tupleIffNS6_9null_typeES8_S8_S8_S8_S8_S8_S8_EEEEZZNS1_27merge_sort_block_merge_implIS3_NS6_6detail15normal_iteratorINS6_10device_ptrIjEEEENSD_INSE_IS9_EEEEjNS1_19radix_merge_compareILb0ELb1EjNS0_19identity_decomposerEEEEE10hipError_tT0_T1_T2_jT3_P12ihipStream_tbPNSt15iterator_traitsISN_E10value_typeEPNST_ISO_E10value_typeEPSP_NS1_7vsmem_tEENKUlT_SN_SO_SP_E_clISG_PjSI_PS9_EESM_S12_SN_SO_SP_EUlS12_E1_NS1_11comp_targetILNS1_3genE10ELNS1_11target_archE1201ELNS1_3gpuE5ELNS1_3repE0EEENS1_36merge_oddeven_config_static_selectorELNS0_4arch9wavefront6targetE0EEEvSO_.num_named_barrier, 0
	.set _ZN7rocprim17ROCPRIM_400000_NS6detail17trampoline_kernelINS0_14default_configENS1_38merge_sort_block_merge_config_selectorIjN6thrust23THRUST_200600_302600_NS5tupleIffNS6_9null_typeES8_S8_S8_S8_S8_S8_S8_EEEEZZNS1_27merge_sort_block_merge_implIS3_NS6_6detail15normal_iteratorINS6_10device_ptrIjEEEENSD_INSE_IS9_EEEEjNS1_19radix_merge_compareILb0ELb1EjNS0_19identity_decomposerEEEEE10hipError_tT0_T1_T2_jT3_P12ihipStream_tbPNSt15iterator_traitsISN_E10value_typeEPNST_ISO_E10value_typeEPSP_NS1_7vsmem_tEENKUlT_SN_SO_SP_E_clISG_PjSI_PS9_EESM_S12_SN_SO_SP_EUlS12_E1_NS1_11comp_targetILNS1_3genE10ELNS1_11target_archE1201ELNS1_3gpuE5ELNS1_3repE0EEENS1_36merge_oddeven_config_static_selectorELNS0_4arch9wavefront6targetE0EEEvSO_.private_seg_size, 0
	.set _ZN7rocprim17ROCPRIM_400000_NS6detail17trampoline_kernelINS0_14default_configENS1_38merge_sort_block_merge_config_selectorIjN6thrust23THRUST_200600_302600_NS5tupleIffNS6_9null_typeES8_S8_S8_S8_S8_S8_S8_EEEEZZNS1_27merge_sort_block_merge_implIS3_NS6_6detail15normal_iteratorINS6_10device_ptrIjEEEENSD_INSE_IS9_EEEEjNS1_19radix_merge_compareILb0ELb1EjNS0_19identity_decomposerEEEEE10hipError_tT0_T1_T2_jT3_P12ihipStream_tbPNSt15iterator_traitsISN_E10value_typeEPNST_ISO_E10value_typeEPSP_NS1_7vsmem_tEENKUlT_SN_SO_SP_E_clISG_PjSI_PS9_EESM_S12_SN_SO_SP_EUlS12_E1_NS1_11comp_targetILNS1_3genE10ELNS1_11target_archE1201ELNS1_3gpuE5ELNS1_3repE0EEENS1_36merge_oddeven_config_static_selectorELNS0_4arch9wavefront6targetE0EEEvSO_.uses_vcc, 1
	.set _ZN7rocprim17ROCPRIM_400000_NS6detail17trampoline_kernelINS0_14default_configENS1_38merge_sort_block_merge_config_selectorIjN6thrust23THRUST_200600_302600_NS5tupleIffNS6_9null_typeES8_S8_S8_S8_S8_S8_S8_EEEEZZNS1_27merge_sort_block_merge_implIS3_NS6_6detail15normal_iteratorINS6_10device_ptrIjEEEENSD_INSE_IS9_EEEEjNS1_19radix_merge_compareILb0ELb1EjNS0_19identity_decomposerEEEEE10hipError_tT0_T1_T2_jT3_P12ihipStream_tbPNSt15iterator_traitsISN_E10value_typeEPNST_ISO_E10value_typeEPSP_NS1_7vsmem_tEENKUlT_SN_SO_SP_E_clISG_PjSI_PS9_EESM_S12_SN_SO_SP_EUlS12_E1_NS1_11comp_targetILNS1_3genE10ELNS1_11target_archE1201ELNS1_3gpuE5ELNS1_3repE0EEENS1_36merge_oddeven_config_static_selectorELNS0_4arch9wavefront6targetE0EEEvSO_.uses_flat_scratch, 0
	.set _ZN7rocprim17ROCPRIM_400000_NS6detail17trampoline_kernelINS0_14default_configENS1_38merge_sort_block_merge_config_selectorIjN6thrust23THRUST_200600_302600_NS5tupleIffNS6_9null_typeES8_S8_S8_S8_S8_S8_S8_EEEEZZNS1_27merge_sort_block_merge_implIS3_NS6_6detail15normal_iteratorINS6_10device_ptrIjEEEENSD_INSE_IS9_EEEEjNS1_19radix_merge_compareILb0ELb1EjNS0_19identity_decomposerEEEEE10hipError_tT0_T1_T2_jT3_P12ihipStream_tbPNSt15iterator_traitsISN_E10value_typeEPNST_ISO_E10value_typeEPSP_NS1_7vsmem_tEENKUlT_SN_SO_SP_E_clISG_PjSI_PS9_EESM_S12_SN_SO_SP_EUlS12_E1_NS1_11comp_targetILNS1_3genE10ELNS1_11target_archE1201ELNS1_3gpuE5ELNS1_3repE0EEENS1_36merge_oddeven_config_static_selectorELNS0_4arch9wavefront6targetE0EEEvSO_.has_dyn_sized_stack, 0
	.set _ZN7rocprim17ROCPRIM_400000_NS6detail17trampoline_kernelINS0_14default_configENS1_38merge_sort_block_merge_config_selectorIjN6thrust23THRUST_200600_302600_NS5tupleIffNS6_9null_typeES8_S8_S8_S8_S8_S8_S8_EEEEZZNS1_27merge_sort_block_merge_implIS3_NS6_6detail15normal_iteratorINS6_10device_ptrIjEEEENSD_INSE_IS9_EEEEjNS1_19radix_merge_compareILb0ELb1EjNS0_19identity_decomposerEEEEE10hipError_tT0_T1_T2_jT3_P12ihipStream_tbPNSt15iterator_traitsISN_E10value_typeEPNST_ISO_E10value_typeEPSP_NS1_7vsmem_tEENKUlT_SN_SO_SP_E_clISG_PjSI_PS9_EESM_S12_SN_SO_SP_EUlS12_E1_NS1_11comp_targetILNS1_3genE10ELNS1_11target_archE1201ELNS1_3gpuE5ELNS1_3repE0EEENS1_36merge_oddeven_config_static_selectorELNS0_4arch9wavefront6targetE0EEEvSO_.has_recursion, 0
	.set _ZN7rocprim17ROCPRIM_400000_NS6detail17trampoline_kernelINS0_14default_configENS1_38merge_sort_block_merge_config_selectorIjN6thrust23THRUST_200600_302600_NS5tupleIffNS6_9null_typeES8_S8_S8_S8_S8_S8_S8_EEEEZZNS1_27merge_sort_block_merge_implIS3_NS6_6detail15normal_iteratorINS6_10device_ptrIjEEEENSD_INSE_IS9_EEEEjNS1_19radix_merge_compareILb0ELb1EjNS0_19identity_decomposerEEEEE10hipError_tT0_T1_T2_jT3_P12ihipStream_tbPNSt15iterator_traitsISN_E10value_typeEPNST_ISO_E10value_typeEPSP_NS1_7vsmem_tEENKUlT_SN_SO_SP_E_clISG_PjSI_PS9_EESM_S12_SN_SO_SP_EUlS12_E1_NS1_11comp_targetILNS1_3genE10ELNS1_11target_archE1201ELNS1_3gpuE5ELNS1_3repE0EEENS1_36merge_oddeven_config_static_selectorELNS0_4arch9wavefront6targetE0EEEvSO_.has_indirect_call, 0
	.section	.AMDGPU.csdata,"",@progbits
; Kernel info:
; codeLenInByte = 1168
; TotalNumSgprs: 22
; NumVgprs: 11
; ScratchSize: 0
; MemoryBound: 0
; FloatMode: 240
; IeeeMode: 1
; LDSByteSize: 0 bytes/workgroup (compile time only)
; SGPRBlocks: 0
; VGPRBlocks: 1
; NumSGPRsForWavesPerEU: 22
; NumVGPRsForWavesPerEU: 11
; Occupancy: 16
; WaveLimiterHint : 0
; COMPUTE_PGM_RSRC2:SCRATCH_EN: 0
; COMPUTE_PGM_RSRC2:USER_SGPR: 2
; COMPUTE_PGM_RSRC2:TRAP_HANDLER: 0
; COMPUTE_PGM_RSRC2:TGID_X_EN: 1
; COMPUTE_PGM_RSRC2:TGID_Y_EN: 0
; COMPUTE_PGM_RSRC2:TGID_Z_EN: 0
; COMPUTE_PGM_RSRC2:TIDIG_COMP_CNT: 0
	.section	.text._ZN7rocprim17ROCPRIM_400000_NS6detail17trampoline_kernelINS0_14default_configENS1_38merge_sort_block_merge_config_selectorIjN6thrust23THRUST_200600_302600_NS5tupleIffNS6_9null_typeES8_S8_S8_S8_S8_S8_S8_EEEEZZNS1_27merge_sort_block_merge_implIS3_NS6_6detail15normal_iteratorINS6_10device_ptrIjEEEENSD_INSE_IS9_EEEEjNS1_19radix_merge_compareILb0ELb1EjNS0_19identity_decomposerEEEEE10hipError_tT0_T1_T2_jT3_P12ihipStream_tbPNSt15iterator_traitsISN_E10value_typeEPNST_ISO_E10value_typeEPSP_NS1_7vsmem_tEENKUlT_SN_SO_SP_E_clISG_PjSI_PS9_EESM_S12_SN_SO_SP_EUlS12_E1_NS1_11comp_targetILNS1_3genE5ELNS1_11target_archE942ELNS1_3gpuE9ELNS1_3repE0EEENS1_36merge_oddeven_config_static_selectorELNS0_4arch9wavefront6targetE0EEEvSO_,"axG",@progbits,_ZN7rocprim17ROCPRIM_400000_NS6detail17trampoline_kernelINS0_14default_configENS1_38merge_sort_block_merge_config_selectorIjN6thrust23THRUST_200600_302600_NS5tupleIffNS6_9null_typeES8_S8_S8_S8_S8_S8_S8_EEEEZZNS1_27merge_sort_block_merge_implIS3_NS6_6detail15normal_iteratorINS6_10device_ptrIjEEEENSD_INSE_IS9_EEEEjNS1_19radix_merge_compareILb0ELb1EjNS0_19identity_decomposerEEEEE10hipError_tT0_T1_T2_jT3_P12ihipStream_tbPNSt15iterator_traitsISN_E10value_typeEPNST_ISO_E10value_typeEPSP_NS1_7vsmem_tEENKUlT_SN_SO_SP_E_clISG_PjSI_PS9_EESM_S12_SN_SO_SP_EUlS12_E1_NS1_11comp_targetILNS1_3genE5ELNS1_11target_archE942ELNS1_3gpuE9ELNS1_3repE0EEENS1_36merge_oddeven_config_static_selectorELNS0_4arch9wavefront6targetE0EEEvSO_,comdat
	.protected	_ZN7rocprim17ROCPRIM_400000_NS6detail17trampoline_kernelINS0_14default_configENS1_38merge_sort_block_merge_config_selectorIjN6thrust23THRUST_200600_302600_NS5tupleIffNS6_9null_typeES8_S8_S8_S8_S8_S8_S8_EEEEZZNS1_27merge_sort_block_merge_implIS3_NS6_6detail15normal_iteratorINS6_10device_ptrIjEEEENSD_INSE_IS9_EEEEjNS1_19radix_merge_compareILb0ELb1EjNS0_19identity_decomposerEEEEE10hipError_tT0_T1_T2_jT3_P12ihipStream_tbPNSt15iterator_traitsISN_E10value_typeEPNST_ISO_E10value_typeEPSP_NS1_7vsmem_tEENKUlT_SN_SO_SP_E_clISG_PjSI_PS9_EESM_S12_SN_SO_SP_EUlS12_E1_NS1_11comp_targetILNS1_3genE5ELNS1_11target_archE942ELNS1_3gpuE9ELNS1_3repE0EEENS1_36merge_oddeven_config_static_selectorELNS0_4arch9wavefront6targetE0EEEvSO_ ; -- Begin function _ZN7rocprim17ROCPRIM_400000_NS6detail17trampoline_kernelINS0_14default_configENS1_38merge_sort_block_merge_config_selectorIjN6thrust23THRUST_200600_302600_NS5tupleIffNS6_9null_typeES8_S8_S8_S8_S8_S8_S8_EEEEZZNS1_27merge_sort_block_merge_implIS3_NS6_6detail15normal_iteratorINS6_10device_ptrIjEEEENSD_INSE_IS9_EEEEjNS1_19radix_merge_compareILb0ELb1EjNS0_19identity_decomposerEEEEE10hipError_tT0_T1_T2_jT3_P12ihipStream_tbPNSt15iterator_traitsISN_E10value_typeEPNST_ISO_E10value_typeEPSP_NS1_7vsmem_tEENKUlT_SN_SO_SP_E_clISG_PjSI_PS9_EESM_S12_SN_SO_SP_EUlS12_E1_NS1_11comp_targetILNS1_3genE5ELNS1_11target_archE942ELNS1_3gpuE9ELNS1_3repE0EEENS1_36merge_oddeven_config_static_selectorELNS0_4arch9wavefront6targetE0EEEvSO_
	.globl	_ZN7rocprim17ROCPRIM_400000_NS6detail17trampoline_kernelINS0_14default_configENS1_38merge_sort_block_merge_config_selectorIjN6thrust23THRUST_200600_302600_NS5tupleIffNS6_9null_typeES8_S8_S8_S8_S8_S8_S8_EEEEZZNS1_27merge_sort_block_merge_implIS3_NS6_6detail15normal_iteratorINS6_10device_ptrIjEEEENSD_INSE_IS9_EEEEjNS1_19radix_merge_compareILb0ELb1EjNS0_19identity_decomposerEEEEE10hipError_tT0_T1_T2_jT3_P12ihipStream_tbPNSt15iterator_traitsISN_E10value_typeEPNST_ISO_E10value_typeEPSP_NS1_7vsmem_tEENKUlT_SN_SO_SP_E_clISG_PjSI_PS9_EESM_S12_SN_SO_SP_EUlS12_E1_NS1_11comp_targetILNS1_3genE5ELNS1_11target_archE942ELNS1_3gpuE9ELNS1_3repE0EEENS1_36merge_oddeven_config_static_selectorELNS0_4arch9wavefront6targetE0EEEvSO_
	.p2align	8
	.type	_ZN7rocprim17ROCPRIM_400000_NS6detail17trampoline_kernelINS0_14default_configENS1_38merge_sort_block_merge_config_selectorIjN6thrust23THRUST_200600_302600_NS5tupleIffNS6_9null_typeES8_S8_S8_S8_S8_S8_S8_EEEEZZNS1_27merge_sort_block_merge_implIS3_NS6_6detail15normal_iteratorINS6_10device_ptrIjEEEENSD_INSE_IS9_EEEEjNS1_19radix_merge_compareILb0ELb1EjNS0_19identity_decomposerEEEEE10hipError_tT0_T1_T2_jT3_P12ihipStream_tbPNSt15iterator_traitsISN_E10value_typeEPNST_ISO_E10value_typeEPSP_NS1_7vsmem_tEENKUlT_SN_SO_SP_E_clISG_PjSI_PS9_EESM_S12_SN_SO_SP_EUlS12_E1_NS1_11comp_targetILNS1_3genE5ELNS1_11target_archE942ELNS1_3gpuE9ELNS1_3repE0EEENS1_36merge_oddeven_config_static_selectorELNS0_4arch9wavefront6targetE0EEEvSO_,@function
_ZN7rocprim17ROCPRIM_400000_NS6detail17trampoline_kernelINS0_14default_configENS1_38merge_sort_block_merge_config_selectorIjN6thrust23THRUST_200600_302600_NS5tupleIffNS6_9null_typeES8_S8_S8_S8_S8_S8_S8_EEEEZZNS1_27merge_sort_block_merge_implIS3_NS6_6detail15normal_iteratorINS6_10device_ptrIjEEEENSD_INSE_IS9_EEEEjNS1_19radix_merge_compareILb0ELb1EjNS0_19identity_decomposerEEEEE10hipError_tT0_T1_T2_jT3_P12ihipStream_tbPNSt15iterator_traitsISN_E10value_typeEPNST_ISO_E10value_typeEPSP_NS1_7vsmem_tEENKUlT_SN_SO_SP_E_clISG_PjSI_PS9_EESM_S12_SN_SO_SP_EUlS12_E1_NS1_11comp_targetILNS1_3genE5ELNS1_11target_archE942ELNS1_3gpuE9ELNS1_3repE0EEENS1_36merge_oddeven_config_static_selectorELNS0_4arch9wavefront6targetE0EEEvSO_: ; @_ZN7rocprim17ROCPRIM_400000_NS6detail17trampoline_kernelINS0_14default_configENS1_38merge_sort_block_merge_config_selectorIjN6thrust23THRUST_200600_302600_NS5tupleIffNS6_9null_typeES8_S8_S8_S8_S8_S8_S8_EEEEZZNS1_27merge_sort_block_merge_implIS3_NS6_6detail15normal_iteratorINS6_10device_ptrIjEEEENSD_INSE_IS9_EEEEjNS1_19radix_merge_compareILb0ELb1EjNS0_19identity_decomposerEEEEE10hipError_tT0_T1_T2_jT3_P12ihipStream_tbPNSt15iterator_traitsISN_E10value_typeEPNST_ISO_E10value_typeEPSP_NS1_7vsmem_tEENKUlT_SN_SO_SP_E_clISG_PjSI_PS9_EESM_S12_SN_SO_SP_EUlS12_E1_NS1_11comp_targetILNS1_3genE5ELNS1_11target_archE942ELNS1_3gpuE9ELNS1_3repE0EEENS1_36merge_oddeven_config_static_selectorELNS0_4arch9wavefront6targetE0EEEvSO_
; %bb.0:
	.section	.rodata,"a",@progbits
	.p2align	6, 0x0
	.amdhsa_kernel _ZN7rocprim17ROCPRIM_400000_NS6detail17trampoline_kernelINS0_14default_configENS1_38merge_sort_block_merge_config_selectorIjN6thrust23THRUST_200600_302600_NS5tupleIffNS6_9null_typeES8_S8_S8_S8_S8_S8_S8_EEEEZZNS1_27merge_sort_block_merge_implIS3_NS6_6detail15normal_iteratorINS6_10device_ptrIjEEEENSD_INSE_IS9_EEEEjNS1_19radix_merge_compareILb0ELb1EjNS0_19identity_decomposerEEEEE10hipError_tT0_T1_T2_jT3_P12ihipStream_tbPNSt15iterator_traitsISN_E10value_typeEPNST_ISO_E10value_typeEPSP_NS1_7vsmem_tEENKUlT_SN_SO_SP_E_clISG_PjSI_PS9_EESM_S12_SN_SO_SP_EUlS12_E1_NS1_11comp_targetILNS1_3genE5ELNS1_11target_archE942ELNS1_3gpuE9ELNS1_3repE0EEENS1_36merge_oddeven_config_static_selectorELNS0_4arch9wavefront6targetE0EEEvSO_
		.amdhsa_group_segment_fixed_size 0
		.amdhsa_private_segment_fixed_size 0
		.amdhsa_kernarg_size 48
		.amdhsa_user_sgpr_count 2
		.amdhsa_user_sgpr_dispatch_ptr 0
		.amdhsa_user_sgpr_queue_ptr 0
		.amdhsa_user_sgpr_kernarg_segment_ptr 1
		.amdhsa_user_sgpr_dispatch_id 0
		.amdhsa_user_sgpr_private_segment_size 0
		.amdhsa_wavefront_size32 1
		.amdhsa_uses_dynamic_stack 0
		.amdhsa_enable_private_segment 0
		.amdhsa_system_sgpr_workgroup_id_x 1
		.amdhsa_system_sgpr_workgroup_id_y 0
		.amdhsa_system_sgpr_workgroup_id_z 0
		.amdhsa_system_sgpr_workgroup_info 0
		.amdhsa_system_vgpr_workitem_id 0
		.amdhsa_next_free_vgpr 1
		.amdhsa_next_free_sgpr 1
		.amdhsa_reserve_vcc 0
		.amdhsa_float_round_mode_32 0
		.amdhsa_float_round_mode_16_64 0
		.amdhsa_float_denorm_mode_32 3
		.amdhsa_float_denorm_mode_16_64 3
		.amdhsa_fp16_overflow 0
		.amdhsa_workgroup_processor_mode 1
		.amdhsa_memory_ordered 1
		.amdhsa_forward_progress 1
		.amdhsa_inst_pref_size 0
		.amdhsa_round_robin_scheduling 0
		.amdhsa_exception_fp_ieee_invalid_op 0
		.amdhsa_exception_fp_denorm_src 0
		.amdhsa_exception_fp_ieee_div_zero 0
		.amdhsa_exception_fp_ieee_overflow 0
		.amdhsa_exception_fp_ieee_underflow 0
		.amdhsa_exception_fp_ieee_inexact 0
		.amdhsa_exception_int_div_zero 0
	.end_amdhsa_kernel
	.section	.text._ZN7rocprim17ROCPRIM_400000_NS6detail17trampoline_kernelINS0_14default_configENS1_38merge_sort_block_merge_config_selectorIjN6thrust23THRUST_200600_302600_NS5tupleIffNS6_9null_typeES8_S8_S8_S8_S8_S8_S8_EEEEZZNS1_27merge_sort_block_merge_implIS3_NS6_6detail15normal_iteratorINS6_10device_ptrIjEEEENSD_INSE_IS9_EEEEjNS1_19radix_merge_compareILb0ELb1EjNS0_19identity_decomposerEEEEE10hipError_tT0_T1_T2_jT3_P12ihipStream_tbPNSt15iterator_traitsISN_E10value_typeEPNST_ISO_E10value_typeEPSP_NS1_7vsmem_tEENKUlT_SN_SO_SP_E_clISG_PjSI_PS9_EESM_S12_SN_SO_SP_EUlS12_E1_NS1_11comp_targetILNS1_3genE5ELNS1_11target_archE942ELNS1_3gpuE9ELNS1_3repE0EEENS1_36merge_oddeven_config_static_selectorELNS0_4arch9wavefront6targetE0EEEvSO_,"axG",@progbits,_ZN7rocprim17ROCPRIM_400000_NS6detail17trampoline_kernelINS0_14default_configENS1_38merge_sort_block_merge_config_selectorIjN6thrust23THRUST_200600_302600_NS5tupleIffNS6_9null_typeES8_S8_S8_S8_S8_S8_S8_EEEEZZNS1_27merge_sort_block_merge_implIS3_NS6_6detail15normal_iteratorINS6_10device_ptrIjEEEENSD_INSE_IS9_EEEEjNS1_19radix_merge_compareILb0ELb1EjNS0_19identity_decomposerEEEEE10hipError_tT0_T1_T2_jT3_P12ihipStream_tbPNSt15iterator_traitsISN_E10value_typeEPNST_ISO_E10value_typeEPSP_NS1_7vsmem_tEENKUlT_SN_SO_SP_E_clISG_PjSI_PS9_EESM_S12_SN_SO_SP_EUlS12_E1_NS1_11comp_targetILNS1_3genE5ELNS1_11target_archE942ELNS1_3gpuE9ELNS1_3repE0EEENS1_36merge_oddeven_config_static_selectorELNS0_4arch9wavefront6targetE0EEEvSO_,comdat
.Lfunc_end133:
	.size	_ZN7rocprim17ROCPRIM_400000_NS6detail17trampoline_kernelINS0_14default_configENS1_38merge_sort_block_merge_config_selectorIjN6thrust23THRUST_200600_302600_NS5tupleIffNS6_9null_typeES8_S8_S8_S8_S8_S8_S8_EEEEZZNS1_27merge_sort_block_merge_implIS3_NS6_6detail15normal_iteratorINS6_10device_ptrIjEEEENSD_INSE_IS9_EEEEjNS1_19radix_merge_compareILb0ELb1EjNS0_19identity_decomposerEEEEE10hipError_tT0_T1_T2_jT3_P12ihipStream_tbPNSt15iterator_traitsISN_E10value_typeEPNST_ISO_E10value_typeEPSP_NS1_7vsmem_tEENKUlT_SN_SO_SP_E_clISG_PjSI_PS9_EESM_S12_SN_SO_SP_EUlS12_E1_NS1_11comp_targetILNS1_3genE5ELNS1_11target_archE942ELNS1_3gpuE9ELNS1_3repE0EEENS1_36merge_oddeven_config_static_selectorELNS0_4arch9wavefront6targetE0EEEvSO_, .Lfunc_end133-_ZN7rocprim17ROCPRIM_400000_NS6detail17trampoline_kernelINS0_14default_configENS1_38merge_sort_block_merge_config_selectorIjN6thrust23THRUST_200600_302600_NS5tupleIffNS6_9null_typeES8_S8_S8_S8_S8_S8_S8_EEEEZZNS1_27merge_sort_block_merge_implIS3_NS6_6detail15normal_iteratorINS6_10device_ptrIjEEEENSD_INSE_IS9_EEEEjNS1_19radix_merge_compareILb0ELb1EjNS0_19identity_decomposerEEEEE10hipError_tT0_T1_T2_jT3_P12ihipStream_tbPNSt15iterator_traitsISN_E10value_typeEPNST_ISO_E10value_typeEPSP_NS1_7vsmem_tEENKUlT_SN_SO_SP_E_clISG_PjSI_PS9_EESM_S12_SN_SO_SP_EUlS12_E1_NS1_11comp_targetILNS1_3genE5ELNS1_11target_archE942ELNS1_3gpuE9ELNS1_3repE0EEENS1_36merge_oddeven_config_static_selectorELNS0_4arch9wavefront6targetE0EEEvSO_
                                        ; -- End function
	.set _ZN7rocprim17ROCPRIM_400000_NS6detail17trampoline_kernelINS0_14default_configENS1_38merge_sort_block_merge_config_selectorIjN6thrust23THRUST_200600_302600_NS5tupleIffNS6_9null_typeES8_S8_S8_S8_S8_S8_S8_EEEEZZNS1_27merge_sort_block_merge_implIS3_NS6_6detail15normal_iteratorINS6_10device_ptrIjEEEENSD_INSE_IS9_EEEEjNS1_19radix_merge_compareILb0ELb1EjNS0_19identity_decomposerEEEEE10hipError_tT0_T1_T2_jT3_P12ihipStream_tbPNSt15iterator_traitsISN_E10value_typeEPNST_ISO_E10value_typeEPSP_NS1_7vsmem_tEENKUlT_SN_SO_SP_E_clISG_PjSI_PS9_EESM_S12_SN_SO_SP_EUlS12_E1_NS1_11comp_targetILNS1_3genE5ELNS1_11target_archE942ELNS1_3gpuE9ELNS1_3repE0EEENS1_36merge_oddeven_config_static_selectorELNS0_4arch9wavefront6targetE0EEEvSO_.num_vgpr, 0
	.set _ZN7rocprim17ROCPRIM_400000_NS6detail17trampoline_kernelINS0_14default_configENS1_38merge_sort_block_merge_config_selectorIjN6thrust23THRUST_200600_302600_NS5tupleIffNS6_9null_typeES8_S8_S8_S8_S8_S8_S8_EEEEZZNS1_27merge_sort_block_merge_implIS3_NS6_6detail15normal_iteratorINS6_10device_ptrIjEEEENSD_INSE_IS9_EEEEjNS1_19radix_merge_compareILb0ELb1EjNS0_19identity_decomposerEEEEE10hipError_tT0_T1_T2_jT3_P12ihipStream_tbPNSt15iterator_traitsISN_E10value_typeEPNST_ISO_E10value_typeEPSP_NS1_7vsmem_tEENKUlT_SN_SO_SP_E_clISG_PjSI_PS9_EESM_S12_SN_SO_SP_EUlS12_E1_NS1_11comp_targetILNS1_3genE5ELNS1_11target_archE942ELNS1_3gpuE9ELNS1_3repE0EEENS1_36merge_oddeven_config_static_selectorELNS0_4arch9wavefront6targetE0EEEvSO_.num_agpr, 0
	.set _ZN7rocprim17ROCPRIM_400000_NS6detail17trampoline_kernelINS0_14default_configENS1_38merge_sort_block_merge_config_selectorIjN6thrust23THRUST_200600_302600_NS5tupleIffNS6_9null_typeES8_S8_S8_S8_S8_S8_S8_EEEEZZNS1_27merge_sort_block_merge_implIS3_NS6_6detail15normal_iteratorINS6_10device_ptrIjEEEENSD_INSE_IS9_EEEEjNS1_19radix_merge_compareILb0ELb1EjNS0_19identity_decomposerEEEEE10hipError_tT0_T1_T2_jT3_P12ihipStream_tbPNSt15iterator_traitsISN_E10value_typeEPNST_ISO_E10value_typeEPSP_NS1_7vsmem_tEENKUlT_SN_SO_SP_E_clISG_PjSI_PS9_EESM_S12_SN_SO_SP_EUlS12_E1_NS1_11comp_targetILNS1_3genE5ELNS1_11target_archE942ELNS1_3gpuE9ELNS1_3repE0EEENS1_36merge_oddeven_config_static_selectorELNS0_4arch9wavefront6targetE0EEEvSO_.numbered_sgpr, 0
	.set _ZN7rocprim17ROCPRIM_400000_NS6detail17trampoline_kernelINS0_14default_configENS1_38merge_sort_block_merge_config_selectorIjN6thrust23THRUST_200600_302600_NS5tupleIffNS6_9null_typeES8_S8_S8_S8_S8_S8_S8_EEEEZZNS1_27merge_sort_block_merge_implIS3_NS6_6detail15normal_iteratorINS6_10device_ptrIjEEEENSD_INSE_IS9_EEEEjNS1_19radix_merge_compareILb0ELb1EjNS0_19identity_decomposerEEEEE10hipError_tT0_T1_T2_jT3_P12ihipStream_tbPNSt15iterator_traitsISN_E10value_typeEPNST_ISO_E10value_typeEPSP_NS1_7vsmem_tEENKUlT_SN_SO_SP_E_clISG_PjSI_PS9_EESM_S12_SN_SO_SP_EUlS12_E1_NS1_11comp_targetILNS1_3genE5ELNS1_11target_archE942ELNS1_3gpuE9ELNS1_3repE0EEENS1_36merge_oddeven_config_static_selectorELNS0_4arch9wavefront6targetE0EEEvSO_.num_named_barrier, 0
	.set _ZN7rocprim17ROCPRIM_400000_NS6detail17trampoline_kernelINS0_14default_configENS1_38merge_sort_block_merge_config_selectorIjN6thrust23THRUST_200600_302600_NS5tupleIffNS6_9null_typeES8_S8_S8_S8_S8_S8_S8_EEEEZZNS1_27merge_sort_block_merge_implIS3_NS6_6detail15normal_iteratorINS6_10device_ptrIjEEEENSD_INSE_IS9_EEEEjNS1_19radix_merge_compareILb0ELb1EjNS0_19identity_decomposerEEEEE10hipError_tT0_T1_T2_jT3_P12ihipStream_tbPNSt15iterator_traitsISN_E10value_typeEPNST_ISO_E10value_typeEPSP_NS1_7vsmem_tEENKUlT_SN_SO_SP_E_clISG_PjSI_PS9_EESM_S12_SN_SO_SP_EUlS12_E1_NS1_11comp_targetILNS1_3genE5ELNS1_11target_archE942ELNS1_3gpuE9ELNS1_3repE0EEENS1_36merge_oddeven_config_static_selectorELNS0_4arch9wavefront6targetE0EEEvSO_.private_seg_size, 0
	.set _ZN7rocprim17ROCPRIM_400000_NS6detail17trampoline_kernelINS0_14default_configENS1_38merge_sort_block_merge_config_selectorIjN6thrust23THRUST_200600_302600_NS5tupleIffNS6_9null_typeES8_S8_S8_S8_S8_S8_S8_EEEEZZNS1_27merge_sort_block_merge_implIS3_NS6_6detail15normal_iteratorINS6_10device_ptrIjEEEENSD_INSE_IS9_EEEEjNS1_19radix_merge_compareILb0ELb1EjNS0_19identity_decomposerEEEEE10hipError_tT0_T1_T2_jT3_P12ihipStream_tbPNSt15iterator_traitsISN_E10value_typeEPNST_ISO_E10value_typeEPSP_NS1_7vsmem_tEENKUlT_SN_SO_SP_E_clISG_PjSI_PS9_EESM_S12_SN_SO_SP_EUlS12_E1_NS1_11comp_targetILNS1_3genE5ELNS1_11target_archE942ELNS1_3gpuE9ELNS1_3repE0EEENS1_36merge_oddeven_config_static_selectorELNS0_4arch9wavefront6targetE0EEEvSO_.uses_vcc, 0
	.set _ZN7rocprim17ROCPRIM_400000_NS6detail17trampoline_kernelINS0_14default_configENS1_38merge_sort_block_merge_config_selectorIjN6thrust23THRUST_200600_302600_NS5tupleIffNS6_9null_typeES8_S8_S8_S8_S8_S8_S8_EEEEZZNS1_27merge_sort_block_merge_implIS3_NS6_6detail15normal_iteratorINS6_10device_ptrIjEEEENSD_INSE_IS9_EEEEjNS1_19radix_merge_compareILb0ELb1EjNS0_19identity_decomposerEEEEE10hipError_tT0_T1_T2_jT3_P12ihipStream_tbPNSt15iterator_traitsISN_E10value_typeEPNST_ISO_E10value_typeEPSP_NS1_7vsmem_tEENKUlT_SN_SO_SP_E_clISG_PjSI_PS9_EESM_S12_SN_SO_SP_EUlS12_E1_NS1_11comp_targetILNS1_3genE5ELNS1_11target_archE942ELNS1_3gpuE9ELNS1_3repE0EEENS1_36merge_oddeven_config_static_selectorELNS0_4arch9wavefront6targetE0EEEvSO_.uses_flat_scratch, 0
	.set _ZN7rocprim17ROCPRIM_400000_NS6detail17trampoline_kernelINS0_14default_configENS1_38merge_sort_block_merge_config_selectorIjN6thrust23THRUST_200600_302600_NS5tupleIffNS6_9null_typeES8_S8_S8_S8_S8_S8_S8_EEEEZZNS1_27merge_sort_block_merge_implIS3_NS6_6detail15normal_iteratorINS6_10device_ptrIjEEEENSD_INSE_IS9_EEEEjNS1_19radix_merge_compareILb0ELb1EjNS0_19identity_decomposerEEEEE10hipError_tT0_T1_T2_jT3_P12ihipStream_tbPNSt15iterator_traitsISN_E10value_typeEPNST_ISO_E10value_typeEPSP_NS1_7vsmem_tEENKUlT_SN_SO_SP_E_clISG_PjSI_PS9_EESM_S12_SN_SO_SP_EUlS12_E1_NS1_11comp_targetILNS1_3genE5ELNS1_11target_archE942ELNS1_3gpuE9ELNS1_3repE0EEENS1_36merge_oddeven_config_static_selectorELNS0_4arch9wavefront6targetE0EEEvSO_.has_dyn_sized_stack, 0
	.set _ZN7rocprim17ROCPRIM_400000_NS6detail17trampoline_kernelINS0_14default_configENS1_38merge_sort_block_merge_config_selectorIjN6thrust23THRUST_200600_302600_NS5tupleIffNS6_9null_typeES8_S8_S8_S8_S8_S8_S8_EEEEZZNS1_27merge_sort_block_merge_implIS3_NS6_6detail15normal_iteratorINS6_10device_ptrIjEEEENSD_INSE_IS9_EEEEjNS1_19radix_merge_compareILb0ELb1EjNS0_19identity_decomposerEEEEE10hipError_tT0_T1_T2_jT3_P12ihipStream_tbPNSt15iterator_traitsISN_E10value_typeEPNST_ISO_E10value_typeEPSP_NS1_7vsmem_tEENKUlT_SN_SO_SP_E_clISG_PjSI_PS9_EESM_S12_SN_SO_SP_EUlS12_E1_NS1_11comp_targetILNS1_3genE5ELNS1_11target_archE942ELNS1_3gpuE9ELNS1_3repE0EEENS1_36merge_oddeven_config_static_selectorELNS0_4arch9wavefront6targetE0EEEvSO_.has_recursion, 0
	.set _ZN7rocprim17ROCPRIM_400000_NS6detail17trampoline_kernelINS0_14default_configENS1_38merge_sort_block_merge_config_selectorIjN6thrust23THRUST_200600_302600_NS5tupleIffNS6_9null_typeES8_S8_S8_S8_S8_S8_S8_EEEEZZNS1_27merge_sort_block_merge_implIS3_NS6_6detail15normal_iteratorINS6_10device_ptrIjEEEENSD_INSE_IS9_EEEEjNS1_19radix_merge_compareILb0ELb1EjNS0_19identity_decomposerEEEEE10hipError_tT0_T1_T2_jT3_P12ihipStream_tbPNSt15iterator_traitsISN_E10value_typeEPNST_ISO_E10value_typeEPSP_NS1_7vsmem_tEENKUlT_SN_SO_SP_E_clISG_PjSI_PS9_EESM_S12_SN_SO_SP_EUlS12_E1_NS1_11comp_targetILNS1_3genE5ELNS1_11target_archE942ELNS1_3gpuE9ELNS1_3repE0EEENS1_36merge_oddeven_config_static_selectorELNS0_4arch9wavefront6targetE0EEEvSO_.has_indirect_call, 0
	.section	.AMDGPU.csdata,"",@progbits
; Kernel info:
; codeLenInByte = 0
; TotalNumSgprs: 0
; NumVgprs: 0
; ScratchSize: 0
; MemoryBound: 0
; FloatMode: 240
; IeeeMode: 1
; LDSByteSize: 0 bytes/workgroup (compile time only)
; SGPRBlocks: 0
; VGPRBlocks: 0
; NumSGPRsForWavesPerEU: 1
; NumVGPRsForWavesPerEU: 1
; Occupancy: 16
; WaveLimiterHint : 0
; COMPUTE_PGM_RSRC2:SCRATCH_EN: 0
; COMPUTE_PGM_RSRC2:USER_SGPR: 2
; COMPUTE_PGM_RSRC2:TRAP_HANDLER: 0
; COMPUTE_PGM_RSRC2:TGID_X_EN: 1
; COMPUTE_PGM_RSRC2:TGID_Y_EN: 0
; COMPUTE_PGM_RSRC2:TGID_Z_EN: 0
; COMPUTE_PGM_RSRC2:TIDIG_COMP_CNT: 0
	.section	.text._ZN7rocprim17ROCPRIM_400000_NS6detail17trampoline_kernelINS0_14default_configENS1_38merge_sort_block_merge_config_selectorIjN6thrust23THRUST_200600_302600_NS5tupleIffNS6_9null_typeES8_S8_S8_S8_S8_S8_S8_EEEEZZNS1_27merge_sort_block_merge_implIS3_NS6_6detail15normal_iteratorINS6_10device_ptrIjEEEENSD_INSE_IS9_EEEEjNS1_19radix_merge_compareILb0ELb1EjNS0_19identity_decomposerEEEEE10hipError_tT0_T1_T2_jT3_P12ihipStream_tbPNSt15iterator_traitsISN_E10value_typeEPNST_ISO_E10value_typeEPSP_NS1_7vsmem_tEENKUlT_SN_SO_SP_E_clISG_PjSI_PS9_EESM_S12_SN_SO_SP_EUlS12_E1_NS1_11comp_targetILNS1_3genE4ELNS1_11target_archE910ELNS1_3gpuE8ELNS1_3repE0EEENS1_36merge_oddeven_config_static_selectorELNS0_4arch9wavefront6targetE0EEEvSO_,"axG",@progbits,_ZN7rocprim17ROCPRIM_400000_NS6detail17trampoline_kernelINS0_14default_configENS1_38merge_sort_block_merge_config_selectorIjN6thrust23THRUST_200600_302600_NS5tupleIffNS6_9null_typeES8_S8_S8_S8_S8_S8_S8_EEEEZZNS1_27merge_sort_block_merge_implIS3_NS6_6detail15normal_iteratorINS6_10device_ptrIjEEEENSD_INSE_IS9_EEEEjNS1_19radix_merge_compareILb0ELb1EjNS0_19identity_decomposerEEEEE10hipError_tT0_T1_T2_jT3_P12ihipStream_tbPNSt15iterator_traitsISN_E10value_typeEPNST_ISO_E10value_typeEPSP_NS1_7vsmem_tEENKUlT_SN_SO_SP_E_clISG_PjSI_PS9_EESM_S12_SN_SO_SP_EUlS12_E1_NS1_11comp_targetILNS1_3genE4ELNS1_11target_archE910ELNS1_3gpuE8ELNS1_3repE0EEENS1_36merge_oddeven_config_static_selectorELNS0_4arch9wavefront6targetE0EEEvSO_,comdat
	.protected	_ZN7rocprim17ROCPRIM_400000_NS6detail17trampoline_kernelINS0_14default_configENS1_38merge_sort_block_merge_config_selectorIjN6thrust23THRUST_200600_302600_NS5tupleIffNS6_9null_typeES8_S8_S8_S8_S8_S8_S8_EEEEZZNS1_27merge_sort_block_merge_implIS3_NS6_6detail15normal_iteratorINS6_10device_ptrIjEEEENSD_INSE_IS9_EEEEjNS1_19radix_merge_compareILb0ELb1EjNS0_19identity_decomposerEEEEE10hipError_tT0_T1_T2_jT3_P12ihipStream_tbPNSt15iterator_traitsISN_E10value_typeEPNST_ISO_E10value_typeEPSP_NS1_7vsmem_tEENKUlT_SN_SO_SP_E_clISG_PjSI_PS9_EESM_S12_SN_SO_SP_EUlS12_E1_NS1_11comp_targetILNS1_3genE4ELNS1_11target_archE910ELNS1_3gpuE8ELNS1_3repE0EEENS1_36merge_oddeven_config_static_selectorELNS0_4arch9wavefront6targetE0EEEvSO_ ; -- Begin function _ZN7rocprim17ROCPRIM_400000_NS6detail17trampoline_kernelINS0_14default_configENS1_38merge_sort_block_merge_config_selectorIjN6thrust23THRUST_200600_302600_NS5tupleIffNS6_9null_typeES8_S8_S8_S8_S8_S8_S8_EEEEZZNS1_27merge_sort_block_merge_implIS3_NS6_6detail15normal_iteratorINS6_10device_ptrIjEEEENSD_INSE_IS9_EEEEjNS1_19radix_merge_compareILb0ELb1EjNS0_19identity_decomposerEEEEE10hipError_tT0_T1_T2_jT3_P12ihipStream_tbPNSt15iterator_traitsISN_E10value_typeEPNST_ISO_E10value_typeEPSP_NS1_7vsmem_tEENKUlT_SN_SO_SP_E_clISG_PjSI_PS9_EESM_S12_SN_SO_SP_EUlS12_E1_NS1_11comp_targetILNS1_3genE4ELNS1_11target_archE910ELNS1_3gpuE8ELNS1_3repE0EEENS1_36merge_oddeven_config_static_selectorELNS0_4arch9wavefront6targetE0EEEvSO_
	.globl	_ZN7rocprim17ROCPRIM_400000_NS6detail17trampoline_kernelINS0_14default_configENS1_38merge_sort_block_merge_config_selectorIjN6thrust23THRUST_200600_302600_NS5tupleIffNS6_9null_typeES8_S8_S8_S8_S8_S8_S8_EEEEZZNS1_27merge_sort_block_merge_implIS3_NS6_6detail15normal_iteratorINS6_10device_ptrIjEEEENSD_INSE_IS9_EEEEjNS1_19radix_merge_compareILb0ELb1EjNS0_19identity_decomposerEEEEE10hipError_tT0_T1_T2_jT3_P12ihipStream_tbPNSt15iterator_traitsISN_E10value_typeEPNST_ISO_E10value_typeEPSP_NS1_7vsmem_tEENKUlT_SN_SO_SP_E_clISG_PjSI_PS9_EESM_S12_SN_SO_SP_EUlS12_E1_NS1_11comp_targetILNS1_3genE4ELNS1_11target_archE910ELNS1_3gpuE8ELNS1_3repE0EEENS1_36merge_oddeven_config_static_selectorELNS0_4arch9wavefront6targetE0EEEvSO_
	.p2align	8
	.type	_ZN7rocprim17ROCPRIM_400000_NS6detail17trampoline_kernelINS0_14default_configENS1_38merge_sort_block_merge_config_selectorIjN6thrust23THRUST_200600_302600_NS5tupleIffNS6_9null_typeES8_S8_S8_S8_S8_S8_S8_EEEEZZNS1_27merge_sort_block_merge_implIS3_NS6_6detail15normal_iteratorINS6_10device_ptrIjEEEENSD_INSE_IS9_EEEEjNS1_19radix_merge_compareILb0ELb1EjNS0_19identity_decomposerEEEEE10hipError_tT0_T1_T2_jT3_P12ihipStream_tbPNSt15iterator_traitsISN_E10value_typeEPNST_ISO_E10value_typeEPSP_NS1_7vsmem_tEENKUlT_SN_SO_SP_E_clISG_PjSI_PS9_EESM_S12_SN_SO_SP_EUlS12_E1_NS1_11comp_targetILNS1_3genE4ELNS1_11target_archE910ELNS1_3gpuE8ELNS1_3repE0EEENS1_36merge_oddeven_config_static_selectorELNS0_4arch9wavefront6targetE0EEEvSO_,@function
_ZN7rocprim17ROCPRIM_400000_NS6detail17trampoline_kernelINS0_14default_configENS1_38merge_sort_block_merge_config_selectorIjN6thrust23THRUST_200600_302600_NS5tupleIffNS6_9null_typeES8_S8_S8_S8_S8_S8_S8_EEEEZZNS1_27merge_sort_block_merge_implIS3_NS6_6detail15normal_iteratorINS6_10device_ptrIjEEEENSD_INSE_IS9_EEEEjNS1_19radix_merge_compareILb0ELb1EjNS0_19identity_decomposerEEEEE10hipError_tT0_T1_T2_jT3_P12ihipStream_tbPNSt15iterator_traitsISN_E10value_typeEPNST_ISO_E10value_typeEPSP_NS1_7vsmem_tEENKUlT_SN_SO_SP_E_clISG_PjSI_PS9_EESM_S12_SN_SO_SP_EUlS12_E1_NS1_11comp_targetILNS1_3genE4ELNS1_11target_archE910ELNS1_3gpuE8ELNS1_3repE0EEENS1_36merge_oddeven_config_static_selectorELNS0_4arch9wavefront6targetE0EEEvSO_: ; @_ZN7rocprim17ROCPRIM_400000_NS6detail17trampoline_kernelINS0_14default_configENS1_38merge_sort_block_merge_config_selectorIjN6thrust23THRUST_200600_302600_NS5tupleIffNS6_9null_typeES8_S8_S8_S8_S8_S8_S8_EEEEZZNS1_27merge_sort_block_merge_implIS3_NS6_6detail15normal_iteratorINS6_10device_ptrIjEEEENSD_INSE_IS9_EEEEjNS1_19radix_merge_compareILb0ELb1EjNS0_19identity_decomposerEEEEE10hipError_tT0_T1_T2_jT3_P12ihipStream_tbPNSt15iterator_traitsISN_E10value_typeEPNST_ISO_E10value_typeEPSP_NS1_7vsmem_tEENKUlT_SN_SO_SP_E_clISG_PjSI_PS9_EESM_S12_SN_SO_SP_EUlS12_E1_NS1_11comp_targetILNS1_3genE4ELNS1_11target_archE910ELNS1_3gpuE8ELNS1_3repE0EEENS1_36merge_oddeven_config_static_selectorELNS0_4arch9wavefront6targetE0EEEvSO_
; %bb.0:
	.section	.rodata,"a",@progbits
	.p2align	6, 0x0
	.amdhsa_kernel _ZN7rocprim17ROCPRIM_400000_NS6detail17trampoline_kernelINS0_14default_configENS1_38merge_sort_block_merge_config_selectorIjN6thrust23THRUST_200600_302600_NS5tupleIffNS6_9null_typeES8_S8_S8_S8_S8_S8_S8_EEEEZZNS1_27merge_sort_block_merge_implIS3_NS6_6detail15normal_iteratorINS6_10device_ptrIjEEEENSD_INSE_IS9_EEEEjNS1_19radix_merge_compareILb0ELb1EjNS0_19identity_decomposerEEEEE10hipError_tT0_T1_T2_jT3_P12ihipStream_tbPNSt15iterator_traitsISN_E10value_typeEPNST_ISO_E10value_typeEPSP_NS1_7vsmem_tEENKUlT_SN_SO_SP_E_clISG_PjSI_PS9_EESM_S12_SN_SO_SP_EUlS12_E1_NS1_11comp_targetILNS1_3genE4ELNS1_11target_archE910ELNS1_3gpuE8ELNS1_3repE0EEENS1_36merge_oddeven_config_static_selectorELNS0_4arch9wavefront6targetE0EEEvSO_
		.amdhsa_group_segment_fixed_size 0
		.amdhsa_private_segment_fixed_size 0
		.amdhsa_kernarg_size 48
		.amdhsa_user_sgpr_count 2
		.amdhsa_user_sgpr_dispatch_ptr 0
		.amdhsa_user_sgpr_queue_ptr 0
		.amdhsa_user_sgpr_kernarg_segment_ptr 1
		.amdhsa_user_sgpr_dispatch_id 0
		.amdhsa_user_sgpr_private_segment_size 0
		.amdhsa_wavefront_size32 1
		.amdhsa_uses_dynamic_stack 0
		.amdhsa_enable_private_segment 0
		.amdhsa_system_sgpr_workgroup_id_x 1
		.amdhsa_system_sgpr_workgroup_id_y 0
		.amdhsa_system_sgpr_workgroup_id_z 0
		.amdhsa_system_sgpr_workgroup_info 0
		.amdhsa_system_vgpr_workitem_id 0
		.amdhsa_next_free_vgpr 1
		.amdhsa_next_free_sgpr 1
		.amdhsa_reserve_vcc 0
		.amdhsa_float_round_mode_32 0
		.amdhsa_float_round_mode_16_64 0
		.amdhsa_float_denorm_mode_32 3
		.amdhsa_float_denorm_mode_16_64 3
		.amdhsa_fp16_overflow 0
		.amdhsa_workgroup_processor_mode 1
		.amdhsa_memory_ordered 1
		.amdhsa_forward_progress 1
		.amdhsa_inst_pref_size 0
		.amdhsa_round_robin_scheduling 0
		.amdhsa_exception_fp_ieee_invalid_op 0
		.amdhsa_exception_fp_denorm_src 0
		.amdhsa_exception_fp_ieee_div_zero 0
		.amdhsa_exception_fp_ieee_overflow 0
		.amdhsa_exception_fp_ieee_underflow 0
		.amdhsa_exception_fp_ieee_inexact 0
		.amdhsa_exception_int_div_zero 0
	.end_amdhsa_kernel
	.section	.text._ZN7rocprim17ROCPRIM_400000_NS6detail17trampoline_kernelINS0_14default_configENS1_38merge_sort_block_merge_config_selectorIjN6thrust23THRUST_200600_302600_NS5tupleIffNS6_9null_typeES8_S8_S8_S8_S8_S8_S8_EEEEZZNS1_27merge_sort_block_merge_implIS3_NS6_6detail15normal_iteratorINS6_10device_ptrIjEEEENSD_INSE_IS9_EEEEjNS1_19radix_merge_compareILb0ELb1EjNS0_19identity_decomposerEEEEE10hipError_tT0_T1_T2_jT3_P12ihipStream_tbPNSt15iterator_traitsISN_E10value_typeEPNST_ISO_E10value_typeEPSP_NS1_7vsmem_tEENKUlT_SN_SO_SP_E_clISG_PjSI_PS9_EESM_S12_SN_SO_SP_EUlS12_E1_NS1_11comp_targetILNS1_3genE4ELNS1_11target_archE910ELNS1_3gpuE8ELNS1_3repE0EEENS1_36merge_oddeven_config_static_selectorELNS0_4arch9wavefront6targetE0EEEvSO_,"axG",@progbits,_ZN7rocprim17ROCPRIM_400000_NS6detail17trampoline_kernelINS0_14default_configENS1_38merge_sort_block_merge_config_selectorIjN6thrust23THRUST_200600_302600_NS5tupleIffNS6_9null_typeES8_S8_S8_S8_S8_S8_S8_EEEEZZNS1_27merge_sort_block_merge_implIS3_NS6_6detail15normal_iteratorINS6_10device_ptrIjEEEENSD_INSE_IS9_EEEEjNS1_19radix_merge_compareILb0ELb1EjNS0_19identity_decomposerEEEEE10hipError_tT0_T1_T2_jT3_P12ihipStream_tbPNSt15iterator_traitsISN_E10value_typeEPNST_ISO_E10value_typeEPSP_NS1_7vsmem_tEENKUlT_SN_SO_SP_E_clISG_PjSI_PS9_EESM_S12_SN_SO_SP_EUlS12_E1_NS1_11comp_targetILNS1_3genE4ELNS1_11target_archE910ELNS1_3gpuE8ELNS1_3repE0EEENS1_36merge_oddeven_config_static_selectorELNS0_4arch9wavefront6targetE0EEEvSO_,comdat
.Lfunc_end134:
	.size	_ZN7rocprim17ROCPRIM_400000_NS6detail17trampoline_kernelINS0_14default_configENS1_38merge_sort_block_merge_config_selectorIjN6thrust23THRUST_200600_302600_NS5tupleIffNS6_9null_typeES8_S8_S8_S8_S8_S8_S8_EEEEZZNS1_27merge_sort_block_merge_implIS3_NS6_6detail15normal_iteratorINS6_10device_ptrIjEEEENSD_INSE_IS9_EEEEjNS1_19radix_merge_compareILb0ELb1EjNS0_19identity_decomposerEEEEE10hipError_tT0_T1_T2_jT3_P12ihipStream_tbPNSt15iterator_traitsISN_E10value_typeEPNST_ISO_E10value_typeEPSP_NS1_7vsmem_tEENKUlT_SN_SO_SP_E_clISG_PjSI_PS9_EESM_S12_SN_SO_SP_EUlS12_E1_NS1_11comp_targetILNS1_3genE4ELNS1_11target_archE910ELNS1_3gpuE8ELNS1_3repE0EEENS1_36merge_oddeven_config_static_selectorELNS0_4arch9wavefront6targetE0EEEvSO_, .Lfunc_end134-_ZN7rocprim17ROCPRIM_400000_NS6detail17trampoline_kernelINS0_14default_configENS1_38merge_sort_block_merge_config_selectorIjN6thrust23THRUST_200600_302600_NS5tupleIffNS6_9null_typeES8_S8_S8_S8_S8_S8_S8_EEEEZZNS1_27merge_sort_block_merge_implIS3_NS6_6detail15normal_iteratorINS6_10device_ptrIjEEEENSD_INSE_IS9_EEEEjNS1_19radix_merge_compareILb0ELb1EjNS0_19identity_decomposerEEEEE10hipError_tT0_T1_T2_jT3_P12ihipStream_tbPNSt15iterator_traitsISN_E10value_typeEPNST_ISO_E10value_typeEPSP_NS1_7vsmem_tEENKUlT_SN_SO_SP_E_clISG_PjSI_PS9_EESM_S12_SN_SO_SP_EUlS12_E1_NS1_11comp_targetILNS1_3genE4ELNS1_11target_archE910ELNS1_3gpuE8ELNS1_3repE0EEENS1_36merge_oddeven_config_static_selectorELNS0_4arch9wavefront6targetE0EEEvSO_
                                        ; -- End function
	.set _ZN7rocprim17ROCPRIM_400000_NS6detail17trampoline_kernelINS0_14default_configENS1_38merge_sort_block_merge_config_selectorIjN6thrust23THRUST_200600_302600_NS5tupleIffNS6_9null_typeES8_S8_S8_S8_S8_S8_S8_EEEEZZNS1_27merge_sort_block_merge_implIS3_NS6_6detail15normal_iteratorINS6_10device_ptrIjEEEENSD_INSE_IS9_EEEEjNS1_19radix_merge_compareILb0ELb1EjNS0_19identity_decomposerEEEEE10hipError_tT0_T1_T2_jT3_P12ihipStream_tbPNSt15iterator_traitsISN_E10value_typeEPNST_ISO_E10value_typeEPSP_NS1_7vsmem_tEENKUlT_SN_SO_SP_E_clISG_PjSI_PS9_EESM_S12_SN_SO_SP_EUlS12_E1_NS1_11comp_targetILNS1_3genE4ELNS1_11target_archE910ELNS1_3gpuE8ELNS1_3repE0EEENS1_36merge_oddeven_config_static_selectorELNS0_4arch9wavefront6targetE0EEEvSO_.num_vgpr, 0
	.set _ZN7rocprim17ROCPRIM_400000_NS6detail17trampoline_kernelINS0_14default_configENS1_38merge_sort_block_merge_config_selectorIjN6thrust23THRUST_200600_302600_NS5tupleIffNS6_9null_typeES8_S8_S8_S8_S8_S8_S8_EEEEZZNS1_27merge_sort_block_merge_implIS3_NS6_6detail15normal_iteratorINS6_10device_ptrIjEEEENSD_INSE_IS9_EEEEjNS1_19radix_merge_compareILb0ELb1EjNS0_19identity_decomposerEEEEE10hipError_tT0_T1_T2_jT3_P12ihipStream_tbPNSt15iterator_traitsISN_E10value_typeEPNST_ISO_E10value_typeEPSP_NS1_7vsmem_tEENKUlT_SN_SO_SP_E_clISG_PjSI_PS9_EESM_S12_SN_SO_SP_EUlS12_E1_NS1_11comp_targetILNS1_3genE4ELNS1_11target_archE910ELNS1_3gpuE8ELNS1_3repE0EEENS1_36merge_oddeven_config_static_selectorELNS0_4arch9wavefront6targetE0EEEvSO_.num_agpr, 0
	.set _ZN7rocprim17ROCPRIM_400000_NS6detail17trampoline_kernelINS0_14default_configENS1_38merge_sort_block_merge_config_selectorIjN6thrust23THRUST_200600_302600_NS5tupleIffNS6_9null_typeES8_S8_S8_S8_S8_S8_S8_EEEEZZNS1_27merge_sort_block_merge_implIS3_NS6_6detail15normal_iteratorINS6_10device_ptrIjEEEENSD_INSE_IS9_EEEEjNS1_19radix_merge_compareILb0ELb1EjNS0_19identity_decomposerEEEEE10hipError_tT0_T1_T2_jT3_P12ihipStream_tbPNSt15iterator_traitsISN_E10value_typeEPNST_ISO_E10value_typeEPSP_NS1_7vsmem_tEENKUlT_SN_SO_SP_E_clISG_PjSI_PS9_EESM_S12_SN_SO_SP_EUlS12_E1_NS1_11comp_targetILNS1_3genE4ELNS1_11target_archE910ELNS1_3gpuE8ELNS1_3repE0EEENS1_36merge_oddeven_config_static_selectorELNS0_4arch9wavefront6targetE0EEEvSO_.numbered_sgpr, 0
	.set _ZN7rocprim17ROCPRIM_400000_NS6detail17trampoline_kernelINS0_14default_configENS1_38merge_sort_block_merge_config_selectorIjN6thrust23THRUST_200600_302600_NS5tupleIffNS6_9null_typeES8_S8_S8_S8_S8_S8_S8_EEEEZZNS1_27merge_sort_block_merge_implIS3_NS6_6detail15normal_iteratorINS6_10device_ptrIjEEEENSD_INSE_IS9_EEEEjNS1_19radix_merge_compareILb0ELb1EjNS0_19identity_decomposerEEEEE10hipError_tT0_T1_T2_jT3_P12ihipStream_tbPNSt15iterator_traitsISN_E10value_typeEPNST_ISO_E10value_typeEPSP_NS1_7vsmem_tEENKUlT_SN_SO_SP_E_clISG_PjSI_PS9_EESM_S12_SN_SO_SP_EUlS12_E1_NS1_11comp_targetILNS1_3genE4ELNS1_11target_archE910ELNS1_3gpuE8ELNS1_3repE0EEENS1_36merge_oddeven_config_static_selectorELNS0_4arch9wavefront6targetE0EEEvSO_.num_named_barrier, 0
	.set _ZN7rocprim17ROCPRIM_400000_NS6detail17trampoline_kernelINS0_14default_configENS1_38merge_sort_block_merge_config_selectorIjN6thrust23THRUST_200600_302600_NS5tupleIffNS6_9null_typeES8_S8_S8_S8_S8_S8_S8_EEEEZZNS1_27merge_sort_block_merge_implIS3_NS6_6detail15normal_iteratorINS6_10device_ptrIjEEEENSD_INSE_IS9_EEEEjNS1_19radix_merge_compareILb0ELb1EjNS0_19identity_decomposerEEEEE10hipError_tT0_T1_T2_jT3_P12ihipStream_tbPNSt15iterator_traitsISN_E10value_typeEPNST_ISO_E10value_typeEPSP_NS1_7vsmem_tEENKUlT_SN_SO_SP_E_clISG_PjSI_PS9_EESM_S12_SN_SO_SP_EUlS12_E1_NS1_11comp_targetILNS1_3genE4ELNS1_11target_archE910ELNS1_3gpuE8ELNS1_3repE0EEENS1_36merge_oddeven_config_static_selectorELNS0_4arch9wavefront6targetE0EEEvSO_.private_seg_size, 0
	.set _ZN7rocprim17ROCPRIM_400000_NS6detail17trampoline_kernelINS0_14default_configENS1_38merge_sort_block_merge_config_selectorIjN6thrust23THRUST_200600_302600_NS5tupleIffNS6_9null_typeES8_S8_S8_S8_S8_S8_S8_EEEEZZNS1_27merge_sort_block_merge_implIS3_NS6_6detail15normal_iteratorINS6_10device_ptrIjEEEENSD_INSE_IS9_EEEEjNS1_19radix_merge_compareILb0ELb1EjNS0_19identity_decomposerEEEEE10hipError_tT0_T1_T2_jT3_P12ihipStream_tbPNSt15iterator_traitsISN_E10value_typeEPNST_ISO_E10value_typeEPSP_NS1_7vsmem_tEENKUlT_SN_SO_SP_E_clISG_PjSI_PS9_EESM_S12_SN_SO_SP_EUlS12_E1_NS1_11comp_targetILNS1_3genE4ELNS1_11target_archE910ELNS1_3gpuE8ELNS1_3repE0EEENS1_36merge_oddeven_config_static_selectorELNS0_4arch9wavefront6targetE0EEEvSO_.uses_vcc, 0
	.set _ZN7rocprim17ROCPRIM_400000_NS6detail17trampoline_kernelINS0_14default_configENS1_38merge_sort_block_merge_config_selectorIjN6thrust23THRUST_200600_302600_NS5tupleIffNS6_9null_typeES8_S8_S8_S8_S8_S8_S8_EEEEZZNS1_27merge_sort_block_merge_implIS3_NS6_6detail15normal_iteratorINS6_10device_ptrIjEEEENSD_INSE_IS9_EEEEjNS1_19radix_merge_compareILb0ELb1EjNS0_19identity_decomposerEEEEE10hipError_tT0_T1_T2_jT3_P12ihipStream_tbPNSt15iterator_traitsISN_E10value_typeEPNST_ISO_E10value_typeEPSP_NS1_7vsmem_tEENKUlT_SN_SO_SP_E_clISG_PjSI_PS9_EESM_S12_SN_SO_SP_EUlS12_E1_NS1_11comp_targetILNS1_3genE4ELNS1_11target_archE910ELNS1_3gpuE8ELNS1_3repE0EEENS1_36merge_oddeven_config_static_selectorELNS0_4arch9wavefront6targetE0EEEvSO_.uses_flat_scratch, 0
	.set _ZN7rocprim17ROCPRIM_400000_NS6detail17trampoline_kernelINS0_14default_configENS1_38merge_sort_block_merge_config_selectorIjN6thrust23THRUST_200600_302600_NS5tupleIffNS6_9null_typeES8_S8_S8_S8_S8_S8_S8_EEEEZZNS1_27merge_sort_block_merge_implIS3_NS6_6detail15normal_iteratorINS6_10device_ptrIjEEEENSD_INSE_IS9_EEEEjNS1_19radix_merge_compareILb0ELb1EjNS0_19identity_decomposerEEEEE10hipError_tT0_T1_T2_jT3_P12ihipStream_tbPNSt15iterator_traitsISN_E10value_typeEPNST_ISO_E10value_typeEPSP_NS1_7vsmem_tEENKUlT_SN_SO_SP_E_clISG_PjSI_PS9_EESM_S12_SN_SO_SP_EUlS12_E1_NS1_11comp_targetILNS1_3genE4ELNS1_11target_archE910ELNS1_3gpuE8ELNS1_3repE0EEENS1_36merge_oddeven_config_static_selectorELNS0_4arch9wavefront6targetE0EEEvSO_.has_dyn_sized_stack, 0
	.set _ZN7rocprim17ROCPRIM_400000_NS6detail17trampoline_kernelINS0_14default_configENS1_38merge_sort_block_merge_config_selectorIjN6thrust23THRUST_200600_302600_NS5tupleIffNS6_9null_typeES8_S8_S8_S8_S8_S8_S8_EEEEZZNS1_27merge_sort_block_merge_implIS3_NS6_6detail15normal_iteratorINS6_10device_ptrIjEEEENSD_INSE_IS9_EEEEjNS1_19radix_merge_compareILb0ELb1EjNS0_19identity_decomposerEEEEE10hipError_tT0_T1_T2_jT3_P12ihipStream_tbPNSt15iterator_traitsISN_E10value_typeEPNST_ISO_E10value_typeEPSP_NS1_7vsmem_tEENKUlT_SN_SO_SP_E_clISG_PjSI_PS9_EESM_S12_SN_SO_SP_EUlS12_E1_NS1_11comp_targetILNS1_3genE4ELNS1_11target_archE910ELNS1_3gpuE8ELNS1_3repE0EEENS1_36merge_oddeven_config_static_selectorELNS0_4arch9wavefront6targetE0EEEvSO_.has_recursion, 0
	.set _ZN7rocprim17ROCPRIM_400000_NS6detail17trampoline_kernelINS0_14default_configENS1_38merge_sort_block_merge_config_selectorIjN6thrust23THRUST_200600_302600_NS5tupleIffNS6_9null_typeES8_S8_S8_S8_S8_S8_S8_EEEEZZNS1_27merge_sort_block_merge_implIS3_NS6_6detail15normal_iteratorINS6_10device_ptrIjEEEENSD_INSE_IS9_EEEEjNS1_19radix_merge_compareILb0ELb1EjNS0_19identity_decomposerEEEEE10hipError_tT0_T1_T2_jT3_P12ihipStream_tbPNSt15iterator_traitsISN_E10value_typeEPNST_ISO_E10value_typeEPSP_NS1_7vsmem_tEENKUlT_SN_SO_SP_E_clISG_PjSI_PS9_EESM_S12_SN_SO_SP_EUlS12_E1_NS1_11comp_targetILNS1_3genE4ELNS1_11target_archE910ELNS1_3gpuE8ELNS1_3repE0EEENS1_36merge_oddeven_config_static_selectorELNS0_4arch9wavefront6targetE0EEEvSO_.has_indirect_call, 0
	.section	.AMDGPU.csdata,"",@progbits
; Kernel info:
; codeLenInByte = 0
; TotalNumSgprs: 0
; NumVgprs: 0
; ScratchSize: 0
; MemoryBound: 0
; FloatMode: 240
; IeeeMode: 1
; LDSByteSize: 0 bytes/workgroup (compile time only)
; SGPRBlocks: 0
; VGPRBlocks: 0
; NumSGPRsForWavesPerEU: 1
; NumVGPRsForWavesPerEU: 1
; Occupancy: 16
; WaveLimiterHint : 0
; COMPUTE_PGM_RSRC2:SCRATCH_EN: 0
; COMPUTE_PGM_RSRC2:USER_SGPR: 2
; COMPUTE_PGM_RSRC2:TRAP_HANDLER: 0
; COMPUTE_PGM_RSRC2:TGID_X_EN: 1
; COMPUTE_PGM_RSRC2:TGID_Y_EN: 0
; COMPUTE_PGM_RSRC2:TGID_Z_EN: 0
; COMPUTE_PGM_RSRC2:TIDIG_COMP_CNT: 0
	.section	.text._ZN7rocprim17ROCPRIM_400000_NS6detail17trampoline_kernelINS0_14default_configENS1_38merge_sort_block_merge_config_selectorIjN6thrust23THRUST_200600_302600_NS5tupleIffNS6_9null_typeES8_S8_S8_S8_S8_S8_S8_EEEEZZNS1_27merge_sort_block_merge_implIS3_NS6_6detail15normal_iteratorINS6_10device_ptrIjEEEENSD_INSE_IS9_EEEEjNS1_19radix_merge_compareILb0ELb1EjNS0_19identity_decomposerEEEEE10hipError_tT0_T1_T2_jT3_P12ihipStream_tbPNSt15iterator_traitsISN_E10value_typeEPNST_ISO_E10value_typeEPSP_NS1_7vsmem_tEENKUlT_SN_SO_SP_E_clISG_PjSI_PS9_EESM_S12_SN_SO_SP_EUlS12_E1_NS1_11comp_targetILNS1_3genE3ELNS1_11target_archE908ELNS1_3gpuE7ELNS1_3repE0EEENS1_36merge_oddeven_config_static_selectorELNS0_4arch9wavefront6targetE0EEEvSO_,"axG",@progbits,_ZN7rocprim17ROCPRIM_400000_NS6detail17trampoline_kernelINS0_14default_configENS1_38merge_sort_block_merge_config_selectorIjN6thrust23THRUST_200600_302600_NS5tupleIffNS6_9null_typeES8_S8_S8_S8_S8_S8_S8_EEEEZZNS1_27merge_sort_block_merge_implIS3_NS6_6detail15normal_iteratorINS6_10device_ptrIjEEEENSD_INSE_IS9_EEEEjNS1_19radix_merge_compareILb0ELb1EjNS0_19identity_decomposerEEEEE10hipError_tT0_T1_T2_jT3_P12ihipStream_tbPNSt15iterator_traitsISN_E10value_typeEPNST_ISO_E10value_typeEPSP_NS1_7vsmem_tEENKUlT_SN_SO_SP_E_clISG_PjSI_PS9_EESM_S12_SN_SO_SP_EUlS12_E1_NS1_11comp_targetILNS1_3genE3ELNS1_11target_archE908ELNS1_3gpuE7ELNS1_3repE0EEENS1_36merge_oddeven_config_static_selectorELNS0_4arch9wavefront6targetE0EEEvSO_,comdat
	.protected	_ZN7rocprim17ROCPRIM_400000_NS6detail17trampoline_kernelINS0_14default_configENS1_38merge_sort_block_merge_config_selectorIjN6thrust23THRUST_200600_302600_NS5tupleIffNS6_9null_typeES8_S8_S8_S8_S8_S8_S8_EEEEZZNS1_27merge_sort_block_merge_implIS3_NS6_6detail15normal_iteratorINS6_10device_ptrIjEEEENSD_INSE_IS9_EEEEjNS1_19radix_merge_compareILb0ELb1EjNS0_19identity_decomposerEEEEE10hipError_tT0_T1_T2_jT3_P12ihipStream_tbPNSt15iterator_traitsISN_E10value_typeEPNST_ISO_E10value_typeEPSP_NS1_7vsmem_tEENKUlT_SN_SO_SP_E_clISG_PjSI_PS9_EESM_S12_SN_SO_SP_EUlS12_E1_NS1_11comp_targetILNS1_3genE3ELNS1_11target_archE908ELNS1_3gpuE7ELNS1_3repE0EEENS1_36merge_oddeven_config_static_selectorELNS0_4arch9wavefront6targetE0EEEvSO_ ; -- Begin function _ZN7rocprim17ROCPRIM_400000_NS6detail17trampoline_kernelINS0_14default_configENS1_38merge_sort_block_merge_config_selectorIjN6thrust23THRUST_200600_302600_NS5tupleIffNS6_9null_typeES8_S8_S8_S8_S8_S8_S8_EEEEZZNS1_27merge_sort_block_merge_implIS3_NS6_6detail15normal_iteratorINS6_10device_ptrIjEEEENSD_INSE_IS9_EEEEjNS1_19radix_merge_compareILb0ELb1EjNS0_19identity_decomposerEEEEE10hipError_tT0_T1_T2_jT3_P12ihipStream_tbPNSt15iterator_traitsISN_E10value_typeEPNST_ISO_E10value_typeEPSP_NS1_7vsmem_tEENKUlT_SN_SO_SP_E_clISG_PjSI_PS9_EESM_S12_SN_SO_SP_EUlS12_E1_NS1_11comp_targetILNS1_3genE3ELNS1_11target_archE908ELNS1_3gpuE7ELNS1_3repE0EEENS1_36merge_oddeven_config_static_selectorELNS0_4arch9wavefront6targetE0EEEvSO_
	.globl	_ZN7rocprim17ROCPRIM_400000_NS6detail17trampoline_kernelINS0_14default_configENS1_38merge_sort_block_merge_config_selectorIjN6thrust23THRUST_200600_302600_NS5tupleIffNS6_9null_typeES8_S8_S8_S8_S8_S8_S8_EEEEZZNS1_27merge_sort_block_merge_implIS3_NS6_6detail15normal_iteratorINS6_10device_ptrIjEEEENSD_INSE_IS9_EEEEjNS1_19radix_merge_compareILb0ELb1EjNS0_19identity_decomposerEEEEE10hipError_tT0_T1_T2_jT3_P12ihipStream_tbPNSt15iterator_traitsISN_E10value_typeEPNST_ISO_E10value_typeEPSP_NS1_7vsmem_tEENKUlT_SN_SO_SP_E_clISG_PjSI_PS9_EESM_S12_SN_SO_SP_EUlS12_E1_NS1_11comp_targetILNS1_3genE3ELNS1_11target_archE908ELNS1_3gpuE7ELNS1_3repE0EEENS1_36merge_oddeven_config_static_selectorELNS0_4arch9wavefront6targetE0EEEvSO_
	.p2align	8
	.type	_ZN7rocprim17ROCPRIM_400000_NS6detail17trampoline_kernelINS0_14default_configENS1_38merge_sort_block_merge_config_selectorIjN6thrust23THRUST_200600_302600_NS5tupleIffNS6_9null_typeES8_S8_S8_S8_S8_S8_S8_EEEEZZNS1_27merge_sort_block_merge_implIS3_NS6_6detail15normal_iteratorINS6_10device_ptrIjEEEENSD_INSE_IS9_EEEEjNS1_19radix_merge_compareILb0ELb1EjNS0_19identity_decomposerEEEEE10hipError_tT0_T1_T2_jT3_P12ihipStream_tbPNSt15iterator_traitsISN_E10value_typeEPNST_ISO_E10value_typeEPSP_NS1_7vsmem_tEENKUlT_SN_SO_SP_E_clISG_PjSI_PS9_EESM_S12_SN_SO_SP_EUlS12_E1_NS1_11comp_targetILNS1_3genE3ELNS1_11target_archE908ELNS1_3gpuE7ELNS1_3repE0EEENS1_36merge_oddeven_config_static_selectorELNS0_4arch9wavefront6targetE0EEEvSO_,@function
_ZN7rocprim17ROCPRIM_400000_NS6detail17trampoline_kernelINS0_14default_configENS1_38merge_sort_block_merge_config_selectorIjN6thrust23THRUST_200600_302600_NS5tupleIffNS6_9null_typeES8_S8_S8_S8_S8_S8_S8_EEEEZZNS1_27merge_sort_block_merge_implIS3_NS6_6detail15normal_iteratorINS6_10device_ptrIjEEEENSD_INSE_IS9_EEEEjNS1_19radix_merge_compareILb0ELb1EjNS0_19identity_decomposerEEEEE10hipError_tT0_T1_T2_jT3_P12ihipStream_tbPNSt15iterator_traitsISN_E10value_typeEPNST_ISO_E10value_typeEPSP_NS1_7vsmem_tEENKUlT_SN_SO_SP_E_clISG_PjSI_PS9_EESM_S12_SN_SO_SP_EUlS12_E1_NS1_11comp_targetILNS1_3genE3ELNS1_11target_archE908ELNS1_3gpuE7ELNS1_3repE0EEENS1_36merge_oddeven_config_static_selectorELNS0_4arch9wavefront6targetE0EEEvSO_: ; @_ZN7rocprim17ROCPRIM_400000_NS6detail17trampoline_kernelINS0_14default_configENS1_38merge_sort_block_merge_config_selectorIjN6thrust23THRUST_200600_302600_NS5tupleIffNS6_9null_typeES8_S8_S8_S8_S8_S8_S8_EEEEZZNS1_27merge_sort_block_merge_implIS3_NS6_6detail15normal_iteratorINS6_10device_ptrIjEEEENSD_INSE_IS9_EEEEjNS1_19radix_merge_compareILb0ELb1EjNS0_19identity_decomposerEEEEE10hipError_tT0_T1_T2_jT3_P12ihipStream_tbPNSt15iterator_traitsISN_E10value_typeEPNST_ISO_E10value_typeEPSP_NS1_7vsmem_tEENKUlT_SN_SO_SP_E_clISG_PjSI_PS9_EESM_S12_SN_SO_SP_EUlS12_E1_NS1_11comp_targetILNS1_3genE3ELNS1_11target_archE908ELNS1_3gpuE7ELNS1_3repE0EEENS1_36merge_oddeven_config_static_selectorELNS0_4arch9wavefront6targetE0EEEvSO_
; %bb.0:
	.section	.rodata,"a",@progbits
	.p2align	6, 0x0
	.amdhsa_kernel _ZN7rocprim17ROCPRIM_400000_NS6detail17trampoline_kernelINS0_14default_configENS1_38merge_sort_block_merge_config_selectorIjN6thrust23THRUST_200600_302600_NS5tupleIffNS6_9null_typeES8_S8_S8_S8_S8_S8_S8_EEEEZZNS1_27merge_sort_block_merge_implIS3_NS6_6detail15normal_iteratorINS6_10device_ptrIjEEEENSD_INSE_IS9_EEEEjNS1_19radix_merge_compareILb0ELb1EjNS0_19identity_decomposerEEEEE10hipError_tT0_T1_T2_jT3_P12ihipStream_tbPNSt15iterator_traitsISN_E10value_typeEPNST_ISO_E10value_typeEPSP_NS1_7vsmem_tEENKUlT_SN_SO_SP_E_clISG_PjSI_PS9_EESM_S12_SN_SO_SP_EUlS12_E1_NS1_11comp_targetILNS1_3genE3ELNS1_11target_archE908ELNS1_3gpuE7ELNS1_3repE0EEENS1_36merge_oddeven_config_static_selectorELNS0_4arch9wavefront6targetE0EEEvSO_
		.amdhsa_group_segment_fixed_size 0
		.amdhsa_private_segment_fixed_size 0
		.amdhsa_kernarg_size 48
		.amdhsa_user_sgpr_count 2
		.amdhsa_user_sgpr_dispatch_ptr 0
		.amdhsa_user_sgpr_queue_ptr 0
		.amdhsa_user_sgpr_kernarg_segment_ptr 1
		.amdhsa_user_sgpr_dispatch_id 0
		.amdhsa_user_sgpr_private_segment_size 0
		.amdhsa_wavefront_size32 1
		.amdhsa_uses_dynamic_stack 0
		.amdhsa_enable_private_segment 0
		.amdhsa_system_sgpr_workgroup_id_x 1
		.amdhsa_system_sgpr_workgroup_id_y 0
		.amdhsa_system_sgpr_workgroup_id_z 0
		.amdhsa_system_sgpr_workgroup_info 0
		.amdhsa_system_vgpr_workitem_id 0
		.amdhsa_next_free_vgpr 1
		.amdhsa_next_free_sgpr 1
		.amdhsa_reserve_vcc 0
		.amdhsa_float_round_mode_32 0
		.amdhsa_float_round_mode_16_64 0
		.amdhsa_float_denorm_mode_32 3
		.amdhsa_float_denorm_mode_16_64 3
		.amdhsa_fp16_overflow 0
		.amdhsa_workgroup_processor_mode 1
		.amdhsa_memory_ordered 1
		.amdhsa_forward_progress 1
		.amdhsa_inst_pref_size 0
		.amdhsa_round_robin_scheduling 0
		.amdhsa_exception_fp_ieee_invalid_op 0
		.amdhsa_exception_fp_denorm_src 0
		.amdhsa_exception_fp_ieee_div_zero 0
		.amdhsa_exception_fp_ieee_overflow 0
		.amdhsa_exception_fp_ieee_underflow 0
		.amdhsa_exception_fp_ieee_inexact 0
		.amdhsa_exception_int_div_zero 0
	.end_amdhsa_kernel
	.section	.text._ZN7rocprim17ROCPRIM_400000_NS6detail17trampoline_kernelINS0_14default_configENS1_38merge_sort_block_merge_config_selectorIjN6thrust23THRUST_200600_302600_NS5tupleIffNS6_9null_typeES8_S8_S8_S8_S8_S8_S8_EEEEZZNS1_27merge_sort_block_merge_implIS3_NS6_6detail15normal_iteratorINS6_10device_ptrIjEEEENSD_INSE_IS9_EEEEjNS1_19radix_merge_compareILb0ELb1EjNS0_19identity_decomposerEEEEE10hipError_tT0_T1_T2_jT3_P12ihipStream_tbPNSt15iterator_traitsISN_E10value_typeEPNST_ISO_E10value_typeEPSP_NS1_7vsmem_tEENKUlT_SN_SO_SP_E_clISG_PjSI_PS9_EESM_S12_SN_SO_SP_EUlS12_E1_NS1_11comp_targetILNS1_3genE3ELNS1_11target_archE908ELNS1_3gpuE7ELNS1_3repE0EEENS1_36merge_oddeven_config_static_selectorELNS0_4arch9wavefront6targetE0EEEvSO_,"axG",@progbits,_ZN7rocprim17ROCPRIM_400000_NS6detail17trampoline_kernelINS0_14default_configENS1_38merge_sort_block_merge_config_selectorIjN6thrust23THRUST_200600_302600_NS5tupleIffNS6_9null_typeES8_S8_S8_S8_S8_S8_S8_EEEEZZNS1_27merge_sort_block_merge_implIS3_NS6_6detail15normal_iteratorINS6_10device_ptrIjEEEENSD_INSE_IS9_EEEEjNS1_19radix_merge_compareILb0ELb1EjNS0_19identity_decomposerEEEEE10hipError_tT0_T1_T2_jT3_P12ihipStream_tbPNSt15iterator_traitsISN_E10value_typeEPNST_ISO_E10value_typeEPSP_NS1_7vsmem_tEENKUlT_SN_SO_SP_E_clISG_PjSI_PS9_EESM_S12_SN_SO_SP_EUlS12_E1_NS1_11comp_targetILNS1_3genE3ELNS1_11target_archE908ELNS1_3gpuE7ELNS1_3repE0EEENS1_36merge_oddeven_config_static_selectorELNS0_4arch9wavefront6targetE0EEEvSO_,comdat
.Lfunc_end135:
	.size	_ZN7rocprim17ROCPRIM_400000_NS6detail17trampoline_kernelINS0_14default_configENS1_38merge_sort_block_merge_config_selectorIjN6thrust23THRUST_200600_302600_NS5tupleIffNS6_9null_typeES8_S8_S8_S8_S8_S8_S8_EEEEZZNS1_27merge_sort_block_merge_implIS3_NS6_6detail15normal_iteratorINS6_10device_ptrIjEEEENSD_INSE_IS9_EEEEjNS1_19radix_merge_compareILb0ELb1EjNS0_19identity_decomposerEEEEE10hipError_tT0_T1_T2_jT3_P12ihipStream_tbPNSt15iterator_traitsISN_E10value_typeEPNST_ISO_E10value_typeEPSP_NS1_7vsmem_tEENKUlT_SN_SO_SP_E_clISG_PjSI_PS9_EESM_S12_SN_SO_SP_EUlS12_E1_NS1_11comp_targetILNS1_3genE3ELNS1_11target_archE908ELNS1_3gpuE7ELNS1_3repE0EEENS1_36merge_oddeven_config_static_selectorELNS0_4arch9wavefront6targetE0EEEvSO_, .Lfunc_end135-_ZN7rocprim17ROCPRIM_400000_NS6detail17trampoline_kernelINS0_14default_configENS1_38merge_sort_block_merge_config_selectorIjN6thrust23THRUST_200600_302600_NS5tupleIffNS6_9null_typeES8_S8_S8_S8_S8_S8_S8_EEEEZZNS1_27merge_sort_block_merge_implIS3_NS6_6detail15normal_iteratorINS6_10device_ptrIjEEEENSD_INSE_IS9_EEEEjNS1_19radix_merge_compareILb0ELb1EjNS0_19identity_decomposerEEEEE10hipError_tT0_T1_T2_jT3_P12ihipStream_tbPNSt15iterator_traitsISN_E10value_typeEPNST_ISO_E10value_typeEPSP_NS1_7vsmem_tEENKUlT_SN_SO_SP_E_clISG_PjSI_PS9_EESM_S12_SN_SO_SP_EUlS12_E1_NS1_11comp_targetILNS1_3genE3ELNS1_11target_archE908ELNS1_3gpuE7ELNS1_3repE0EEENS1_36merge_oddeven_config_static_selectorELNS0_4arch9wavefront6targetE0EEEvSO_
                                        ; -- End function
	.set _ZN7rocprim17ROCPRIM_400000_NS6detail17trampoline_kernelINS0_14default_configENS1_38merge_sort_block_merge_config_selectorIjN6thrust23THRUST_200600_302600_NS5tupleIffNS6_9null_typeES8_S8_S8_S8_S8_S8_S8_EEEEZZNS1_27merge_sort_block_merge_implIS3_NS6_6detail15normal_iteratorINS6_10device_ptrIjEEEENSD_INSE_IS9_EEEEjNS1_19radix_merge_compareILb0ELb1EjNS0_19identity_decomposerEEEEE10hipError_tT0_T1_T2_jT3_P12ihipStream_tbPNSt15iterator_traitsISN_E10value_typeEPNST_ISO_E10value_typeEPSP_NS1_7vsmem_tEENKUlT_SN_SO_SP_E_clISG_PjSI_PS9_EESM_S12_SN_SO_SP_EUlS12_E1_NS1_11comp_targetILNS1_3genE3ELNS1_11target_archE908ELNS1_3gpuE7ELNS1_3repE0EEENS1_36merge_oddeven_config_static_selectorELNS0_4arch9wavefront6targetE0EEEvSO_.num_vgpr, 0
	.set _ZN7rocprim17ROCPRIM_400000_NS6detail17trampoline_kernelINS0_14default_configENS1_38merge_sort_block_merge_config_selectorIjN6thrust23THRUST_200600_302600_NS5tupleIffNS6_9null_typeES8_S8_S8_S8_S8_S8_S8_EEEEZZNS1_27merge_sort_block_merge_implIS3_NS6_6detail15normal_iteratorINS6_10device_ptrIjEEEENSD_INSE_IS9_EEEEjNS1_19radix_merge_compareILb0ELb1EjNS0_19identity_decomposerEEEEE10hipError_tT0_T1_T2_jT3_P12ihipStream_tbPNSt15iterator_traitsISN_E10value_typeEPNST_ISO_E10value_typeEPSP_NS1_7vsmem_tEENKUlT_SN_SO_SP_E_clISG_PjSI_PS9_EESM_S12_SN_SO_SP_EUlS12_E1_NS1_11comp_targetILNS1_3genE3ELNS1_11target_archE908ELNS1_3gpuE7ELNS1_3repE0EEENS1_36merge_oddeven_config_static_selectorELNS0_4arch9wavefront6targetE0EEEvSO_.num_agpr, 0
	.set _ZN7rocprim17ROCPRIM_400000_NS6detail17trampoline_kernelINS0_14default_configENS1_38merge_sort_block_merge_config_selectorIjN6thrust23THRUST_200600_302600_NS5tupleIffNS6_9null_typeES8_S8_S8_S8_S8_S8_S8_EEEEZZNS1_27merge_sort_block_merge_implIS3_NS6_6detail15normal_iteratorINS6_10device_ptrIjEEEENSD_INSE_IS9_EEEEjNS1_19radix_merge_compareILb0ELb1EjNS0_19identity_decomposerEEEEE10hipError_tT0_T1_T2_jT3_P12ihipStream_tbPNSt15iterator_traitsISN_E10value_typeEPNST_ISO_E10value_typeEPSP_NS1_7vsmem_tEENKUlT_SN_SO_SP_E_clISG_PjSI_PS9_EESM_S12_SN_SO_SP_EUlS12_E1_NS1_11comp_targetILNS1_3genE3ELNS1_11target_archE908ELNS1_3gpuE7ELNS1_3repE0EEENS1_36merge_oddeven_config_static_selectorELNS0_4arch9wavefront6targetE0EEEvSO_.numbered_sgpr, 0
	.set _ZN7rocprim17ROCPRIM_400000_NS6detail17trampoline_kernelINS0_14default_configENS1_38merge_sort_block_merge_config_selectorIjN6thrust23THRUST_200600_302600_NS5tupleIffNS6_9null_typeES8_S8_S8_S8_S8_S8_S8_EEEEZZNS1_27merge_sort_block_merge_implIS3_NS6_6detail15normal_iteratorINS6_10device_ptrIjEEEENSD_INSE_IS9_EEEEjNS1_19radix_merge_compareILb0ELb1EjNS0_19identity_decomposerEEEEE10hipError_tT0_T1_T2_jT3_P12ihipStream_tbPNSt15iterator_traitsISN_E10value_typeEPNST_ISO_E10value_typeEPSP_NS1_7vsmem_tEENKUlT_SN_SO_SP_E_clISG_PjSI_PS9_EESM_S12_SN_SO_SP_EUlS12_E1_NS1_11comp_targetILNS1_3genE3ELNS1_11target_archE908ELNS1_3gpuE7ELNS1_3repE0EEENS1_36merge_oddeven_config_static_selectorELNS0_4arch9wavefront6targetE0EEEvSO_.num_named_barrier, 0
	.set _ZN7rocprim17ROCPRIM_400000_NS6detail17trampoline_kernelINS0_14default_configENS1_38merge_sort_block_merge_config_selectorIjN6thrust23THRUST_200600_302600_NS5tupleIffNS6_9null_typeES8_S8_S8_S8_S8_S8_S8_EEEEZZNS1_27merge_sort_block_merge_implIS3_NS6_6detail15normal_iteratorINS6_10device_ptrIjEEEENSD_INSE_IS9_EEEEjNS1_19radix_merge_compareILb0ELb1EjNS0_19identity_decomposerEEEEE10hipError_tT0_T1_T2_jT3_P12ihipStream_tbPNSt15iterator_traitsISN_E10value_typeEPNST_ISO_E10value_typeEPSP_NS1_7vsmem_tEENKUlT_SN_SO_SP_E_clISG_PjSI_PS9_EESM_S12_SN_SO_SP_EUlS12_E1_NS1_11comp_targetILNS1_3genE3ELNS1_11target_archE908ELNS1_3gpuE7ELNS1_3repE0EEENS1_36merge_oddeven_config_static_selectorELNS0_4arch9wavefront6targetE0EEEvSO_.private_seg_size, 0
	.set _ZN7rocprim17ROCPRIM_400000_NS6detail17trampoline_kernelINS0_14default_configENS1_38merge_sort_block_merge_config_selectorIjN6thrust23THRUST_200600_302600_NS5tupleIffNS6_9null_typeES8_S8_S8_S8_S8_S8_S8_EEEEZZNS1_27merge_sort_block_merge_implIS3_NS6_6detail15normal_iteratorINS6_10device_ptrIjEEEENSD_INSE_IS9_EEEEjNS1_19radix_merge_compareILb0ELb1EjNS0_19identity_decomposerEEEEE10hipError_tT0_T1_T2_jT3_P12ihipStream_tbPNSt15iterator_traitsISN_E10value_typeEPNST_ISO_E10value_typeEPSP_NS1_7vsmem_tEENKUlT_SN_SO_SP_E_clISG_PjSI_PS9_EESM_S12_SN_SO_SP_EUlS12_E1_NS1_11comp_targetILNS1_3genE3ELNS1_11target_archE908ELNS1_3gpuE7ELNS1_3repE0EEENS1_36merge_oddeven_config_static_selectorELNS0_4arch9wavefront6targetE0EEEvSO_.uses_vcc, 0
	.set _ZN7rocprim17ROCPRIM_400000_NS6detail17trampoline_kernelINS0_14default_configENS1_38merge_sort_block_merge_config_selectorIjN6thrust23THRUST_200600_302600_NS5tupleIffNS6_9null_typeES8_S8_S8_S8_S8_S8_S8_EEEEZZNS1_27merge_sort_block_merge_implIS3_NS6_6detail15normal_iteratorINS6_10device_ptrIjEEEENSD_INSE_IS9_EEEEjNS1_19radix_merge_compareILb0ELb1EjNS0_19identity_decomposerEEEEE10hipError_tT0_T1_T2_jT3_P12ihipStream_tbPNSt15iterator_traitsISN_E10value_typeEPNST_ISO_E10value_typeEPSP_NS1_7vsmem_tEENKUlT_SN_SO_SP_E_clISG_PjSI_PS9_EESM_S12_SN_SO_SP_EUlS12_E1_NS1_11comp_targetILNS1_3genE3ELNS1_11target_archE908ELNS1_3gpuE7ELNS1_3repE0EEENS1_36merge_oddeven_config_static_selectorELNS0_4arch9wavefront6targetE0EEEvSO_.uses_flat_scratch, 0
	.set _ZN7rocprim17ROCPRIM_400000_NS6detail17trampoline_kernelINS0_14default_configENS1_38merge_sort_block_merge_config_selectorIjN6thrust23THRUST_200600_302600_NS5tupleIffNS6_9null_typeES8_S8_S8_S8_S8_S8_S8_EEEEZZNS1_27merge_sort_block_merge_implIS3_NS6_6detail15normal_iteratorINS6_10device_ptrIjEEEENSD_INSE_IS9_EEEEjNS1_19radix_merge_compareILb0ELb1EjNS0_19identity_decomposerEEEEE10hipError_tT0_T1_T2_jT3_P12ihipStream_tbPNSt15iterator_traitsISN_E10value_typeEPNST_ISO_E10value_typeEPSP_NS1_7vsmem_tEENKUlT_SN_SO_SP_E_clISG_PjSI_PS9_EESM_S12_SN_SO_SP_EUlS12_E1_NS1_11comp_targetILNS1_3genE3ELNS1_11target_archE908ELNS1_3gpuE7ELNS1_3repE0EEENS1_36merge_oddeven_config_static_selectorELNS0_4arch9wavefront6targetE0EEEvSO_.has_dyn_sized_stack, 0
	.set _ZN7rocprim17ROCPRIM_400000_NS6detail17trampoline_kernelINS0_14default_configENS1_38merge_sort_block_merge_config_selectorIjN6thrust23THRUST_200600_302600_NS5tupleIffNS6_9null_typeES8_S8_S8_S8_S8_S8_S8_EEEEZZNS1_27merge_sort_block_merge_implIS3_NS6_6detail15normal_iteratorINS6_10device_ptrIjEEEENSD_INSE_IS9_EEEEjNS1_19radix_merge_compareILb0ELb1EjNS0_19identity_decomposerEEEEE10hipError_tT0_T1_T2_jT3_P12ihipStream_tbPNSt15iterator_traitsISN_E10value_typeEPNST_ISO_E10value_typeEPSP_NS1_7vsmem_tEENKUlT_SN_SO_SP_E_clISG_PjSI_PS9_EESM_S12_SN_SO_SP_EUlS12_E1_NS1_11comp_targetILNS1_3genE3ELNS1_11target_archE908ELNS1_3gpuE7ELNS1_3repE0EEENS1_36merge_oddeven_config_static_selectorELNS0_4arch9wavefront6targetE0EEEvSO_.has_recursion, 0
	.set _ZN7rocprim17ROCPRIM_400000_NS6detail17trampoline_kernelINS0_14default_configENS1_38merge_sort_block_merge_config_selectorIjN6thrust23THRUST_200600_302600_NS5tupleIffNS6_9null_typeES8_S8_S8_S8_S8_S8_S8_EEEEZZNS1_27merge_sort_block_merge_implIS3_NS6_6detail15normal_iteratorINS6_10device_ptrIjEEEENSD_INSE_IS9_EEEEjNS1_19radix_merge_compareILb0ELb1EjNS0_19identity_decomposerEEEEE10hipError_tT0_T1_T2_jT3_P12ihipStream_tbPNSt15iterator_traitsISN_E10value_typeEPNST_ISO_E10value_typeEPSP_NS1_7vsmem_tEENKUlT_SN_SO_SP_E_clISG_PjSI_PS9_EESM_S12_SN_SO_SP_EUlS12_E1_NS1_11comp_targetILNS1_3genE3ELNS1_11target_archE908ELNS1_3gpuE7ELNS1_3repE0EEENS1_36merge_oddeven_config_static_selectorELNS0_4arch9wavefront6targetE0EEEvSO_.has_indirect_call, 0
	.section	.AMDGPU.csdata,"",@progbits
; Kernel info:
; codeLenInByte = 0
; TotalNumSgprs: 0
; NumVgprs: 0
; ScratchSize: 0
; MemoryBound: 0
; FloatMode: 240
; IeeeMode: 1
; LDSByteSize: 0 bytes/workgroup (compile time only)
; SGPRBlocks: 0
; VGPRBlocks: 0
; NumSGPRsForWavesPerEU: 1
; NumVGPRsForWavesPerEU: 1
; Occupancy: 16
; WaveLimiterHint : 0
; COMPUTE_PGM_RSRC2:SCRATCH_EN: 0
; COMPUTE_PGM_RSRC2:USER_SGPR: 2
; COMPUTE_PGM_RSRC2:TRAP_HANDLER: 0
; COMPUTE_PGM_RSRC2:TGID_X_EN: 1
; COMPUTE_PGM_RSRC2:TGID_Y_EN: 0
; COMPUTE_PGM_RSRC2:TGID_Z_EN: 0
; COMPUTE_PGM_RSRC2:TIDIG_COMP_CNT: 0
	.section	.text._ZN7rocprim17ROCPRIM_400000_NS6detail17trampoline_kernelINS0_14default_configENS1_38merge_sort_block_merge_config_selectorIjN6thrust23THRUST_200600_302600_NS5tupleIffNS6_9null_typeES8_S8_S8_S8_S8_S8_S8_EEEEZZNS1_27merge_sort_block_merge_implIS3_NS6_6detail15normal_iteratorINS6_10device_ptrIjEEEENSD_INSE_IS9_EEEEjNS1_19radix_merge_compareILb0ELb1EjNS0_19identity_decomposerEEEEE10hipError_tT0_T1_T2_jT3_P12ihipStream_tbPNSt15iterator_traitsISN_E10value_typeEPNST_ISO_E10value_typeEPSP_NS1_7vsmem_tEENKUlT_SN_SO_SP_E_clISG_PjSI_PS9_EESM_S12_SN_SO_SP_EUlS12_E1_NS1_11comp_targetILNS1_3genE2ELNS1_11target_archE906ELNS1_3gpuE6ELNS1_3repE0EEENS1_36merge_oddeven_config_static_selectorELNS0_4arch9wavefront6targetE0EEEvSO_,"axG",@progbits,_ZN7rocprim17ROCPRIM_400000_NS6detail17trampoline_kernelINS0_14default_configENS1_38merge_sort_block_merge_config_selectorIjN6thrust23THRUST_200600_302600_NS5tupleIffNS6_9null_typeES8_S8_S8_S8_S8_S8_S8_EEEEZZNS1_27merge_sort_block_merge_implIS3_NS6_6detail15normal_iteratorINS6_10device_ptrIjEEEENSD_INSE_IS9_EEEEjNS1_19radix_merge_compareILb0ELb1EjNS0_19identity_decomposerEEEEE10hipError_tT0_T1_T2_jT3_P12ihipStream_tbPNSt15iterator_traitsISN_E10value_typeEPNST_ISO_E10value_typeEPSP_NS1_7vsmem_tEENKUlT_SN_SO_SP_E_clISG_PjSI_PS9_EESM_S12_SN_SO_SP_EUlS12_E1_NS1_11comp_targetILNS1_3genE2ELNS1_11target_archE906ELNS1_3gpuE6ELNS1_3repE0EEENS1_36merge_oddeven_config_static_selectorELNS0_4arch9wavefront6targetE0EEEvSO_,comdat
	.protected	_ZN7rocprim17ROCPRIM_400000_NS6detail17trampoline_kernelINS0_14default_configENS1_38merge_sort_block_merge_config_selectorIjN6thrust23THRUST_200600_302600_NS5tupleIffNS6_9null_typeES8_S8_S8_S8_S8_S8_S8_EEEEZZNS1_27merge_sort_block_merge_implIS3_NS6_6detail15normal_iteratorINS6_10device_ptrIjEEEENSD_INSE_IS9_EEEEjNS1_19radix_merge_compareILb0ELb1EjNS0_19identity_decomposerEEEEE10hipError_tT0_T1_T2_jT3_P12ihipStream_tbPNSt15iterator_traitsISN_E10value_typeEPNST_ISO_E10value_typeEPSP_NS1_7vsmem_tEENKUlT_SN_SO_SP_E_clISG_PjSI_PS9_EESM_S12_SN_SO_SP_EUlS12_E1_NS1_11comp_targetILNS1_3genE2ELNS1_11target_archE906ELNS1_3gpuE6ELNS1_3repE0EEENS1_36merge_oddeven_config_static_selectorELNS0_4arch9wavefront6targetE0EEEvSO_ ; -- Begin function _ZN7rocprim17ROCPRIM_400000_NS6detail17trampoline_kernelINS0_14default_configENS1_38merge_sort_block_merge_config_selectorIjN6thrust23THRUST_200600_302600_NS5tupleIffNS6_9null_typeES8_S8_S8_S8_S8_S8_S8_EEEEZZNS1_27merge_sort_block_merge_implIS3_NS6_6detail15normal_iteratorINS6_10device_ptrIjEEEENSD_INSE_IS9_EEEEjNS1_19radix_merge_compareILb0ELb1EjNS0_19identity_decomposerEEEEE10hipError_tT0_T1_T2_jT3_P12ihipStream_tbPNSt15iterator_traitsISN_E10value_typeEPNST_ISO_E10value_typeEPSP_NS1_7vsmem_tEENKUlT_SN_SO_SP_E_clISG_PjSI_PS9_EESM_S12_SN_SO_SP_EUlS12_E1_NS1_11comp_targetILNS1_3genE2ELNS1_11target_archE906ELNS1_3gpuE6ELNS1_3repE0EEENS1_36merge_oddeven_config_static_selectorELNS0_4arch9wavefront6targetE0EEEvSO_
	.globl	_ZN7rocprim17ROCPRIM_400000_NS6detail17trampoline_kernelINS0_14default_configENS1_38merge_sort_block_merge_config_selectorIjN6thrust23THRUST_200600_302600_NS5tupleIffNS6_9null_typeES8_S8_S8_S8_S8_S8_S8_EEEEZZNS1_27merge_sort_block_merge_implIS3_NS6_6detail15normal_iteratorINS6_10device_ptrIjEEEENSD_INSE_IS9_EEEEjNS1_19radix_merge_compareILb0ELb1EjNS0_19identity_decomposerEEEEE10hipError_tT0_T1_T2_jT3_P12ihipStream_tbPNSt15iterator_traitsISN_E10value_typeEPNST_ISO_E10value_typeEPSP_NS1_7vsmem_tEENKUlT_SN_SO_SP_E_clISG_PjSI_PS9_EESM_S12_SN_SO_SP_EUlS12_E1_NS1_11comp_targetILNS1_3genE2ELNS1_11target_archE906ELNS1_3gpuE6ELNS1_3repE0EEENS1_36merge_oddeven_config_static_selectorELNS0_4arch9wavefront6targetE0EEEvSO_
	.p2align	8
	.type	_ZN7rocprim17ROCPRIM_400000_NS6detail17trampoline_kernelINS0_14default_configENS1_38merge_sort_block_merge_config_selectorIjN6thrust23THRUST_200600_302600_NS5tupleIffNS6_9null_typeES8_S8_S8_S8_S8_S8_S8_EEEEZZNS1_27merge_sort_block_merge_implIS3_NS6_6detail15normal_iteratorINS6_10device_ptrIjEEEENSD_INSE_IS9_EEEEjNS1_19radix_merge_compareILb0ELb1EjNS0_19identity_decomposerEEEEE10hipError_tT0_T1_T2_jT3_P12ihipStream_tbPNSt15iterator_traitsISN_E10value_typeEPNST_ISO_E10value_typeEPSP_NS1_7vsmem_tEENKUlT_SN_SO_SP_E_clISG_PjSI_PS9_EESM_S12_SN_SO_SP_EUlS12_E1_NS1_11comp_targetILNS1_3genE2ELNS1_11target_archE906ELNS1_3gpuE6ELNS1_3repE0EEENS1_36merge_oddeven_config_static_selectorELNS0_4arch9wavefront6targetE0EEEvSO_,@function
_ZN7rocprim17ROCPRIM_400000_NS6detail17trampoline_kernelINS0_14default_configENS1_38merge_sort_block_merge_config_selectorIjN6thrust23THRUST_200600_302600_NS5tupleIffNS6_9null_typeES8_S8_S8_S8_S8_S8_S8_EEEEZZNS1_27merge_sort_block_merge_implIS3_NS6_6detail15normal_iteratorINS6_10device_ptrIjEEEENSD_INSE_IS9_EEEEjNS1_19radix_merge_compareILb0ELb1EjNS0_19identity_decomposerEEEEE10hipError_tT0_T1_T2_jT3_P12ihipStream_tbPNSt15iterator_traitsISN_E10value_typeEPNST_ISO_E10value_typeEPSP_NS1_7vsmem_tEENKUlT_SN_SO_SP_E_clISG_PjSI_PS9_EESM_S12_SN_SO_SP_EUlS12_E1_NS1_11comp_targetILNS1_3genE2ELNS1_11target_archE906ELNS1_3gpuE6ELNS1_3repE0EEENS1_36merge_oddeven_config_static_selectorELNS0_4arch9wavefront6targetE0EEEvSO_: ; @_ZN7rocprim17ROCPRIM_400000_NS6detail17trampoline_kernelINS0_14default_configENS1_38merge_sort_block_merge_config_selectorIjN6thrust23THRUST_200600_302600_NS5tupleIffNS6_9null_typeES8_S8_S8_S8_S8_S8_S8_EEEEZZNS1_27merge_sort_block_merge_implIS3_NS6_6detail15normal_iteratorINS6_10device_ptrIjEEEENSD_INSE_IS9_EEEEjNS1_19radix_merge_compareILb0ELb1EjNS0_19identity_decomposerEEEEE10hipError_tT0_T1_T2_jT3_P12ihipStream_tbPNSt15iterator_traitsISN_E10value_typeEPNST_ISO_E10value_typeEPSP_NS1_7vsmem_tEENKUlT_SN_SO_SP_E_clISG_PjSI_PS9_EESM_S12_SN_SO_SP_EUlS12_E1_NS1_11comp_targetILNS1_3genE2ELNS1_11target_archE906ELNS1_3gpuE6ELNS1_3repE0EEENS1_36merge_oddeven_config_static_selectorELNS0_4arch9wavefront6targetE0EEEvSO_
; %bb.0:
	.section	.rodata,"a",@progbits
	.p2align	6, 0x0
	.amdhsa_kernel _ZN7rocprim17ROCPRIM_400000_NS6detail17trampoline_kernelINS0_14default_configENS1_38merge_sort_block_merge_config_selectorIjN6thrust23THRUST_200600_302600_NS5tupleIffNS6_9null_typeES8_S8_S8_S8_S8_S8_S8_EEEEZZNS1_27merge_sort_block_merge_implIS3_NS6_6detail15normal_iteratorINS6_10device_ptrIjEEEENSD_INSE_IS9_EEEEjNS1_19radix_merge_compareILb0ELb1EjNS0_19identity_decomposerEEEEE10hipError_tT0_T1_T2_jT3_P12ihipStream_tbPNSt15iterator_traitsISN_E10value_typeEPNST_ISO_E10value_typeEPSP_NS1_7vsmem_tEENKUlT_SN_SO_SP_E_clISG_PjSI_PS9_EESM_S12_SN_SO_SP_EUlS12_E1_NS1_11comp_targetILNS1_3genE2ELNS1_11target_archE906ELNS1_3gpuE6ELNS1_3repE0EEENS1_36merge_oddeven_config_static_selectorELNS0_4arch9wavefront6targetE0EEEvSO_
		.amdhsa_group_segment_fixed_size 0
		.amdhsa_private_segment_fixed_size 0
		.amdhsa_kernarg_size 48
		.amdhsa_user_sgpr_count 2
		.amdhsa_user_sgpr_dispatch_ptr 0
		.amdhsa_user_sgpr_queue_ptr 0
		.amdhsa_user_sgpr_kernarg_segment_ptr 1
		.amdhsa_user_sgpr_dispatch_id 0
		.amdhsa_user_sgpr_private_segment_size 0
		.amdhsa_wavefront_size32 1
		.amdhsa_uses_dynamic_stack 0
		.amdhsa_enable_private_segment 0
		.amdhsa_system_sgpr_workgroup_id_x 1
		.amdhsa_system_sgpr_workgroup_id_y 0
		.amdhsa_system_sgpr_workgroup_id_z 0
		.amdhsa_system_sgpr_workgroup_info 0
		.amdhsa_system_vgpr_workitem_id 0
		.amdhsa_next_free_vgpr 1
		.amdhsa_next_free_sgpr 1
		.amdhsa_reserve_vcc 0
		.amdhsa_float_round_mode_32 0
		.amdhsa_float_round_mode_16_64 0
		.amdhsa_float_denorm_mode_32 3
		.amdhsa_float_denorm_mode_16_64 3
		.amdhsa_fp16_overflow 0
		.amdhsa_workgroup_processor_mode 1
		.amdhsa_memory_ordered 1
		.amdhsa_forward_progress 1
		.amdhsa_inst_pref_size 0
		.amdhsa_round_robin_scheduling 0
		.amdhsa_exception_fp_ieee_invalid_op 0
		.amdhsa_exception_fp_denorm_src 0
		.amdhsa_exception_fp_ieee_div_zero 0
		.amdhsa_exception_fp_ieee_overflow 0
		.amdhsa_exception_fp_ieee_underflow 0
		.amdhsa_exception_fp_ieee_inexact 0
		.amdhsa_exception_int_div_zero 0
	.end_amdhsa_kernel
	.section	.text._ZN7rocprim17ROCPRIM_400000_NS6detail17trampoline_kernelINS0_14default_configENS1_38merge_sort_block_merge_config_selectorIjN6thrust23THRUST_200600_302600_NS5tupleIffNS6_9null_typeES8_S8_S8_S8_S8_S8_S8_EEEEZZNS1_27merge_sort_block_merge_implIS3_NS6_6detail15normal_iteratorINS6_10device_ptrIjEEEENSD_INSE_IS9_EEEEjNS1_19radix_merge_compareILb0ELb1EjNS0_19identity_decomposerEEEEE10hipError_tT0_T1_T2_jT3_P12ihipStream_tbPNSt15iterator_traitsISN_E10value_typeEPNST_ISO_E10value_typeEPSP_NS1_7vsmem_tEENKUlT_SN_SO_SP_E_clISG_PjSI_PS9_EESM_S12_SN_SO_SP_EUlS12_E1_NS1_11comp_targetILNS1_3genE2ELNS1_11target_archE906ELNS1_3gpuE6ELNS1_3repE0EEENS1_36merge_oddeven_config_static_selectorELNS0_4arch9wavefront6targetE0EEEvSO_,"axG",@progbits,_ZN7rocprim17ROCPRIM_400000_NS6detail17trampoline_kernelINS0_14default_configENS1_38merge_sort_block_merge_config_selectorIjN6thrust23THRUST_200600_302600_NS5tupleIffNS6_9null_typeES8_S8_S8_S8_S8_S8_S8_EEEEZZNS1_27merge_sort_block_merge_implIS3_NS6_6detail15normal_iteratorINS6_10device_ptrIjEEEENSD_INSE_IS9_EEEEjNS1_19radix_merge_compareILb0ELb1EjNS0_19identity_decomposerEEEEE10hipError_tT0_T1_T2_jT3_P12ihipStream_tbPNSt15iterator_traitsISN_E10value_typeEPNST_ISO_E10value_typeEPSP_NS1_7vsmem_tEENKUlT_SN_SO_SP_E_clISG_PjSI_PS9_EESM_S12_SN_SO_SP_EUlS12_E1_NS1_11comp_targetILNS1_3genE2ELNS1_11target_archE906ELNS1_3gpuE6ELNS1_3repE0EEENS1_36merge_oddeven_config_static_selectorELNS0_4arch9wavefront6targetE0EEEvSO_,comdat
.Lfunc_end136:
	.size	_ZN7rocprim17ROCPRIM_400000_NS6detail17trampoline_kernelINS0_14default_configENS1_38merge_sort_block_merge_config_selectorIjN6thrust23THRUST_200600_302600_NS5tupleIffNS6_9null_typeES8_S8_S8_S8_S8_S8_S8_EEEEZZNS1_27merge_sort_block_merge_implIS3_NS6_6detail15normal_iteratorINS6_10device_ptrIjEEEENSD_INSE_IS9_EEEEjNS1_19radix_merge_compareILb0ELb1EjNS0_19identity_decomposerEEEEE10hipError_tT0_T1_T2_jT3_P12ihipStream_tbPNSt15iterator_traitsISN_E10value_typeEPNST_ISO_E10value_typeEPSP_NS1_7vsmem_tEENKUlT_SN_SO_SP_E_clISG_PjSI_PS9_EESM_S12_SN_SO_SP_EUlS12_E1_NS1_11comp_targetILNS1_3genE2ELNS1_11target_archE906ELNS1_3gpuE6ELNS1_3repE0EEENS1_36merge_oddeven_config_static_selectorELNS0_4arch9wavefront6targetE0EEEvSO_, .Lfunc_end136-_ZN7rocprim17ROCPRIM_400000_NS6detail17trampoline_kernelINS0_14default_configENS1_38merge_sort_block_merge_config_selectorIjN6thrust23THRUST_200600_302600_NS5tupleIffNS6_9null_typeES8_S8_S8_S8_S8_S8_S8_EEEEZZNS1_27merge_sort_block_merge_implIS3_NS6_6detail15normal_iteratorINS6_10device_ptrIjEEEENSD_INSE_IS9_EEEEjNS1_19radix_merge_compareILb0ELb1EjNS0_19identity_decomposerEEEEE10hipError_tT0_T1_T2_jT3_P12ihipStream_tbPNSt15iterator_traitsISN_E10value_typeEPNST_ISO_E10value_typeEPSP_NS1_7vsmem_tEENKUlT_SN_SO_SP_E_clISG_PjSI_PS9_EESM_S12_SN_SO_SP_EUlS12_E1_NS1_11comp_targetILNS1_3genE2ELNS1_11target_archE906ELNS1_3gpuE6ELNS1_3repE0EEENS1_36merge_oddeven_config_static_selectorELNS0_4arch9wavefront6targetE0EEEvSO_
                                        ; -- End function
	.set _ZN7rocprim17ROCPRIM_400000_NS6detail17trampoline_kernelINS0_14default_configENS1_38merge_sort_block_merge_config_selectorIjN6thrust23THRUST_200600_302600_NS5tupleIffNS6_9null_typeES8_S8_S8_S8_S8_S8_S8_EEEEZZNS1_27merge_sort_block_merge_implIS3_NS6_6detail15normal_iteratorINS6_10device_ptrIjEEEENSD_INSE_IS9_EEEEjNS1_19radix_merge_compareILb0ELb1EjNS0_19identity_decomposerEEEEE10hipError_tT0_T1_T2_jT3_P12ihipStream_tbPNSt15iterator_traitsISN_E10value_typeEPNST_ISO_E10value_typeEPSP_NS1_7vsmem_tEENKUlT_SN_SO_SP_E_clISG_PjSI_PS9_EESM_S12_SN_SO_SP_EUlS12_E1_NS1_11comp_targetILNS1_3genE2ELNS1_11target_archE906ELNS1_3gpuE6ELNS1_3repE0EEENS1_36merge_oddeven_config_static_selectorELNS0_4arch9wavefront6targetE0EEEvSO_.num_vgpr, 0
	.set _ZN7rocprim17ROCPRIM_400000_NS6detail17trampoline_kernelINS0_14default_configENS1_38merge_sort_block_merge_config_selectorIjN6thrust23THRUST_200600_302600_NS5tupleIffNS6_9null_typeES8_S8_S8_S8_S8_S8_S8_EEEEZZNS1_27merge_sort_block_merge_implIS3_NS6_6detail15normal_iteratorINS6_10device_ptrIjEEEENSD_INSE_IS9_EEEEjNS1_19radix_merge_compareILb0ELb1EjNS0_19identity_decomposerEEEEE10hipError_tT0_T1_T2_jT3_P12ihipStream_tbPNSt15iterator_traitsISN_E10value_typeEPNST_ISO_E10value_typeEPSP_NS1_7vsmem_tEENKUlT_SN_SO_SP_E_clISG_PjSI_PS9_EESM_S12_SN_SO_SP_EUlS12_E1_NS1_11comp_targetILNS1_3genE2ELNS1_11target_archE906ELNS1_3gpuE6ELNS1_3repE0EEENS1_36merge_oddeven_config_static_selectorELNS0_4arch9wavefront6targetE0EEEvSO_.num_agpr, 0
	.set _ZN7rocprim17ROCPRIM_400000_NS6detail17trampoline_kernelINS0_14default_configENS1_38merge_sort_block_merge_config_selectorIjN6thrust23THRUST_200600_302600_NS5tupleIffNS6_9null_typeES8_S8_S8_S8_S8_S8_S8_EEEEZZNS1_27merge_sort_block_merge_implIS3_NS6_6detail15normal_iteratorINS6_10device_ptrIjEEEENSD_INSE_IS9_EEEEjNS1_19radix_merge_compareILb0ELb1EjNS0_19identity_decomposerEEEEE10hipError_tT0_T1_T2_jT3_P12ihipStream_tbPNSt15iterator_traitsISN_E10value_typeEPNST_ISO_E10value_typeEPSP_NS1_7vsmem_tEENKUlT_SN_SO_SP_E_clISG_PjSI_PS9_EESM_S12_SN_SO_SP_EUlS12_E1_NS1_11comp_targetILNS1_3genE2ELNS1_11target_archE906ELNS1_3gpuE6ELNS1_3repE0EEENS1_36merge_oddeven_config_static_selectorELNS0_4arch9wavefront6targetE0EEEvSO_.numbered_sgpr, 0
	.set _ZN7rocprim17ROCPRIM_400000_NS6detail17trampoline_kernelINS0_14default_configENS1_38merge_sort_block_merge_config_selectorIjN6thrust23THRUST_200600_302600_NS5tupleIffNS6_9null_typeES8_S8_S8_S8_S8_S8_S8_EEEEZZNS1_27merge_sort_block_merge_implIS3_NS6_6detail15normal_iteratorINS6_10device_ptrIjEEEENSD_INSE_IS9_EEEEjNS1_19radix_merge_compareILb0ELb1EjNS0_19identity_decomposerEEEEE10hipError_tT0_T1_T2_jT3_P12ihipStream_tbPNSt15iterator_traitsISN_E10value_typeEPNST_ISO_E10value_typeEPSP_NS1_7vsmem_tEENKUlT_SN_SO_SP_E_clISG_PjSI_PS9_EESM_S12_SN_SO_SP_EUlS12_E1_NS1_11comp_targetILNS1_3genE2ELNS1_11target_archE906ELNS1_3gpuE6ELNS1_3repE0EEENS1_36merge_oddeven_config_static_selectorELNS0_4arch9wavefront6targetE0EEEvSO_.num_named_barrier, 0
	.set _ZN7rocprim17ROCPRIM_400000_NS6detail17trampoline_kernelINS0_14default_configENS1_38merge_sort_block_merge_config_selectorIjN6thrust23THRUST_200600_302600_NS5tupleIffNS6_9null_typeES8_S8_S8_S8_S8_S8_S8_EEEEZZNS1_27merge_sort_block_merge_implIS3_NS6_6detail15normal_iteratorINS6_10device_ptrIjEEEENSD_INSE_IS9_EEEEjNS1_19radix_merge_compareILb0ELb1EjNS0_19identity_decomposerEEEEE10hipError_tT0_T1_T2_jT3_P12ihipStream_tbPNSt15iterator_traitsISN_E10value_typeEPNST_ISO_E10value_typeEPSP_NS1_7vsmem_tEENKUlT_SN_SO_SP_E_clISG_PjSI_PS9_EESM_S12_SN_SO_SP_EUlS12_E1_NS1_11comp_targetILNS1_3genE2ELNS1_11target_archE906ELNS1_3gpuE6ELNS1_3repE0EEENS1_36merge_oddeven_config_static_selectorELNS0_4arch9wavefront6targetE0EEEvSO_.private_seg_size, 0
	.set _ZN7rocprim17ROCPRIM_400000_NS6detail17trampoline_kernelINS0_14default_configENS1_38merge_sort_block_merge_config_selectorIjN6thrust23THRUST_200600_302600_NS5tupleIffNS6_9null_typeES8_S8_S8_S8_S8_S8_S8_EEEEZZNS1_27merge_sort_block_merge_implIS3_NS6_6detail15normal_iteratorINS6_10device_ptrIjEEEENSD_INSE_IS9_EEEEjNS1_19radix_merge_compareILb0ELb1EjNS0_19identity_decomposerEEEEE10hipError_tT0_T1_T2_jT3_P12ihipStream_tbPNSt15iterator_traitsISN_E10value_typeEPNST_ISO_E10value_typeEPSP_NS1_7vsmem_tEENKUlT_SN_SO_SP_E_clISG_PjSI_PS9_EESM_S12_SN_SO_SP_EUlS12_E1_NS1_11comp_targetILNS1_3genE2ELNS1_11target_archE906ELNS1_3gpuE6ELNS1_3repE0EEENS1_36merge_oddeven_config_static_selectorELNS0_4arch9wavefront6targetE0EEEvSO_.uses_vcc, 0
	.set _ZN7rocprim17ROCPRIM_400000_NS6detail17trampoline_kernelINS0_14default_configENS1_38merge_sort_block_merge_config_selectorIjN6thrust23THRUST_200600_302600_NS5tupleIffNS6_9null_typeES8_S8_S8_S8_S8_S8_S8_EEEEZZNS1_27merge_sort_block_merge_implIS3_NS6_6detail15normal_iteratorINS6_10device_ptrIjEEEENSD_INSE_IS9_EEEEjNS1_19radix_merge_compareILb0ELb1EjNS0_19identity_decomposerEEEEE10hipError_tT0_T1_T2_jT3_P12ihipStream_tbPNSt15iterator_traitsISN_E10value_typeEPNST_ISO_E10value_typeEPSP_NS1_7vsmem_tEENKUlT_SN_SO_SP_E_clISG_PjSI_PS9_EESM_S12_SN_SO_SP_EUlS12_E1_NS1_11comp_targetILNS1_3genE2ELNS1_11target_archE906ELNS1_3gpuE6ELNS1_3repE0EEENS1_36merge_oddeven_config_static_selectorELNS0_4arch9wavefront6targetE0EEEvSO_.uses_flat_scratch, 0
	.set _ZN7rocprim17ROCPRIM_400000_NS6detail17trampoline_kernelINS0_14default_configENS1_38merge_sort_block_merge_config_selectorIjN6thrust23THRUST_200600_302600_NS5tupleIffNS6_9null_typeES8_S8_S8_S8_S8_S8_S8_EEEEZZNS1_27merge_sort_block_merge_implIS3_NS6_6detail15normal_iteratorINS6_10device_ptrIjEEEENSD_INSE_IS9_EEEEjNS1_19radix_merge_compareILb0ELb1EjNS0_19identity_decomposerEEEEE10hipError_tT0_T1_T2_jT3_P12ihipStream_tbPNSt15iterator_traitsISN_E10value_typeEPNST_ISO_E10value_typeEPSP_NS1_7vsmem_tEENKUlT_SN_SO_SP_E_clISG_PjSI_PS9_EESM_S12_SN_SO_SP_EUlS12_E1_NS1_11comp_targetILNS1_3genE2ELNS1_11target_archE906ELNS1_3gpuE6ELNS1_3repE0EEENS1_36merge_oddeven_config_static_selectorELNS0_4arch9wavefront6targetE0EEEvSO_.has_dyn_sized_stack, 0
	.set _ZN7rocprim17ROCPRIM_400000_NS6detail17trampoline_kernelINS0_14default_configENS1_38merge_sort_block_merge_config_selectorIjN6thrust23THRUST_200600_302600_NS5tupleIffNS6_9null_typeES8_S8_S8_S8_S8_S8_S8_EEEEZZNS1_27merge_sort_block_merge_implIS3_NS6_6detail15normal_iteratorINS6_10device_ptrIjEEEENSD_INSE_IS9_EEEEjNS1_19radix_merge_compareILb0ELb1EjNS0_19identity_decomposerEEEEE10hipError_tT0_T1_T2_jT3_P12ihipStream_tbPNSt15iterator_traitsISN_E10value_typeEPNST_ISO_E10value_typeEPSP_NS1_7vsmem_tEENKUlT_SN_SO_SP_E_clISG_PjSI_PS9_EESM_S12_SN_SO_SP_EUlS12_E1_NS1_11comp_targetILNS1_3genE2ELNS1_11target_archE906ELNS1_3gpuE6ELNS1_3repE0EEENS1_36merge_oddeven_config_static_selectorELNS0_4arch9wavefront6targetE0EEEvSO_.has_recursion, 0
	.set _ZN7rocprim17ROCPRIM_400000_NS6detail17trampoline_kernelINS0_14default_configENS1_38merge_sort_block_merge_config_selectorIjN6thrust23THRUST_200600_302600_NS5tupleIffNS6_9null_typeES8_S8_S8_S8_S8_S8_S8_EEEEZZNS1_27merge_sort_block_merge_implIS3_NS6_6detail15normal_iteratorINS6_10device_ptrIjEEEENSD_INSE_IS9_EEEEjNS1_19radix_merge_compareILb0ELb1EjNS0_19identity_decomposerEEEEE10hipError_tT0_T1_T2_jT3_P12ihipStream_tbPNSt15iterator_traitsISN_E10value_typeEPNST_ISO_E10value_typeEPSP_NS1_7vsmem_tEENKUlT_SN_SO_SP_E_clISG_PjSI_PS9_EESM_S12_SN_SO_SP_EUlS12_E1_NS1_11comp_targetILNS1_3genE2ELNS1_11target_archE906ELNS1_3gpuE6ELNS1_3repE0EEENS1_36merge_oddeven_config_static_selectorELNS0_4arch9wavefront6targetE0EEEvSO_.has_indirect_call, 0
	.section	.AMDGPU.csdata,"",@progbits
; Kernel info:
; codeLenInByte = 0
; TotalNumSgprs: 0
; NumVgprs: 0
; ScratchSize: 0
; MemoryBound: 0
; FloatMode: 240
; IeeeMode: 1
; LDSByteSize: 0 bytes/workgroup (compile time only)
; SGPRBlocks: 0
; VGPRBlocks: 0
; NumSGPRsForWavesPerEU: 1
; NumVGPRsForWavesPerEU: 1
; Occupancy: 16
; WaveLimiterHint : 0
; COMPUTE_PGM_RSRC2:SCRATCH_EN: 0
; COMPUTE_PGM_RSRC2:USER_SGPR: 2
; COMPUTE_PGM_RSRC2:TRAP_HANDLER: 0
; COMPUTE_PGM_RSRC2:TGID_X_EN: 1
; COMPUTE_PGM_RSRC2:TGID_Y_EN: 0
; COMPUTE_PGM_RSRC2:TGID_Z_EN: 0
; COMPUTE_PGM_RSRC2:TIDIG_COMP_CNT: 0
	.section	.text._ZN7rocprim17ROCPRIM_400000_NS6detail17trampoline_kernelINS0_14default_configENS1_38merge_sort_block_merge_config_selectorIjN6thrust23THRUST_200600_302600_NS5tupleIffNS6_9null_typeES8_S8_S8_S8_S8_S8_S8_EEEEZZNS1_27merge_sort_block_merge_implIS3_NS6_6detail15normal_iteratorINS6_10device_ptrIjEEEENSD_INSE_IS9_EEEEjNS1_19radix_merge_compareILb0ELb1EjNS0_19identity_decomposerEEEEE10hipError_tT0_T1_T2_jT3_P12ihipStream_tbPNSt15iterator_traitsISN_E10value_typeEPNST_ISO_E10value_typeEPSP_NS1_7vsmem_tEENKUlT_SN_SO_SP_E_clISG_PjSI_PS9_EESM_S12_SN_SO_SP_EUlS12_E1_NS1_11comp_targetILNS1_3genE9ELNS1_11target_archE1100ELNS1_3gpuE3ELNS1_3repE0EEENS1_36merge_oddeven_config_static_selectorELNS0_4arch9wavefront6targetE0EEEvSO_,"axG",@progbits,_ZN7rocprim17ROCPRIM_400000_NS6detail17trampoline_kernelINS0_14default_configENS1_38merge_sort_block_merge_config_selectorIjN6thrust23THRUST_200600_302600_NS5tupleIffNS6_9null_typeES8_S8_S8_S8_S8_S8_S8_EEEEZZNS1_27merge_sort_block_merge_implIS3_NS6_6detail15normal_iteratorINS6_10device_ptrIjEEEENSD_INSE_IS9_EEEEjNS1_19radix_merge_compareILb0ELb1EjNS0_19identity_decomposerEEEEE10hipError_tT0_T1_T2_jT3_P12ihipStream_tbPNSt15iterator_traitsISN_E10value_typeEPNST_ISO_E10value_typeEPSP_NS1_7vsmem_tEENKUlT_SN_SO_SP_E_clISG_PjSI_PS9_EESM_S12_SN_SO_SP_EUlS12_E1_NS1_11comp_targetILNS1_3genE9ELNS1_11target_archE1100ELNS1_3gpuE3ELNS1_3repE0EEENS1_36merge_oddeven_config_static_selectorELNS0_4arch9wavefront6targetE0EEEvSO_,comdat
	.protected	_ZN7rocprim17ROCPRIM_400000_NS6detail17trampoline_kernelINS0_14default_configENS1_38merge_sort_block_merge_config_selectorIjN6thrust23THRUST_200600_302600_NS5tupleIffNS6_9null_typeES8_S8_S8_S8_S8_S8_S8_EEEEZZNS1_27merge_sort_block_merge_implIS3_NS6_6detail15normal_iteratorINS6_10device_ptrIjEEEENSD_INSE_IS9_EEEEjNS1_19radix_merge_compareILb0ELb1EjNS0_19identity_decomposerEEEEE10hipError_tT0_T1_T2_jT3_P12ihipStream_tbPNSt15iterator_traitsISN_E10value_typeEPNST_ISO_E10value_typeEPSP_NS1_7vsmem_tEENKUlT_SN_SO_SP_E_clISG_PjSI_PS9_EESM_S12_SN_SO_SP_EUlS12_E1_NS1_11comp_targetILNS1_3genE9ELNS1_11target_archE1100ELNS1_3gpuE3ELNS1_3repE0EEENS1_36merge_oddeven_config_static_selectorELNS0_4arch9wavefront6targetE0EEEvSO_ ; -- Begin function _ZN7rocprim17ROCPRIM_400000_NS6detail17trampoline_kernelINS0_14default_configENS1_38merge_sort_block_merge_config_selectorIjN6thrust23THRUST_200600_302600_NS5tupleIffNS6_9null_typeES8_S8_S8_S8_S8_S8_S8_EEEEZZNS1_27merge_sort_block_merge_implIS3_NS6_6detail15normal_iteratorINS6_10device_ptrIjEEEENSD_INSE_IS9_EEEEjNS1_19radix_merge_compareILb0ELb1EjNS0_19identity_decomposerEEEEE10hipError_tT0_T1_T2_jT3_P12ihipStream_tbPNSt15iterator_traitsISN_E10value_typeEPNST_ISO_E10value_typeEPSP_NS1_7vsmem_tEENKUlT_SN_SO_SP_E_clISG_PjSI_PS9_EESM_S12_SN_SO_SP_EUlS12_E1_NS1_11comp_targetILNS1_3genE9ELNS1_11target_archE1100ELNS1_3gpuE3ELNS1_3repE0EEENS1_36merge_oddeven_config_static_selectorELNS0_4arch9wavefront6targetE0EEEvSO_
	.globl	_ZN7rocprim17ROCPRIM_400000_NS6detail17trampoline_kernelINS0_14default_configENS1_38merge_sort_block_merge_config_selectorIjN6thrust23THRUST_200600_302600_NS5tupleIffNS6_9null_typeES8_S8_S8_S8_S8_S8_S8_EEEEZZNS1_27merge_sort_block_merge_implIS3_NS6_6detail15normal_iteratorINS6_10device_ptrIjEEEENSD_INSE_IS9_EEEEjNS1_19radix_merge_compareILb0ELb1EjNS0_19identity_decomposerEEEEE10hipError_tT0_T1_T2_jT3_P12ihipStream_tbPNSt15iterator_traitsISN_E10value_typeEPNST_ISO_E10value_typeEPSP_NS1_7vsmem_tEENKUlT_SN_SO_SP_E_clISG_PjSI_PS9_EESM_S12_SN_SO_SP_EUlS12_E1_NS1_11comp_targetILNS1_3genE9ELNS1_11target_archE1100ELNS1_3gpuE3ELNS1_3repE0EEENS1_36merge_oddeven_config_static_selectorELNS0_4arch9wavefront6targetE0EEEvSO_
	.p2align	8
	.type	_ZN7rocprim17ROCPRIM_400000_NS6detail17trampoline_kernelINS0_14default_configENS1_38merge_sort_block_merge_config_selectorIjN6thrust23THRUST_200600_302600_NS5tupleIffNS6_9null_typeES8_S8_S8_S8_S8_S8_S8_EEEEZZNS1_27merge_sort_block_merge_implIS3_NS6_6detail15normal_iteratorINS6_10device_ptrIjEEEENSD_INSE_IS9_EEEEjNS1_19radix_merge_compareILb0ELb1EjNS0_19identity_decomposerEEEEE10hipError_tT0_T1_T2_jT3_P12ihipStream_tbPNSt15iterator_traitsISN_E10value_typeEPNST_ISO_E10value_typeEPSP_NS1_7vsmem_tEENKUlT_SN_SO_SP_E_clISG_PjSI_PS9_EESM_S12_SN_SO_SP_EUlS12_E1_NS1_11comp_targetILNS1_3genE9ELNS1_11target_archE1100ELNS1_3gpuE3ELNS1_3repE0EEENS1_36merge_oddeven_config_static_selectorELNS0_4arch9wavefront6targetE0EEEvSO_,@function
_ZN7rocprim17ROCPRIM_400000_NS6detail17trampoline_kernelINS0_14default_configENS1_38merge_sort_block_merge_config_selectorIjN6thrust23THRUST_200600_302600_NS5tupleIffNS6_9null_typeES8_S8_S8_S8_S8_S8_S8_EEEEZZNS1_27merge_sort_block_merge_implIS3_NS6_6detail15normal_iteratorINS6_10device_ptrIjEEEENSD_INSE_IS9_EEEEjNS1_19radix_merge_compareILb0ELb1EjNS0_19identity_decomposerEEEEE10hipError_tT0_T1_T2_jT3_P12ihipStream_tbPNSt15iterator_traitsISN_E10value_typeEPNST_ISO_E10value_typeEPSP_NS1_7vsmem_tEENKUlT_SN_SO_SP_E_clISG_PjSI_PS9_EESM_S12_SN_SO_SP_EUlS12_E1_NS1_11comp_targetILNS1_3genE9ELNS1_11target_archE1100ELNS1_3gpuE3ELNS1_3repE0EEENS1_36merge_oddeven_config_static_selectorELNS0_4arch9wavefront6targetE0EEEvSO_: ; @_ZN7rocprim17ROCPRIM_400000_NS6detail17trampoline_kernelINS0_14default_configENS1_38merge_sort_block_merge_config_selectorIjN6thrust23THRUST_200600_302600_NS5tupleIffNS6_9null_typeES8_S8_S8_S8_S8_S8_S8_EEEEZZNS1_27merge_sort_block_merge_implIS3_NS6_6detail15normal_iteratorINS6_10device_ptrIjEEEENSD_INSE_IS9_EEEEjNS1_19radix_merge_compareILb0ELb1EjNS0_19identity_decomposerEEEEE10hipError_tT0_T1_T2_jT3_P12ihipStream_tbPNSt15iterator_traitsISN_E10value_typeEPNST_ISO_E10value_typeEPSP_NS1_7vsmem_tEENKUlT_SN_SO_SP_E_clISG_PjSI_PS9_EESM_S12_SN_SO_SP_EUlS12_E1_NS1_11comp_targetILNS1_3genE9ELNS1_11target_archE1100ELNS1_3gpuE3ELNS1_3repE0EEENS1_36merge_oddeven_config_static_selectorELNS0_4arch9wavefront6targetE0EEEvSO_
; %bb.0:
	.section	.rodata,"a",@progbits
	.p2align	6, 0x0
	.amdhsa_kernel _ZN7rocprim17ROCPRIM_400000_NS6detail17trampoline_kernelINS0_14default_configENS1_38merge_sort_block_merge_config_selectorIjN6thrust23THRUST_200600_302600_NS5tupleIffNS6_9null_typeES8_S8_S8_S8_S8_S8_S8_EEEEZZNS1_27merge_sort_block_merge_implIS3_NS6_6detail15normal_iteratorINS6_10device_ptrIjEEEENSD_INSE_IS9_EEEEjNS1_19radix_merge_compareILb0ELb1EjNS0_19identity_decomposerEEEEE10hipError_tT0_T1_T2_jT3_P12ihipStream_tbPNSt15iterator_traitsISN_E10value_typeEPNST_ISO_E10value_typeEPSP_NS1_7vsmem_tEENKUlT_SN_SO_SP_E_clISG_PjSI_PS9_EESM_S12_SN_SO_SP_EUlS12_E1_NS1_11comp_targetILNS1_3genE9ELNS1_11target_archE1100ELNS1_3gpuE3ELNS1_3repE0EEENS1_36merge_oddeven_config_static_selectorELNS0_4arch9wavefront6targetE0EEEvSO_
		.amdhsa_group_segment_fixed_size 0
		.amdhsa_private_segment_fixed_size 0
		.amdhsa_kernarg_size 48
		.amdhsa_user_sgpr_count 2
		.amdhsa_user_sgpr_dispatch_ptr 0
		.amdhsa_user_sgpr_queue_ptr 0
		.amdhsa_user_sgpr_kernarg_segment_ptr 1
		.amdhsa_user_sgpr_dispatch_id 0
		.amdhsa_user_sgpr_private_segment_size 0
		.amdhsa_wavefront_size32 1
		.amdhsa_uses_dynamic_stack 0
		.amdhsa_enable_private_segment 0
		.amdhsa_system_sgpr_workgroup_id_x 1
		.amdhsa_system_sgpr_workgroup_id_y 0
		.amdhsa_system_sgpr_workgroup_id_z 0
		.amdhsa_system_sgpr_workgroup_info 0
		.amdhsa_system_vgpr_workitem_id 0
		.amdhsa_next_free_vgpr 1
		.amdhsa_next_free_sgpr 1
		.amdhsa_reserve_vcc 0
		.amdhsa_float_round_mode_32 0
		.amdhsa_float_round_mode_16_64 0
		.amdhsa_float_denorm_mode_32 3
		.amdhsa_float_denorm_mode_16_64 3
		.amdhsa_fp16_overflow 0
		.amdhsa_workgroup_processor_mode 1
		.amdhsa_memory_ordered 1
		.amdhsa_forward_progress 1
		.amdhsa_inst_pref_size 0
		.amdhsa_round_robin_scheduling 0
		.amdhsa_exception_fp_ieee_invalid_op 0
		.amdhsa_exception_fp_denorm_src 0
		.amdhsa_exception_fp_ieee_div_zero 0
		.amdhsa_exception_fp_ieee_overflow 0
		.amdhsa_exception_fp_ieee_underflow 0
		.amdhsa_exception_fp_ieee_inexact 0
		.amdhsa_exception_int_div_zero 0
	.end_amdhsa_kernel
	.section	.text._ZN7rocprim17ROCPRIM_400000_NS6detail17trampoline_kernelINS0_14default_configENS1_38merge_sort_block_merge_config_selectorIjN6thrust23THRUST_200600_302600_NS5tupleIffNS6_9null_typeES8_S8_S8_S8_S8_S8_S8_EEEEZZNS1_27merge_sort_block_merge_implIS3_NS6_6detail15normal_iteratorINS6_10device_ptrIjEEEENSD_INSE_IS9_EEEEjNS1_19radix_merge_compareILb0ELb1EjNS0_19identity_decomposerEEEEE10hipError_tT0_T1_T2_jT3_P12ihipStream_tbPNSt15iterator_traitsISN_E10value_typeEPNST_ISO_E10value_typeEPSP_NS1_7vsmem_tEENKUlT_SN_SO_SP_E_clISG_PjSI_PS9_EESM_S12_SN_SO_SP_EUlS12_E1_NS1_11comp_targetILNS1_3genE9ELNS1_11target_archE1100ELNS1_3gpuE3ELNS1_3repE0EEENS1_36merge_oddeven_config_static_selectorELNS0_4arch9wavefront6targetE0EEEvSO_,"axG",@progbits,_ZN7rocprim17ROCPRIM_400000_NS6detail17trampoline_kernelINS0_14default_configENS1_38merge_sort_block_merge_config_selectorIjN6thrust23THRUST_200600_302600_NS5tupleIffNS6_9null_typeES8_S8_S8_S8_S8_S8_S8_EEEEZZNS1_27merge_sort_block_merge_implIS3_NS6_6detail15normal_iteratorINS6_10device_ptrIjEEEENSD_INSE_IS9_EEEEjNS1_19radix_merge_compareILb0ELb1EjNS0_19identity_decomposerEEEEE10hipError_tT0_T1_T2_jT3_P12ihipStream_tbPNSt15iterator_traitsISN_E10value_typeEPNST_ISO_E10value_typeEPSP_NS1_7vsmem_tEENKUlT_SN_SO_SP_E_clISG_PjSI_PS9_EESM_S12_SN_SO_SP_EUlS12_E1_NS1_11comp_targetILNS1_3genE9ELNS1_11target_archE1100ELNS1_3gpuE3ELNS1_3repE0EEENS1_36merge_oddeven_config_static_selectorELNS0_4arch9wavefront6targetE0EEEvSO_,comdat
.Lfunc_end137:
	.size	_ZN7rocprim17ROCPRIM_400000_NS6detail17trampoline_kernelINS0_14default_configENS1_38merge_sort_block_merge_config_selectorIjN6thrust23THRUST_200600_302600_NS5tupleIffNS6_9null_typeES8_S8_S8_S8_S8_S8_S8_EEEEZZNS1_27merge_sort_block_merge_implIS3_NS6_6detail15normal_iteratorINS6_10device_ptrIjEEEENSD_INSE_IS9_EEEEjNS1_19radix_merge_compareILb0ELb1EjNS0_19identity_decomposerEEEEE10hipError_tT0_T1_T2_jT3_P12ihipStream_tbPNSt15iterator_traitsISN_E10value_typeEPNST_ISO_E10value_typeEPSP_NS1_7vsmem_tEENKUlT_SN_SO_SP_E_clISG_PjSI_PS9_EESM_S12_SN_SO_SP_EUlS12_E1_NS1_11comp_targetILNS1_3genE9ELNS1_11target_archE1100ELNS1_3gpuE3ELNS1_3repE0EEENS1_36merge_oddeven_config_static_selectorELNS0_4arch9wavefront6targetE0EEEvSO_, .Lfunc_end137-_ZN7rocprim17ROCPRIM_400000_NS6detail17trampoline_kernelINS0_14default_configENS1_38merge_sort_block_merge_config_selectorIjN6thrust23THRUST_200600_302600_NS5tupleIffNS6_9null_typeES8_S8_S8_S8_S8_S8_S8_EEEEZZNS1_27merge_sort_block_merge_implIS3_NS6_6detail15normal_iteratorINS6_10device_ptrIjEEEENSD_INSE_IS9_EEEEjNS1_19radix_merge_compareILb0ELb1EjNS0_19identity_decomposerEEEEE10hipError_tT0_T1_T2_jT3_P12ihipStream_tbPNSt15iterator_traitsISN_E10value_typeEPNST_ISO_E10value_typeEPSP_NS1_7vsmem_tEENKUlT_SN_SO_SP_E_clISG_PjSI_PS9_EESM_S12_SN_SO_SP_EUlS12_E1_NS1_11comp_targetILNS1_3genE9ELNS1_11target_archE1100ELNS1_3gpuE3ELNS1_3repE0EEENS1_36merge_oddeven_config_static_selectorELNS0_4arch9wavefront6targetE0EEEvSO_
                                        ; -- End function
	.set _ZN7rocprim17ROCPRIM_400000_NS6detail17trampoline_kernelINS0_14default_configENS1_38merge_sort_block_merge_config_selectorIjN6thrust23THRUST_200600_302600_NS5tupleIffNS6_9null_typeES8_S8_S8_S8_S8_S8_S8_EEEEZZNS1_27merge_sort_block_merge_implIS3_NS6_6detail15normal_iteratorINS6_10device_ptrIjEEEENSD_INSE_IS9_EEEEjNS1_19radix_merge_compareILb0ELb1EjNS0_19identity_decomposerEEEEE10hipError_tT0_T1_T2_jT3_P12ihipStream_tbPNSt15iterator_traitsISN_E10value_typeEPNST_ISO_E10value_typeEPSP_NS1_7vsmem_tEENKUlT_SN_SO_SP_E_clISG_PjSI_PS9_EESM_S12_SN_SO_SP_EUlS12_E1_NS1_11comp_targetILNS1_3genE9ELNS1_11target_archE1100ELNS1_3gpuE3ELNS1_3repE0EEENS1_36merge_oddeven_config_static_selectorELNS0_4arch9wavefront6targetE0EEEvSO_.num_vgpr, 0
	.set _ZN7rocprim17ROCPRIM_400000_NS6detail17trampoline_kernelINS0_14default_configENS1_38merge_sort_block_merge_config_selectorIjN6thrust23THRUST_200600_302600_NS5tupleIffNS6_9null_typeES8_S8_S8_S8_S8_S8_S8_EEEEZZNS1_27merge_sort_block_merge_implIS3_NS6_6detail15normal_iteratorINS6_10device_ptrIjEEEENSD_INSE_IS9_EEEEjNS1_19radix_merge_compareILb0ELb1EjNS0_19identity_decomposerEEEEE10hipError_tT0_T1_T2_jT3_P12ihipStream_tbPNSt15iterator_traitsISN_E10value_typeEPNST_ISO_E10value_typeEPSP_NS1_7vsmem_tEENKUlT_SN_SO_SP_E_clISG_PjSI_PS9_EESM_S12_SN_SO_SP_EUlS12_E1_NS1_11comp_targetILNS1_3genE9ELNS1_11target_archE1100ELNS1_3gpuE3ELNS1_3repE0EEENS1_36merge_oddeven_config_static_selectorELNS0_4arch9wavefront6targetE0EEEvSO_.num_agpr, 0
	.set _ZN7rocprim17ROCPRIM_400000_NS6detail17trampoline_kernelINS0_14default_configENS1_38merge_sort_block_merge_config_selectorIjN6thrust23THRUST_200600_302600_NS5tupleIffNS6_9null_typeES8_S8_S8_S8_S8_S8_S8_EEEEZZNS1_27merge_sort_block_merge_implIS3_NS6_6detail15normal_iteratorINS6_10device_ptrIjEEEENSD_INSE_IS9_EEEEjNS1_19radix_merge_compareILb0ELb1EjNS0_19identity_decomposerEEEEE10hipError_tT0_T1_T2_jT3_P12ihipStream_tbPNSt15iterator_traitsISN_E10value_typeEPNST_ISO_E10value_typeEPSP_NS1_7vsmem_tEENKUlT_SN_SO_SP_E_clISG_PjSI_PS9_EESM_S12_SN_SO_SP_EUlS12_E1_NS1_11comp_targetILNS1_3genE9ELNS1_11target_archE1100ELNS1_3gpuE3ELNS1_3repE0EEENS1_36merge_oddeven_config_static_selectorELNS0_4arch9wavefront6targetE0EEEvSO_.numbered_sgpr, 0
	.set _ZN7rocprim17ROCPRIM_400000_NS6detail17trampoline_kernelINS0_14default_configENS1_38merge_sort_block_merge_config_selectorIjN6thrust23THRUST_200600_302600_NS5tupleIffNS6_9null_typeES8_S8_S8_S8_S8_S8_S8_EEEEZZNS1_27merge_sort_block_merge_implIS3_NS6_6detail15normal_iteratorINS6_10device_ptrIjEEEENSD_INSE_IS9_EEEEjNS1_19radix_merge_compareILb0ELb1EjNS0_19identity_decomposerEEEEE10hipError_tT0_T1_T2_jT3_P12ihipStream_tbPNSt15iterator_traitsISN_E10value_typeEPNST_ISO_E10value_typeEPSP_NS1_7vsmem_tEENKUlT_SN_SO_SP_E_clISG_PjSI_PS9_EESM_S12_SN_SO_SP_EUlS12_E1_NS1_11comp_targetILNS1_3genE9ELNS1_11target_archE1100ELNS1_3gpuE3ELNS1_3repE0EEENS1_36merge_oddeven_config_static_selectorELNS0_4arch9wavefront6targetE0EEEvSO_.num_named_barrier, 0
	.set _ZN7rocprim17ROCPRIM_400000_NS6detail17trampoline_kernelINS0_14default_configENS1_38merge_sort_block_merge_config_selectorIjN6thrust23THRUST_200600_302600_NS5tupleIffNS6_9null_typeES8_S8_S8_S8_S8_S8_S8_EEEEZZNS1_27merge_sort_block_merge_implIS3_NS6_6detail15normal_iteratorINS6_10device_ptrIjEEEENSD_INSE_IS9_EEEEjNS1_19radix_merge_compareILb0ELb1EjNS0_19identity_decomposerEEEEE10hipError_tT0_T1_T2_jT3_P12ihipStream_tbPNSt15iterator_traitsISN_E10value_typeEPNST_ISO_E10value_typeEPSP_NS1_7vsmem_tEENKUlT_SN_SO_SP_E_clISG_PjSI_PS9_EESM_S12_SN_SO_SP_EUlS12_E1_NS1_11comp_targetILNS1_3genE9ELNS1_11target_archE1100ELNS1_3gpuE3ELNS1_3repE0EEENS1_36merge_oddeven_config_static_selectorELNS0_4arch9wavefront6targetE0EEEvSO_.private_seg_size, 0
	.set _ZN7rocprim17ROCPRIM_400000_NS6detail17trampoline_kernelINS0_14default_configENS1_38merge_sort_block_merge_config_selectorIjN6thrust23THRUST_200600_302600_NS5tupleIffNS6_9null_typeES8_S8_S8_S8_S8_S8_S8_EEEEZZNS1_27merge_sort_block_merge_implIS3_NS6_6detail15normal_iteratorINS6_10device_ptrIjEEEENSD_INSE_IS9_EEEEjNS1_19radix_merge_compareILb0ELb1EjNS0_19identity_decomposerEEEEE10hipError_tT0_T1_T2_jT3_P12ihipStream_tbPNSt15iterator_traitsISN_E10value_typeEPNST_ISO_E10value_typeEPSP_NS1_7vsmem_tEENKUlT_SN_SO_SP_E_clISG_PjSI_PS9_EESM_S12_SN_SO_SP_EUlS12_E1_NS1_11comp_targetILNS1_3genE9ELNS1_11target_archE1100ELNS1_3gpuE3ELNS1_3repE0EEENS1_36merge_oddeven_config_static_selectorELNS0_4arch9wavefront6targetE0EEEvSO_.uses_vcc, 0
	.set _ZN7rocprim17ROCPRIM_400000_NS6detail17trampoline_kernelINS0_14default_configENS1_38merge_sort_block_merge_config_selectorIjN6thrust23THRUST_200600_302600_NS5tupleIffNS6_9null_typeES8_S8_S8_S8_S8_S8_S8_EEEEZZNS1_27merge_sort_block_merge_implIS3_NS6_6detail15normal_iteratorINS6_10device_ptrIjEEEENSD_INSE_IS9_EEEEjNS1_19radix_merge_compareILb0ELb1EjNS0_19identity_decomposerEEEEE10hipError_tT0_T1_T2_jT3_P12ihipStream_tbPNSt15iterator_traitsISN_E10value_typeEPNST_ISO_E10value_typeEPSP_NS1_7vsmem_tEENKUlT_SN_SO_SP_E_clISG_PjSI_PS9_EESM_S12_SN_SO_SP_EUlS12_E1_NS1_11comp_targetILNS1_3genE9ELNS1_11target_archE1100ELNS1_3gpuE3ELNS1_3repE0EEENS1_36merge_oddeven_config_static_selectorELNS0_4arch9wavefront6targetE0EEEvSO_.uses_flat_scratch, 0
	.set _ZN7rocprim17ROCPRIM_400000_NS6detail17trampoline_kernelINS0_14default_configENS1_38merge_sort_block_merge_config_selectorIjN6thrust23THRUST_200600_302600_NS5tupleIffNS6_9null_typeES8_S8_S8_S8_S8_S8_S8_EEEEZZNS1_27merge_sort_block_merge_implIS3_NS6_6detail15normal_iteratorINS6_10device_ptrIjEEEENSD_INSE_IS9_EEEEjNS1_19radix_merge_compareILb0ELb1EjNS0_19identity_decomposerEEEEE10hipError_tT0_T1_T2_jT3_P12ihipStream_tbPNSt15iterator_traitsISN_E10value_typeEPNST_ISO_E10value_typeEPSP_NS1_7vsmem_tEENKUlT_SN_SO_SP_E_clISG_PjSI_PS9_EESM_S12_SN_SO_SP_EUlS12_E1_NS1_11comp_targetILNS1_3genE9ELNS1_11target_archE1100ELNS1_3gpuE3ELNS1_3repE0EEENS1_36merge_oddeven_config_static_selectorELNS0_4arch9wavefront6targetE0EEEvSO_.has_dyn_sized_stack, 0
	.set _ZN7rocprim17ROCPRIM_400000_NS6detail17trampoline_kernelINS0_14default_configENS1_38merge_sort_block_merge_config_selectorIjN6thrust23THRUST_200600_302600_NS5tupleIffNS6_9null_typeES8_S8_S8_S8_S8_S8_S8_EEEEZZNS1_27merge_sort_block_merge_implIS3_NS6_6detail15normal_iteratorINS6_10device_ptrIjEEEENSD_INSE_IS9_EEEEjNS1_19radix_merge_compareILb0ELb1EjNS0_19identity_decomposerEEEEE10hipError_tT0_T1_T2_jT3_P12ihipStream_tbPNSt15iterator_traitsISN_E10value_typeEPNST_ISO_E10value_typeEPSP_NS1_7vsmem_tEENKUlT_SN_SO_SP_E_clISG_PjSI_PS9_EESM_S12_SN_SO_SP_EUlS12_E1_NS1_11comp_targetILNS1_3genE9ELNS1_11target_archE1100ELNS1_3gpuE3ELNS1_3repE0EEENS1_36merge_oddeven_config_static_selectorELNS0_4arch9wavefront6targetE0EEEvSO_.has_recursion, 0
	.set _ZN7rocprim17ROCPRIM_400000_NS6detail17trampoline_kernelINS0_14default_configENS1_38merge_sort_block_merge_config_selectorIjN6thrust23THRUST_200600_302600_NS5tupleIffNS6_9null_typeES8_S8_S8_S8_S8_S8_S8_EEEEZZNS1_27merge_sort_block_merge_implIS3_NS6_6detail15normal_iteratorINS6_10device_ptrIjEEEENSD_INSE_IS9_EEEEjNS1_19radix_merge_compareILb0ELb1EjNS0_19identity_decomposerEEEEE10hipError_tT0_T1_T2_jT3_P12ihipStream_tbPNSt15iterator_traitsISN_E10value_typeEPNST_ISO_E10value_typeEPSP_NS1_7vsmem_tEENKUlT_SN_SO_SP_E_clISG_PjSI_PS9_EESM_S12_SN_SO_SP_EUlS12_E1_NS1_11comp_targetILNS1_3genE9ELNS1_11target_archE1100ELNS1_3gpuE3ELNS1_3repE0EEENS1_36merge_oddeven_config_static_selectorELNS0_4arch9wavefront6targetE0EEEvSO_.has_indirect_call, 0
	.section	.AMDGPU.csdata,"",@progbits
; Kernel info:
; codeLenInByte = 0
; TotalNumSgprs: 0
; NumVgprs: 0
; ScratchSize: 0
; MemoryBound: 0
; FloatMode: 240
; IeeeMode: 1
; LDSByteSize: 0 bytes/workgroup (compile time only)
; SGPRBlocks: 0
; VGPRBlocks: 0
; NumSGPRsForWavesPerEU: 1
; NumVGPRsForWavesPerEU: 1
; Occupancy: 16
; WaveLimiterHint : 0
; COMPUTE_PGM_RSRC2:SCRATCH_EN: 0
; COMPUTE_PGM_RSRC2:USER_SGPR: 2
; COMPUTE_PGM_RSRC2:TRAP_HANDLER: 0
; COMPUTE_PGM_RSRC2:TGID_X_EN: 1
; COMPUTE_PGM_RSRC2:TGID_Y_EN: 0
; COMPUTE_PGM_RSRC2:TGID_Z_EN: 0
; COMPUTE_PGM_RSRC2:TIDIG_COMP_CNT: 0
	.section	.text._ZN7rocprim17ROCPRIM_400000_NS6detail17trampoline_kernelINS0_14default_configENS1_38merge_sort_block_merge_config_selectorIjN6thrust23THRUST_200600_302600_NS5tupleIffNS6_9null_typeES8_S8_S8_S8_S8_S8_S8_EEEEZZNS1_27merge_sort_block_merge_implIS3_NS6_6detail15normal_iteratorINS6_10device_ptrIjEEEENSD_INSE_IS9_EEEEjNS1_19radix_merge_compareILb0ELb1EjNS0_19identity_decomposerEEEEE10hipError_tT0_T1_T2_jT3_P12ihipStream_tbPNSt15iterator_traitsISN_E10value_typeEPNST_ISO_E10value_typeEPSP_NS1_7vsmem_tEENKUlT_SN_SO_SP_E_clISG_PjSI_PS9_EESM_S12_SN_SO_SP_EUlS12_E1_NS1_11comp_targetILNS1_3genE8ELNS1_11target_archE1030ELNS1_3gpuE2ELNS1_3repE0EEENS1_36merge_oddeven_config_static_selectorELNS0_4arch9wavefront6targetE0EEEvSO_,"axG",@progbits,_ZN7rocprim17ROCPRIM_400000_NS6detail17trampoline_kernelINS0_14default_configENS1_38merge_sort_block_merge_config_selectorIjN6thrust23THRUST_200600_302600_NS5tupleIffNS6_9null_typeES8_S8_S8_S8_S8_S8_S8_EEEEZZNS1_27merge_sort_block_merge_implIS3_NS6_6detail15normal_iteratorINS6_10device_ptrIjEEEENSD_INSE_IS9_EEEEjNS1_19radix_merge_compareILb0ELb1EjNS0_19identity_decomposerEEEEE10hipError_tT0_T1_T2_jT3_P12ihipStream_tbPNSt15iterator_traitsISN_E10value_typeEPNST_ISO_E10value_typeEPSP_NS1_7vsmem_tEENKUlT_SN_SO_SP_E_clISG_PjSI_PS9_EESM_S12_SN_SO_SP_EUlS12_E1_NS1_11comp_targetILNS1_3genE8ELNS1_11target_archE1030ELNS1_3gpuE2ELNS1_3repE0EEENS1_36merge_oddeven_config_static_selectorELNS0_4arch9wavefront6targetE0EEEvSO_,comdat
	.protected	_ZN7rocprim17ROCPRIM_400000_NS6detail17trampoline_kernelINS0_14default_configENS1_38merge_sort_block_merge_config_selectorIjN6thrust23THRUST_200600_302600_NS5tupleIffNS6_9null_typeES8_S8_S8_S8_S8_S8_S8_EEEEZZNS1_27merge_sort_block_merge_implIS3_NS6_6detail15normal_iteratorINS6_10device_ptrIjEEEENSD_INSE_IS9_EEEEjNS1_19radix_merge_compareILb0ELb1EjNS0_19identity_decomposerEEEEE10hipError_tT0_T1_T2_jT3_P12ihipStream_tbPNSt15iterator_traitsISN_E10value_typeEPNST_ISO_E10value_typeEPSP_NS1_7vsmem_tEENKUlT_SN_SO_SP_E_clISG_PjSI_PS9_EESM_S12_SN_SO_SP_EUlS12_E1_NS1_11comp_targetILNS1_3genE8ELNS1_11target_archE1030ELNS1_3gpuE2ELNS1_3repE0EEENS1_36merge_oddeven_config_static_selectorELNS0_4arch9wavefront6targetE0EEEvSO_ ; -- Begin function _ZN7rocprim17ROCPRIM_400000_NS6detail17trampoline_kernelINS0_14default_configENS1_38merge_sort_block_merge_config_selectorIjN6thrust23THRUST_200600_302600_NS5tupleIffNS6_9null_typeES8_S8_S8_S8_S8_S8_S8_EEEEZZNS1_27merge_sort_block_merge_implIS3_NS6_6detail15normal_iteratorINS6_10device_ptrIjEEEENSD_INSE_IS9_EEEEjNS1_19radix_merge_compareILb0ELb1EjNS0_19identity_decomposerEEEEE10hipError_tT0_T1_T2_jT3_P12ihipStream_tbPNSt15iterator_traitsISN_E10value_typeEPNST_ISO_E10value_typeEPSP_NS1_7vsmem_tEENKUlT_SN_SO_SP_E_clISG_PjSI_PS9_EESM_S12_SN_SO_SP_EUlS12_E1_NS1_11comp_targetILNS1_3genE8ELNS1_11target_archE1030ELNS1_3gpuE2ELNS1_3repE0EEENS1_36merge_oddeven_config_static_selectorELNS0_4arch9wavefront6targetE0EEEvSO_
	.globl	_ZN7rocprim17ROCPRIM_400000_NS6detail17trampoline_kernelINS0_14default_configENS1_38merge_sort_block_merge_config_selectorIjN6thrust23THRUST_200600_302600_NS5tupleIffNS6_9null_typeES8_S8_S8_S8_S8_S8_S8_EEEEZZNS1_27merge_sort_block_merge_implIS3_NS6_6detail15normal_iteratorINS6_10device_ptrIjEEEENSD_INSE_IS9_EEEEjNS1_19radix_merge_compareILb0ELb1EjNS0_19identity_decomposerEEEEE10hipError_tT0_T1_T2_jT3_P12ihipStream_tbPNSt15iterator_traitsISN_E10value_typeEPNST_ISO_E10value_typeEPSP_NS1_7vsmem_tEENKUlT_SN_SO_SP_E_clISG_PjSI_PS9_EESM_S12_SN_SO_SP_EUlS12_E1_NS1_11comp_targetILNS1_3genE8ELNS1_11target_archE1030ELNS1_3gpuE2ELNS1_3repE0EEENS1_36merge_oddeven_config_static_selectorELNS0_4arch9wavefront6targetE0EEEvSO_
	.p2align	8
	.type	_ZN7rocprim17ROCPRIM_400000_NS6detail17trampoline_kernelINS0_14default_configENS1_38merge_sort_block_merge_config_selectorIjN6thrust23THRUST_200600_302600_NS5tupleIffNS6_9null_typeES8_S8_S8_S8_S8_S8_S8_EEEEZZNS1_27merge_sort_block_merge_implIS3_NS6_6detail15normal_iteratorINS6_10device_ptrIjEEEENSD_INSE_IS9_EEEEjNS1_19radix_merge_compareILb0ELb1EjNS0_19identity_decomposerEEEEE10hipError_tT0_T1_T2_jT3_P12ihipStream_tbPNSt15iterator_traitsISN_E10value_typeEPNST_ISO_E10value_typeEPSP_NS1_7vsmem_tEENKUlT_SN_SO_SP_E_clISG_PjSI_PS9_EESM_S12_SN_SO_SP_EUlS12_E1_NS1_11comp_targetILNS1_3genE8ELNS1_11target_archE1030ELNS1_3gpuE2ELNS1_3repE0EEENS1_36merge_oddeven_config_static_selectorELNS0_4arch9wavefront6targetE0EEEvSO_,@function
_ZN7rocprim17ROCPRIM_400000_NS6detail17trampoline_kernelINS0_14default_configENS1_38merge_sort_block_merge_config_selectorIjN6thrust23THRUST_200600_302600_NS5tupleIffNS6_9null_typeES8_S8_S8_S8_S8_S8_S8_EEEEZZNS1_27merge_sort_block_merge_implIS3_NS6_6detail15normal_iteratorINS6_10device_ptrIjEEEENSD_INSE_IS9_EEEEjNS1_19radix_merge_compareILb0ELb1EjNS0_19identity_decomposerEEEEE10hipError_tT0_T1_T2_jT3_P12ihipStream_tbPNSt15iterator_traitsISN_E10value_typeEPNST_ISO_E10value_typeEPSP_NS1_7vsmem_tEENKUlT_SN_SO_SP_E_clISG_PjSI_PS9_EESM_S12_SN_SO_SP_EUlS12_E1_NS1_11comp_targetILNS1_3genE8ELNS1_11target_archE1030ELNS1_3gpuE2ELNS1_3repE0EEENS1_36merge_oddeven_config_static_selectorELNS0_4arch9wavefront6targetE0EEEvSO_: ; @_ZN7rocprim17ROCPRIM_400000_NS6detail17trampoline_kernelINS0_14default_configENS1_38merge_sort_block_merge_config_selectorIjN6thrust23THRUST_200600_302600_NS5tupleIffNS6_9null_typeES8_S8_S8_S8_S8_S8_S8_EEEEZZNS1_27merge_sort_block_merge_implIS3_NS6_6detail15normal_iteratorINS6_10device_ptrIjEEEENSD_INSE_IS9_EEEEjNS1_19radix_merge_compareILb0ELb1EjNS0_19identity_decomposerEEEEE10hipError_tT0_T1_T2_jT3_P12ihipStream_tbPNSt15iterator_traitsISN_E10value_typeEPNST_ISO_E10value_typeEPSP_NS1_7vsmem_tEENKUlT_SN_SO_SP_E_clISG_PjSI_PS9_EESM_S12_SN_SO_SP_EUlS12_E1_NS1_11comp_targetILNS1_3genE8ELNS1_11target_archE1030ELNS1_3gpuE2ELNS1_3repE0EEENS1_36merge_oddeven_config_static_selectorELNS0_4arch9wavefront6targetE0EEEvSO_
; %bb.0:
	.section	.rodata,"a",@progbits
	.p2align	6, 0x0
	.amdhsa_kernel _ZN7rocprim17ROCPRIM_400000_NS6detail17trampoline_kernelINS0_14default_configENS1_38merge_sort_block_merge_config_selectorIjN6thrust23THRUST_200600_302600_NS5tupleIffNS6_9null_typeES8_S8_S8_S8_S8_S8_S8_EEEEZZNS1_27merge_sort_block_merge_implIS3_NS6_6detail15normal_iteratorINS6_10device_ptrIjEEEENSD_INSE_IS9_EEEEjNS1_19radix_merge_compareILb0ELb1EjNS0_19identity_decomposerEEEEE10hipError_tT0_T1_T2_jT3_P12ihipStream_tbPNSt15iterator_traitsISN_E10value_typeEPNST_ISO_E10value_typeEPSP_NS1_7vsmem_tEENKUlT_SN_SO_SP_E_clISG_PjSI_PS9_EESM_S12_SN_SO_SP_EUlS12_E1_NS1_11comp_targetILNS1_3genE8ELNS1_11target_archE1030ELNS1_3gpuE2ELNS1_3repE0EEENS1_36merge_oddeven_config_static_selectorELNS0_4arch9wavefront6targetE0EEEvSO_
		.amdhsa_group_segment_fixed_size 0
		.amdhsa_private_segment_fixed_size 0
		.amdhsa_kernarg_size 48
		.amdhsa_user_sgpr_count 2
		.amdhsa_user_sgpr_dispatch_ptr 0
		.amdhsa_user_sgpr_queue_ptr 0
		.amdhsa_user_sgpr_kernarg_segment_ptr 1
		.amdhsa_user_sgpr_dispatch_id 0
		.amdhsa_user_sgpr_private_segment_size 0
		.amdhsa_wavefront_size32 1
		.amdhsa_uses_dynamic_stack 0
		.amdhsa_enable_private_segment 0
		.amdhsa_system_sgpr_workgroup_id_x 1
		.amdhsa_system_sgpr_workgroup_id_y 0
		.amdhsa_system_sgpr_workgroup_id_z 0
		.amdhsa_system_sgpr_workgroup_info 0
		.amdhsa_system_vgpr_workitem_id 0
		.amdhsa_next_free_vgpr 1
		.amdhsa_next_free_sgpr 1
		.amdhsa_reserve_vcc 0
		.amdhsa_float_round_mode_32 0
		.amdhsa_float_round_mode_16_64 0
		.amdhsa_float_denorm_mode_32 3
		.amdhsa_float_denorm_mode_16_64 3
		.amdhsa_fp16_overflow 0
		.amdhsa_workgroup_processor_mode 1
		.amdhsa_memory_ordered 1
		.amdhsa_forward_progress 1
		.amdhsa_inst_pref_size 0
		.amdhsa_round_robin_scheduling 0
		.amdhsa_exception_fp_ieee_invalid_op 0
		.amdhsa_exception_fp_denorm_src 0
		.amdhsa_exception_fp_ieee_div_zero 0
		.amdhsa_exception_fp_ieee_overflow 0
		.amdhsa_exception_fp_ieee_underflow 0
		.amdhsa_exception_fp_ieee_inexact 0
		.amdhsa_exception_int_div_zero 0
	.end_amdhsa_kernel
	.section	.text._ZN7rocprim17ROCPRIM_400000_NS6detail17trampoline_kernelINS0_14default_configENS1_38merge_sort_block_merge_config_selectorIjN6thrust23THRUST_200600_302600_NS5tupleIffNS6_9null_typeES8_S8_S8_S8_S8_S8_S8_EEEEZZNS1_27merge_sort_block_merge_implIS3_NS6_6detail15normal_iteratorINS6_10device_ptrIjEEEENSD_INSE_IS9_EEEEjNS1_19radix_merge_compareILb0ELb1EjNS0_19identity_decomposerEEEEE10hipError_tT0_T1_T2_jT3_P12ihipStream_tbPNSt15iterator_traitsISN_E10value_typeEPNST_ISO_E10value_typeEPSP_NS1_7vsmem_tEENKUlT_SN_SO_SP_E_clISG_PjSI_PS9_EESM_S12_SN_SO_SP_EUlS12_E1_NS1_11comp_targetILNS1_3genE8ELNS1_11target_archE1030ELNS1_3gpuE2ELNS1_3repE0EEENS1_36merge_oddeven_config_static_selectorELNS0_4arch9wavefront6targetE0EEEvSO_,"axG",@progbits,_ZN7rocprim17ROCPRIM_400000_NS6detail17trampoline_kernelINS0_14default_configENS1_38merge_sort_block_merge_config_selectorIjN6thrust23THRUST_200600_302600_NS5tupleIffNS6_9null_typeES8_S8_S8_S8_S8_S8_S8_EEEEZZNS1_27merge_sort_block_merge_implIS3_NS6_6detail15normal_iteratorINS6_10device_ptrIjEEEENSD_INSE_IS9_EEEEjNS1_19radix_merge_compareILb0ELb1EjNS0_19identity_decomposerEEEEE10hipError_tT0_T1_T2_jT3_P12ihipStream_tbPNSt15iterator_traitsISN_E10value_typeEPNST_ISO_E10value_typeEPSP_NS1_7vsmem_tEENKUlT_SN_SO_SP_E_clISG_PjSI_PS9_EESM_S12_SN_SO_SP_EUlS12_E1_NS1_11comp_targetILNS1_3genE8ELNS1_11target_archE1030ELNS1_3gpuE2ELNS1_3repE0EEENS1_36merge_oddeven_config_static_selectorELNS0_4arch9wavefront6targetE0EEEvSO_,comdat
.Lfunc_end138:
	.size	_ZN7rocprim17ROCPRIM_400000_NS6detail17trampoline_kernelINS0_14default_configENS1_38merge_sort_block_merge_config_selectorIjN6thrust23THRUST_200600_302600_NS5tupleIffNS6_9null_typeES8_S8_S8_S8_S8_S8_S8_EEEEZZNS1_27merge_sort_block_merge_implIS3_NS6_6detail15normal_iteratorINS6_10device_ptrIjEEEENSD_INSE_IS9_EEEEjNS1_19radix_merge_compareILb0ELb1EjNS0_19identity_decomposerEEEEE10hipError_tT0_T1_T2_jT3_P12ihipStream_tbPNSt15iterator_traitsISN_E10value_typeEPNST_ISO_E10value_typeEPSP_NS1_7vsmem_tEENKUlT_SN_SO_SP_E_clISG_PjSI_PS9_EESM_S12_SN_SO_SP_EUlS12_E1_NS1_11comp_targetILNS1_3genE8ELNS1_11target_archE1030ELNS1_3gpuE2ELNS1_3repE0EEENS1_36merge_oddeven_config_static_selectorELNS0_4arch9wavefront6targetE0EEEvSO_, .Lfunc_end138-_ZN7rocprim17ROCPRIM_400000_NS6detail17trampoline_kernelINS0_14default_configENS1_38merge_sort_block_merge_config_selectorIjN6thrust23THRUST_200600_302600_NS5tupleIffNS6_9null_typeES8_S8_S8_S8_S8_S8_S8_EEEEZZNS1_27merge_sort_block_merge_implIS3_NS6_6detail15normal_iteratorINS6_10device_ptrIjEEEENSD_INSE_IS9_EEEEjNS1_19radix_merge_compareILb0ELb1EjNS0_19identity_decomposerEEEEE10hipError_tT0_T1_T2_jT3_P12ihipStream_tbPNSt15iterator_traitsISN_E10value_typeEPNST_ISO_E10value_typeEPSP_NS1_7vsmem_tEENKUlT_SN_SO_SP_E_clISG_PjSI_PS9_EESM_S12_SN_SO_SP_EUlS12_E1_NS1_11comp_targetILNS1_3genE8ELNS1_11target_archE1030ELNS1_3gpuE2ELNS1_3repE0EEENS1_36merge_oddeven_config_static_selectorELNS0_4arch9wavefront6targetE0EEEvSO_
                                        ; -- End function
	.set _ZN7rocprim17ROCPRIM_400000_NS6detail17trampoline_kernelINS0_14default_configENS1_38merge_sort_block_merge_config_selectorIjN6thrust23THRUST_200600_302600_NS5tupleIffNS6_9null_typeES8_S8_S8_S8_S8_S8_S8_EEEEZZNS1_27merge_sort_block_merge_implIS3_NS6_6detail15normal_iteratorINS6_10device_ptrIjEEEENSD_INSE_IS9_EEEEjNS1_19radix_merge_compareILb0ELb1EjNS0_19identity_decomposerEEEEE10hipError_tT0_T1_T2_jT3_P12ihipStream_tbPNSt15iterator_traitsISN_E10value_typeEPNST_ISO_E10value_typeEPSP_NS1_7vsmem_tEENKUlT_SN_SO_SP_E_clISG_PjSI_PS9_EESM_S12_SN_SO_SP_EUlS12_E1_NS1_11comp_targetILNS1_3genE8ELNS1_11target_archE1030ELNS1_3gpuE2ELNS1_3repE0EEENS1_36merge_oddeven_config_static_selectorELNS0_4arch9wavefront6targetE0EEEvSO_.num_vgpr, 0
	.set _ZN7rocprim17ROCPRIM_400000_NS6detail17trampoline_kernelINS0_14default_configENS1_38merge_sort_block_merge_config_selectorIjN6thrust23THRUST_200600_302600_NS5tupleIffNS6_9null_typeES8_S8_S8_S8_S8_S8_S8_EEEEZZNS1_27merge_sort_block_merge_implIS3_NS6_6detail15normal_iteratorINS6_10device_ptrIjEEEENSD_INSE_IS9_EEEEjNS1_19radix_merge_compareILb0ELb1EjNS0_19identity_decomposerEEEEE10hipError_tT0_T1_T2_jT3_P12ihipStream_tbPNSt15iterator_traitsISN_E10value_typeEPNST_ISO_E10value_typeEPSP_NS1_7vsmem_tEENKUlT_SN_SO_SP_E_clISG_PjSI_PS9_EESM_S12_SN_SO_SP_EUlS12_E1_NS1_11comp_targetILNS1_3genE8ELNS1_11target_archE1030ELNS1_3gpuE2ELNS1_3repE0EEENS1_36merge_oddeven_config_static_selectorELNS0_4arch9wavefront6targetE0EEEvSO_.num_agpr, 0
	.set _ZN7rocprim17ROCPRIM_400000_NS6detail17trampoline_kernelINS0_14default_configENS1_38merge_sort_block_merge_config_selectorIjN6thrust23THRUST_200600_302600_NS5tupleIffNS6_9null_typeES8_S8_S8_S8_S8_S8_S8_EEEEZZNS1_27merge_sort_block_merge_implIS3_NS6_6detail15normal_iteratorINS6_10device_ptrIjEEEENSD_INSE_IS9_EEEEjNS1_19radix_merge_compareILb0ELb1EjNS0_19identity_decomposerEEEEE10hipError_tT0_T1_T2_jT3_P12ihipStream_tbPNSt15iterator_traitsISN_E10value_typeEPNST_ISO_E10value_typeEPSP_NS1_7vsmem_tEENKUlT_SN_SO_SP_E_clISG_PjSI_PS9_EESM_S12_SN_SO_SP_EUlS12_E1_NS1_11comp_targetILNS1_3genE8ELNS1_11target_archE1030ELNS1_3gpuE2ELNS1_3repE0EEENS1_36merge_oddeven_config_static_selectorELNS0_4arch9wavefront6targetE0EEEvSO_.numbered_sgpr, 0
	.set _ZN7rocprim17ROCPRIM_400000_NS6detail17trampoline_kernelINS0_14default_configENS1_38merge_sort_block_merge_config_selectorIjN6thrust23THRUST_200600_302600_NS5tupleIffNS6_9null_typeES8_S8_S8_S8_S8_S8_S8_EEEEZZNS1_27merge_sort_block_merge_implIS3_NS6_6detail15normal_iteratorINS6_10device_ptrIjEEEENSD_INSE_IS9_EEEEjNS1_19radix_merge_compareILb0ELb1EjNS0_19identity_decomposerEEEEE10hipError_tT0_T1_T2_jT3_P12ihipStream_tbPNSt15iterator_traitsISN_E10value_typeEPNST_ISO_E10value_typeEPSP_NS1_7vsmem_tEENKUlT_SN_SO_SP_E_clISG_PjSI_PS9_EESM_S12_SN_SO_SP_EUlS12_E1_NS1_11comp_targetILNS1_3genE8ELNS1_11target_archE1030ELNS1_3gpuE2ELNS1_3repE0EEENS1_36merge_oddeven_config_static_selectorELNS0_4arch9wavefront6targetE0EEEvSO_.num_named_barrier, 0
	.set _ZN7rocprim17ROCPRIM_400000_NS6detail17trampoline_kernelINS0_14default_configENS1_38merge_sort_block_merge_config_selectorIjN6thrust23THRUST_200600_302600_NS5tupleIffNS6_9null_typeES8_S8_S8_S8_S8_S8_S8_EEEEZZNS1_27merge_sort_block_merge_implIS3_NS6_6detail15normal_iteratorINS6_10device_ptrIjEEEENSD_INSE_IS9_EEEEjNS1_19radix_merge_compareILb0ELb1EjNS0_19identity_decomposerEEEEE10hipError_tT0_T1_T2_jT3_P12ihipStream_tbPNSt15iterator_traitsISN_E10value_typeEPNST_ISO_E10value_typeEPSP_NS1_7vsmem_tEENKUlT_SN_SO_SP_E_clISG_PjSI_PS9_EESM_S12_SN_SO_SP_EUlS12_E1_NS1_11comp_targetILNS1_3genE8ELNS1_11target_archE1030ELNS1_3gpuE2ELNS1_3repE0EEENS1_36merge_oddeven_config_static_selectorELNS0_4arch9wavefront6targetE0EEEvSO_.private_seg_size, 0
	.set _ZN7rocprim17ROCPRIM_400000_NS6detail17trampoline_kernelINS0_14default_configENS1_38merge_sort_block_merge_config_selectorIjN6thrust23THRUST_200600_302600_NS5tupleIffNS6_9null_typeES8_S8_S8_S8_S8_S8_S8_EEEEZZNS1_27merge_sort_block_merge_implIS3_NS6_6detail15normal_iteratorINS6_10device_ptrIjEEEENSD_INSE_IS9_EEEEjNS1_19radix_merge_compareILb0ELb1EjNS0_19identity_decomposerEEEEE10hipError_tT0_T1_T2_jT3_P12ihipStream_tbPNSt15iterator_traitsISN_E10value_typeEPNST_ISO_E10value_typeEPSP_NS1_7vsmem_tEENKUlT_SN_SO_SP_E_clISG_PjSI_PS9_EESM_S12_SN_SO_SP_EUlS12_E1_NS1_11comp_targetILNS1_3genE8ELNS1_11target_archE1030ELNS1_3gpuE2ELNS1_3repE0EEENS1_36merge_oddeven_config_static_selectorELNS0_4arch9wavefront6targetE0EEEvSO_.uses_vcc, 0
	.set _ZN7rocprim17ROCPRIM_400000_NS6detail17trampoline_kernelINS0_14default_configENS1_38merge_sort_block_merge_config_selectorIjN6thrust23THRUST_200600_302600_NS5tupleIffNS6_9null_typeES8_S8_S8_S8_S8_S8_S8_EEEEZZNS1_27merge_sort_block_merge_implIS3_NS6_6detail15normal_iteratorINS6_10device_ptrIjEEEENSD_INSE_IS9_EEEEjNS1_19radix_merge_compareILb0ELb1EjNS0_19identity_decomposerEEEEE10hipError_tT0_T1_T2_jT3_P12ihipStream_tbPNSt15iterator_traitsISN_E10value_typeEPNST_ISO_E10value_typeEPSP_NS1_7vsmem_tEENKUlT_SN_SO_SP_E_clISG_PjSI_PS9_EESM_S12_SN_SO_SP_EUlS12_E1_NS1_11comp_targetILNS1_3genE8ELNS1_11target_archE1030ELNS1_3gpuE2ELNS1_3repE0EEENS1_36merge_oddeven_config_static_selectorELNS0_4arch9wavefront6targetE0EEEvSO_.uses_flat_scratch, 0
	.set _ZN7rocprim17ROCPRIM_400000_NS6detail17trampoline_kernelINS0_14default_configENS1_38merge_sort_block_merge_config_selectorIjN6thrust23THRUST_200600_302600_NS5tupleIffNS6_9null_typeES8_S8_S8_S8_S8_S8_S8_EEEEZZNS1_27merge_sort_block_merge_implIS3_NS6_6detail15normal_iteratorINS6_10device_ptrIjEEEENSD_INSE_IS9_EEEEjNS1_19radix_merge_compareILb0ELb1EjNS0_19identity_decomposerEEEEE10hipError_tT0_T1_T2_jT3_P12ihipStream_tbPNSt15iterator_traitsISN_E10value_typeEPNST_ISO_E10value_typeEPSP_NS1_7vsmem_tEENKUlT_SN_SO_SP_E_clISG_PjSI_PS9_EESM_S12_SN_SO_SP_EUlS12_E1_NS1_11comp_targetILNS1_3genE8ELNS1_11target_archE1030ELNS1_3gpuE2ELNS1_3repE0EEENS1_36merge_oddeven_config_static_selectorELNS0_4arch9wavefront6targetE0EEEvSO_.has_dyn_sized_stack, 0
	.set _ZN7rocprim17ROCPRIM_400000_NS6detail17trampoline_kernelINS0_14default_configENS1_38merge_sort_block_merge_config_selectorIjN6thrust23THRUST_200600_302600_NS5tupleIffNS6_9null_typeES8_S8_S8_S8_S8_S8_S8_EEEEZZNS1_27merge_sort_block_merge_implIS3_NS6_6detail15normal_iteratorINS6_10device_ptrIjEEEENSD_INSE_IS9_EEEEjNS1_19radix_merge_compareILb0ELb1EjNS0_19identity_decomposerEEEEE10hipError_tT0_T1_T2_jT3_P12ihipStream_tbPNSt15iterator_traitsISN_E10value_typeEPNST_ISO_E10value_typeEPSP_NS1_7vsmem_tEENKUlT_SN_SO_SP_E_clISG_PjSI_PS9_EESM_S12_SN_SO_SP_EUlS12_E1_NS1_11comp_targetILNS1_3genE8ELNS1_11target_archE1030ELNS1_3gpuE2ELNS1_3repE0EEENS1_36merge_oddeven_config_static_selectorELNS0_4arch9wavefront6targetE0EEEvSO_.has_recursion, 0
	.set _ZN7rocprim17ROCPRIM_400000_NS6detail17trampoline_kernelINS0_14default_configENS1_38merge_sort_block_merge_config_selectorIjN6thrust23THRUST_200600_302600_NS5tupleIffNS6_9null_typeES8_S8_S8_S8_S8_S8_S8_EEEEZZNS1_27merge_sort_block_merge_implIS3_NS6_6detail15normal_iteratorINS6_10device_ptrIjEEEENSD_INSE_IS9_EEEEjNS1_19radix_merge_compareILb0ELb1EjNS0_19identity_decomposerEEEEE10hipError_tT0_T1_T2_jT3_P12ihipStream_tbPNSt15iterator_traitsISN_E10value_typeEPNST_ISO_E10value_typeEPSP_NS1_7vsmem_tEENKUlT_SN_SO_SP_E_clISG_PjSI_PS9_EESM_S12_SN_SO_SP_EUlS12_E1_NS1_11comp_targetILNS1_3genE8ELNS1_11target_archE1030ELNS1_3gpuE2ELNS1_3repE0EEENS1_36merge_oddeven_config_static_selectorELNS0_4arch9wavefront6targetE0EEEvSO_.has_indirect_call, 0
	.section	.AMDGPU.csdata,"",@progbits
; Kernel info:
; codeLenInByte = 0
; TotalNumSgprs: 0
; NumVgprs: 0
; ScratchSize: 0
; MemoryBound: 0
; FloatMode: 240
; IeeeMode: 1
; LDSByteSize: 0 bytes/workgroup (compile time only)
; SGPRBlocks: 0
; VGPRBlocks: 0
; NumSGPRsForWavesPerEU: 1
; NumVGPRsForWavesPerEU: 1
; Occupancy: 16
; WaveLimiterHint : 0
; COMPUTE_PGM_RSRC2:SCRATCH_EN: 0
; COMPUTE_PGM_RSRC2:USER_SGPR: 2
; COMPUTE_PGM_RSRC2:TRAP_HANDLER: 0
; COMPUTE_PGM_RSRC2:TGID_X_EN: 1
; COMPUTE_PGM_RSRC2:TGID_Y_EN: 0
; COMPUTE_PGM_RSRC2:TGID_Z_EN: 0
; COMPUTE_PGM_RSRC2:TIDIG_COMP_CNT: 0
	.section	.text._ZN7rocprim17ROCPRIM_400000_NS6detail17trampoline_kernelINS0_14default_configENS1_35radix_sort_onesweep_config_selectorIjN6thrust23THRUST_200600_302600_NS5tupleIffNS6_9null_typeES8_S8_S8_S8_S8_S8_S8_EEEEZNS1_34radix_sort_onesweep_global_offsetsIS3_Lb0ENS6_6detail15normal_iteratorINS6_10device_ptrIjEEEENSD_INSE_IS9_EEEEjNS0_19identity_decomposerEEE10hipError_tT1_T2_PT3_SN_jT4_jjP12ihipStream_tbEUlT_E_NS1_11comp_targetILNS1_3genE0ELNS1_11target_archE4294967295ELNS1_3gpuE0ELNS1_3repE0EEENS1_52radix_sort_onesweep_histogram_config_static_selectorELNS0_4arch9wavefront6targetE0EEEvSL_,"axG",@progbits,_ZN7rocprim17ROCPRIM_400000_NS6detail17trampoline_kernelINS0_14default_configENS1_35radix_sort_onesweep_config_selectorIjN6thrust23THRUST_200600_302600_NS5tupleIffNS6_9null_typeES8_S8_S8_S8_S8_S8_S8_EEEEZNS1_34radix_sort_onesweep_global_offsetsIS3_Lb0ENS6_6detail15normal_iteratorINS6_10device_ptrIjEEEENSD_INSE_IS9_EEEEjNS0_19identity_decomposerEEE10hipError_tT1_T2_PT3_SN_jT4_jjP12ihipStream_tbEUlT_E_NS1_11comp_targetILNS1_3genE0ELNS1_11target_archE4294967295ELNS1_3gpuE0ELNS1_3repE0EEENS1_52radix_sort_onesweep_histogram_config_static_selectorELNS0_4arch9wavefront6targetE0EEEvSL_,comdat
	.protected	_ZN7rocprim17ROCPRIM_400000_NS6detail17trampoline_kernelINS0_14default_configENS1_35radix_sort_onesweep_config_selectorIjN6thrust23THRUST_200600_302600_NS5tupleIffNS6_9null_typeES8_S8_S8_S8_S8_S8_S8_EEEEZNS1_34radix_sort_onesweep_global_offsetsIS3_Lb0ENS6_6detail15normal_iteratorINS6_10device_ptrIjEEEENSD_INSE_IS9_EEEEjNS0_19identity_decomposerEEE10hipError_tT1_T2_PT3_SN_jT4_jjP12ihipStream_tbEUlT_E_NS1_11comp_targetILNS1_3genE0ELNS1_11target_archE4294967295ELNS1_3gpuE0ELNS1_3repE0EEENS1_52radix_sort_onesweep_histogram_config_static_selectorELNS0_4arch9wavefront6targetE0EEEvSL_ ; -- Begin function _ZN7rocprim17ROCPRIM_400000_NS6detail17trampoline_kernelINS0_14default_configENS1_35radix_sort_onesweep_config_selectorIjN6thrust23THRUST_200600_302600_NS5tupleIffNS6_9null_typeES8_S8_S8_S8_S8_S8_S8_EEEEZNS1_34radix_sort_onesweep_global_offsetsIS3_Lb0ENS6_6detail15normal_iteratorINS6_10device_ptrIjEEEENSD_INSE_IS9_EEEEjNS0_19identity_decomposerEEE10hipError_tT1_T2_PT3_SN_jT4_jjP12ihipStream_tbEUlT_E_NS1_11comp_targetILNS1_3genE0ELNS1_11target_archE4294967295ELNS1_3gpuE0ELNS1_3repE0EEENS1_52radix_sort_onesweep_histogram_config_static_selectorELNS0_4arch9wavefront6targetE0EEEvSL_
	.globl	_ZN7rocprim17ROCPRIM_400000_NS6detail17trampoline_kernelINS0_14default_configENS1_35radix_sort_onesweep_config_selectorIjN6thrust23THRUST_200600_302600_NS5tupleIffNS6_9null_typeES8_S8_S8_S8_S8_S8_S8_EEEEZNS1_34radix_sort_onesweep_global_offsetsIS3_Lb0ENS6_6detail15normal_iteratorINS6_10device_ptrIjEEEENSD_INSE_IS9_EEEEjNS0_19identity_decomposerEEE10hipError_tT1_T2_PT3_SN_jT4_jjP12ihipStream_tbEUlT_E_NS1_11comp_targetILNS1_3genE0ELNS1_11target_archE4294967295ELNS1_3gpuE0ELNS1_3repE0EEENS1_52radix_sort_onesweep_histogram_config_static_selectorELNS0_4arch9wavefront6targetE0EEEvSL_
	.p2align	8
	.type	_ZN7rocprim17ROCPRIM_400000_NS6detail17trampoline_kernelINS0_14default_configENS1_35radix_sort_onesweep_config_selectorIjN6thrust23THRUST_200600_302600_NS5tupleIffNS6_9null_typeES8_S8_S8_S8_S8_S8_S8_EEEEZNS1_34radix_sort_onesweep_global_offsetsIS3_Lb0ENS6_6detail15normal_iteratorINS6_10device_ptrIjEEEENSD_INSE_IS9_EEEEjNS0_19identity_decomposerEEE10hipError_tT1_T2_PT3_SN_jT4_jjP12ihipStream_tbEUlT_E_NS1_11comp_targetILNS1_3genE0ELNS1_11target_archE4294967295ELNS1_3gpuE0ELNS1_3repE0EEENS1_52radix_sort_onesweep_histogram_config_static_selectorELNS0_4arch9wavefront6targetE0EEEvSL_,@function
_ZN7rocprim17ROCPRIM_400000_NS6detail17trampoline_kernelINS0_14default_configENS1_35radix_sort_onesweep_config_selectorIjN6thrust23THRUST_200600_302600_NS5tupleIffNS6_9null_typeES8_S8_S8_S8_S8_S8_S8_EEEEZNS1_34radix_sort_onesweep_global_offsetsIS3_Lb0ENS6_6detail15normal_iteratorINS6_10device_ptrIjEEEENSD_INSE_IS9_EEEEjNS0_19identity_decomposerEEE10hipError_tT1_T2_PT3_SN_jT4_jjP12ihipStream_tbEUlT_E_NS1_11comp_targetILNS1_3genE0ELNS1_11target_archE4294967295ELNS1_3gpuE0ELNS1_3repE0EEENS1_52radix_sort_onesweep_histogram_config_static_selectorELNS0_4arch9wavefront6targetE0EEEvSL_: ; @_ZN7rocprim17ROCPRIM_400000_NS6detail17trampoline_kernelINS0_14default_configENS1_35radix_sort_onesweep_config_selectorIjN6thrust23THRUST_200600_302600_NS5tupleIffNS6_9null_typeES8_S8_S8_S8_S8_S8_S8_EEEEZNS1_34radix_sort_onesweep_global_offsetsIS3_Lb0ENS6_6detail15normal_iteratorINS6_10device_ptrIjEEEENSD_INSE_IS9_EEEEjNS0_19identity_decomposerEEE10hipError_tT1_T2_PT3_SN_jT4_jjP12ihipStream_tbEUlT_E_NS1_11comp_targetILNS1_3genE0ELNS1_11target_archE4294967295ELNS1_3gpuE0ELNS1_3repE0EEENS1_52radix_sort_onesweep_histogram_config_static_selectorELNS0_4arch9wavefront6targetE0EEEvSL_
; %bb.0:
	.section	.rodata,"a",@progbits
	.p2align	6, 0x0
	.amdhsa_kernel _ZN7rocprim17ROCPRIM_400000_NS6detail17trampoline_kernelINS0_14default_configENS1_35radix_sort_onesweep_config_selectorIjN6thrust23THRUST_200600_302600_NS5tupleIffNS6_9null_typeES8_S8_S8_S8_S8_S8_S8_EEEEZNS1_34radix_sort_onesweep_global_offsetsIS3_Lb0ENS6_6detail15normal_iteratorINS6_10device_ptrIjEEEENSD_INSE_IS9_EEEEjNS0_19identity_decomposerEEE10hipError_tT1_T2_PT3_SN_jT4_jjP12ihipStream_tbEUlT_E_NS1_11comp_targetILNS1_3genE0ELNS1_11target_archE4294967295ELNS1_3gpuE0ELNS1_3repE0EEENS1_52radix_sort_onesweep_histogram_config_static_selectorELNS0_4arch9wavefront6targetE0EEEvSL_
		.amdhsa_group_segment_fixed_size 0
		.amdhsa_private_segment_fixed_size 0
		.amdhsa_kernarg_size 40
		.amdhsa_user_sgpr_count 2
		.amdhsa_user_sgpr_dispatch_ptr 0
		.amdhsa_user_sgpr_queue_ptr 0
		.amdhsa_user_sgpr_kernarg_segment_ptr 1
		.amdhsa_user_sgpr_dispatch_id 0
		.amdhsa_user_sgpr_private_segment_size 0
		.amdhsa_wavefront_size32 1
		.amdhsa_uses_dynamic_stack 0
		.amdhsa_enable_private_segment 0
		.amdhsa_system_sgpr_workgroup_id_x 1
		.amdhsa_system_sgpr_workgroup_id_y 0
		.amdhsa_system_sgpr_workgroup_id_z 0
		.amdhsa_system_sgpr_workgroup_info 0
		.amdhsa_system_vgpr_workitem_id 0
		.amdhsa_next_free_vgpr 1
		.amdhsa_next_free_sgpr 1
		.amdhsa_reserve_vcc 0
		.amdhsa_float_round_mode_32 0
		.amdhsa_float_round_mode_16_64 0
		.amdhsa_float_denorm_mode_32 3
		.amdhsa_float_denorm_mode_16_64 3
		.amdhsa_fp16_overflow 0
		.amdhsa_workgroup_processor_mode 1
		.amdhsa_memory_ordered 1
		.amdhsa_forward_progress 1
		.amdhsa_inst_pref_size 0
		.amdhsa_round_robin_scheduling 0
		.amdhsa_exception_fp_ieee_invalid_op 0
		.amdhsa_exception_fp_denorm_src 0
		.amdhsa_exception_fp_ieee_div_zero 0
		.amdhsa_exception_fp_ieee_overflow 0
		.amdhsa_exception_fp_ieee_underflow 0
		.amdhsa_exception_fp_ieee_inexact 0
		.amdhsa_exception_int_div_zero 0
	.end_amdhsa_kernel
	.section	.text._ZN7rocprim17ROCPRIM_400000_NS6detail17trampoline_kernelINS0_14default_configENS1_35radix_sort_onesweep_config_selectorIjN6thrust23THRUST_200600_302600_NS5tupleIffNS6_9null_typeES8_S8_S8_S8_S8_S8_S8_EEEEZNS1_34radix_sort_onesweep_global_offsetsIS3_Lb0ENS6_6detail15normal_iteratorINS6_10device_ptrIjEEEENSD_INSE_IS9_EEEEjNS0_19identity_decomposerEEE10hipError_tT1_T2_PT3_SN_jT4_jjP12ihipStream_tbEUlT_E_NS1_11comp_targetILNS1_3genE0ELNS1_11target_archE4294967295ELNS1_3gpuE0ELNS1_3repE0EEENS1_52radix_sort_onesweep_histogram_config_static_selectorELNS0_4arch9wavefront6targetE0EEEvSL_,"axG",@progbits,_ZN7rocprim17ROCPRIM_400000_NS6detail17trampoline_kernelINS0_14default_configENS1_35radix_sort_onesweep_config_selectorIjN6thrust23THRUST_200600_302600_NS5tupleIffNS6_9null_typeES8_S8_S8_S8_S8_S8_S8_EEEEZNS1_34radix_sort_onesweep_global_offsetsIS3_Lb0ENS6_6detail15normal_iteratorINS6_10device_ptrIjEEEENSD_INSE_IS9_EEEEjNS0_19identity_decomposerEEE10hipError_tT1_T2_PT3_SN_jT4_jjP12ihipStream_tbEUlT_E_NS1_11comp_targetILNS1_3genE0ELNS1_11target_archE4294967295ELNS1_3gpuE0ELNS1_3repE0EEENS1_52radix_sort_onesweep_histogram_config_static_selectorELNS0_4arch9wavefront6targetE0EEEvSL_,comdat
.Lfunc_end139:
	.size	_ZN7rocprim17ROCPRIM_400000_NS6detail17trampoline_kernelINS0_14default_configENS1_35radix_sort_onesweep_config_selectorIjN6thrust23THRUST_200600_302600_NS5tupleIffNS6_9null_typeES8_S8_S8_S8_S8_S8_S8_EEEEZNS1_34radix_sort_onesweep_global_offsetsIS3_Lb0ENS6_6detail15normal_iteratorINS6_10device_ptrIjEEEENSD_INSE_IS9_EEEEjNS0_19identity_decomposerEEE10hipError_tT1_T2_PT3_SN_jT4_jjP12ihipStream_tbEUlT_E_NS1_11comp_targetILNS1_3genE0ELNS1_11target_archE4294967295ELNS1_3gpuE0ELNS1_3repE0EEENS1_52radix_sort_onesweep_histogram_config_static_selectorELNS0_4arch9wavefront6targetE0EEEvSL_, .Lfunc_end139-_ZN7rocprim17ROCPRIM_400000_NS6detail17trampoline_kernelINS0_14default_configENS1_35radix_sort_onesweep_config_selectorIjN6thrust23THRUST_200600_302600_NS5tupleIffNS6_9null_typeES8_S8_S8_S8_S8_S8_S8_EEEEZNS1_34radix_sort_onesweep_global_offsetsIS3_Lb0ENS6_6detail15normal_iteratorINS6_10device_ptrIjEEEENSD_INSE_IS9_EEEEjNS0_19identity_decomposerEEE10hipError_tT1_T2_PT3_SN_jT4_jjP12ihipStream_tbEUlT_E_NS1_11comp_targetILNS1_3genE0ELNS1_11target_archE4294967295ELNS1_3gpuE0ELNS1_3repE0EEENS1_52radix_sort_onesweep_histogram_config_static_selectorELNS0_4arch9wavefront6targetE0EEEvSL_
                                        ; -- End function
	.set _ZN7rocprim17ROCPRIM_400000_NS6detail17trampoline_kernelINS0_14default_configENS1_35radix_sort_onesweep_config_selectorIjN6thrust23THRUST_200600_302600_NS5tupleIffNS6_9null_typeES8_S8_S8_S8_S8_S8_S8_EEEEZNS1_34radix_sort_onesweep_global_offsetsIS3_Lb0ENS6_6detail15normal_iteratorINS6_10device_ptrIjEEEENSD_INSE_IS9_EEEEjNS0_19identity_decomposerEEE10hipError_tT1_T2_PT3_SN_jT4_jjP12ihipStream_tbEUlT_E_NS1_11comp_targetILNS1_3genE0ELNS1_11target_archE4294967295ELNS1_3gpuE0ELNS1_3repE0EEENS1_52radix_sort_onesweep_histogram_config_static_selectorELNS0_4arch9wavefront6targetE0EEEvSL_.num_vgpr, 0
	.set _ZN7rocprim17ROCPRIM_400000_NS6detail17trampoline_kernelINS0_14default_configENS1_35radix_sort_onesweep_config_selectorIjN6thrust23THRUST_200600_302600_NS5tupleIffNS6_9null_typeES8_S8_S8_S8_S8_S8_S8_EEEEZNS1_34radix_sort_onesweep_global_offsetsIS3_Lb0ENS6_6detail15normal_iteratorINS6_10device_ptrIjEEEENSD_INSE_IS9_EEEEjNS0_19identity_decomposerEEE10hipError_tT1_T2_PT3_SN_jT4_jjP12ihipStream_tbEUlT_E_NS1_11comp_targetILNS1_3genE0ELNS1_11target_archE4294967295ELNS1_3gpuE0ELNS1_3repE0EEENS1_52radix_sort_onesweep_histogram_config_static_selectorELNS0_4arch9wavefront6targetE0EEEvSL_.num_agpr, 0
	.set _ZN7rocprim17ROCPRIM_400000_NS6detail17trampoline_kernelINS0_14default_configENS1_35radix_sort_onesweep_config_selectorIjN6thrust23THRUST_200600_302600_NS5tupleIffNS6_9null_typeES8_S8_S8_S8_S8_S8_S8_EEEEZNS1_34radix_sort_onesweep_global_offsetsIS3_Lb0ENS6_6detail15normal_iteratorINS6_10device_ptrIjEEEENSD_INSE_IS9_EEEEjNS0_19identity_decomposerEEE10hipError_tT1_T2_PT3_SN_jT4_jjP12ihipStream_tbEUlT_E_NS1_11comp_targetILNS1_3genE0ELNS1_11target_archE4294967295ELNS1_3gpuE0ELNS1_3repE0EEENS1_52radix_sort_onesweep_histogram_config_static_selectorELNS0_4arch9wavefront6targetE0EEEvSL_.numbered_sgpr, 0
	.set _ZN7rocprim17ROCPRIM_400000_NS6detail17trampoline_kernelINS0_14default_configENS1_35radix_sort_onesweep_config_selectorIjN6thrust23THRUST_200600_302600_NS5tupleIffNS6_9null_typeES8_S8_S8_S8_S8_S8_S8_EEEEZNS1_34radix_sort_onesweep_global_offsetsIS3_Lb0ENS6_6detail15normal_iteratorINS6_10device_ptrIjEEEENSD_INSE_IS9_EEEEjNS0_19identity_decomposerEEE10hipError_tT1_T2_PT3_SN_jT4_jjP12ihipStream_tbEUlT_E_NS1_11comp_targetILNS1_3genE0ELNS1_11target_archE4294967295ELNS1_3gpuE0ELNS1_3repE0EEENS1_52radix_sort_onesweep_histogram_config_static_selectorELNS0_4arch9wavefront6targetE0EEEvSL_.num_named_barrier, 0
	.set _ZN7rocprim17ROCPRIM_400000_NS6detail17trampoline_kernelINS0_14default_configENS1_35radix_sort_onesweep_config_selectorIjN6thrust23THRUST_200600_302600_NS5tupleIffNS6_9null_typeES8_S8_S8_S8_S8_S8_S8_EEEEZNS1_34radix_sort_onesweep_global_offsetsIS3_Lb0ENS6_6detail15normal_iteratorINS6_10device_ptrIjEEEENSD_INSE_IS9_EEEEjNS0_19identity_decomposerEEE10hipError_tT1_T2_PT3_SN_jT4_jjP12ihipStream_tbEUlT_E_NS1_11comp_targetILNS1_3genE0ELNS1_11target_archE4294967295ELNS1_3gpuE0ELNS1_3repE0EEENS1_52radix_sort_onesweep_histogram_config_static_selectorELNS0_4arch9wavefront6targetE0EEEvSL_.private_seg_size, 0
	.set _ZN7rocprim17ROCPRIM_400000_NS6detail17trampoline_kernelINS0_14default_configENS1_35radix_sort_onesweep_config_selectorIjN6thrust23THRUST_200600_302600_NS5tupleIffNS6_9null_typeES8_S8_S8_S8_S8_S8_S8_EEEEZNS1_34radix_sort_onesweep_global_offsetsIS3_Lb0ENS6_6detail15normal_iteratorINS6_10device_ptrIjEEEENSD_INSE_IS9_EEEEjNS0_19identity_decomposerEEE10hipError_tT1_T2_PT3_SN_jT4_jjP12ihipStream_tbEUlT_E_NS1_11comp_targetILNS1_3genE0ELNS1_11target_archE4294967295ELNS1_3gpuE0ELNS1_3repE0EEENS1_52radix_sort_onesweep_histogram_config_static_selectorELNS0_4arch9wavefront6targetE0EEEvSL_.uses_vcc, 0
	.set _ZN7rocprim17ROCPRIM_400000_NS6detail17trampoline_kernelINS0_14default_configENS1_35radix_sort_onesweep_config_selectorIjN6thrust23THRUST_200600_302600_NS5tupleIffNS6_9null_typeES8_S8_S8_S8_S8_S8_S8_EEEEZNS1_34radix_sort_onesweep_global_offsetsIS3_Lb0ENS6_6detail15normal_iteratorINS6_10device_ptrIjEEEENSD_INSE_IS9_EEEEjNS0_19identity_decomposerEEE10hipError_tT1_T2_PT3_SN_jT4_jjP12ihipStream_tbEUlT_E_NS1_11comp_targetILNS1_3genE0ELNS1_11target_archE4294967295ELNS1_3gpuE0ELNS1_3repE0EEENS1_52radix_sort_onesweep_histogram_config_static_selectorELNS0_4arch9wavefront6targetE0EEEvSL_.uses_flat_scratch, 0
	.set _ZN7rocprim17ROCPRIM_400000_NS6detail17trampoline_kernelINS0_14default_configENS1_35radix_sort_onesweep_config_selectorIjN6thrust23THRUST_200600_302600_NS5tupleIffNS6_9null_typeES8_S8_S8_S8_S8_S8_S8_EEEEZNS1_34radix_sort_onesweep_global_offsetsIS3_Lb0ENS6_6detail15normal_iteratorINS6_10device_ptrIjEEEENSD_INSE_IS9_EEEEjNS0_19identity_decomposerEEE10hipError_tT1_T2_PT3_SN_jT4_jjP12ihipStream_tbEUlT_E_NS1_11comp_targetILNS1_3genE0ELNS1_11target_archE4294967295ELNS1_3gpuE0ELNS1_3repE0EEENS1_52radix_sort_onesweep_histogram_config_static_selectorELNS0_4arch9wavefront6targetE0EEEvSL_.has_dyn_sized_stack, 0
	.set _ZN7rocprim17ROCPRIM_400000_NS6detail17trampoline_kernelINS0_14default_configENS1_35radix_sort_onesweep_config_selectorIjN6thrust23THRUST_200600_302600_NS5tupleIffNS6_9null_typeES8_S8_S8_S8_S8_S8_S8_EEEEZNS1_34radix_sort_onesweep_global_offsetsIS3_Lb0ENS6_6detail15normal_iteratorINS6_10device_ptrIjEEEENSD_INSE_IS9_EEEEjNS0_19identity_decomposerEEE10hipError_tT1_T2_PT3_SN_jT4_jjP12ihipStream_tbEUlT_E_NS1_11comp_targetILNS1_3genE0ELNS1_11target_archE4294967295ELNS1_3gpuE0ELNS1_3repE0EEENS1_52radix_sort_onesweep_histogram_config_static_selectorELNS0_4arch9wavefront6targetE0EEEvSL_.has_recursion, 0
	.set _ZN7rocprim17ROCPRIM_400000_NS6detail17trampoline_kernelINS0_14default_configENS1_35radix_sort_onesweep_config_selectorIjN6thrust23THRUST_200600_302600_NS5tupleIffNS6_9null_typeES8_S8_S8_S8_S8_S8_S8_EEEEZNS1_34radix_sort_onesweep_global_offsetsIS3_Lb0ENS6_6detail15normal_iteratorINS6_10device_ptrIjEEEENSD_INSE_IS9_EEEEjNS0_19identity_decomposerEEE10hipError_tT1_T2_PT3_SN_jT4_jjP12ihipStream_tbEUlT_E_NS1_11comp_targetILNS1_3genE0ELNS1_11target_archE4294967295ELNS1_3gpuE0ELNS1_3repE0EEENS1_52radix_sort_onesweep_histogram_config_static_selectorELNS0_4arch9wavefront6targetE0EEEvSL_.has_indirect_call, 0
	.section	.AMDGPU.csdata,"",@progbits
; Kernel info:
; codeLenInByte = 0
; TotalNumSgprs: 0
; NumVgprs: 0
; ScratchSize: 0
; MemoryBound: 0
; FloatMode: 240
; IeeeMode: 1
; LDSByteSize: 0 bytes/workgroup (compile time only)
; SGPRBlocks: 0
; VGPRBlocks: 0
; NumSGPRsForWavesPerEU: 1
; NumVGPRsForWavesPerEU: 1
; Occupancy: 16
; WaveLimiterHint : 0
; COMPUTE_PGM_RSRC2:SCRATCH_EN: 0
; COMPUTE_PGM_RSRC2:USER_SGPR: 2
; COMPUTE_PGM_RSRC2:TRAP_HANDLER: 0
; COMPUTE_PGM_RSRC2:TGID_X_EN: 1
; COMPUTE_PGM_RSRC2:TGID_Y_EN: 0
; COMPUTE_PGM_RSRC2:TGID_Z_EN: 0
; COMPUTE_PGM_RSRC2:TIDIG_COMP_CNT: 0
	.section	.text._ZN7rocprim17ROCPRIM_400000_NS6detail17trampoline_kernelINS0_14default_configENS1_35radix_sort_onesweep_config_selectorIjN6thrust23THRUST_200600_302600_NS5tupleIffNS6_9null_typeES8_S8_S8_S8_S8_S8_S8_EEEEZNS1_34radix_sort_onesweep_global_offsetsIS3_Lb0ENS6_6detail15normal_iteratorINS6_10device_ptrIjEEEENSD_INSE_IS9_EEEEjNS0_19identity_decomposerEEE10hipError_tT1_T2_PT3_SN_jT4_jjP12ihipStream_tbEUlT_E_NS1_11comp_targetILNS1_3genE6ELNS1_11target_archE950ELNS1_3gpuE13ELNS1_3repE0EEENS1_52radix_sort_onesweep_histogram_config_static_selectorELNS0_4arch9wavefront6targetE0EEEvSL_,"axG",@progbits,_ZN7rocprim17ROCPRIM_400000_NS6detail17trampoline_kernelINS0_14default_configENS1_35radix_sort_onesweep_config_selectorIjN6thrust23THRUST_200600_302600_NS5tupleIffNS6_9null_typeES8_S8_S8_S8_S8_S8_S8_EEEEZNS1_34radix_sort_onesweep_global_offsetsIS3_Lb0ENS6_6detail15normal_iteratorINS6_10device_ptrIjEEEENSD_INSE_IS9_EEEEjNS0_19identity_decomposerEEE10hipError_tT1_T2_PT3_SN_jT4_jjP12ihipStream_tbEUlT_E_NS1_11comp_targetILNS1_3genE6ELNS1_11target_archE950ELNS1_3gpuE13ELNS1_3repE0EEENS1_52radix_sort_onesweep_histogram_config_static_selectorELNS0_4arch9wavefront6targetE0EEEvSL_,comdat
	.protected	_ZN7rocprim17ROCPRIM_400000_NS6detail17trampoline_kernelINS0_14default_configENS1_35radix_sort_onesweep_config_selectorIjN6thrust23THRUST_200600_302600_NS5tupleIffNS6_9null_typeES8_S8_S8_S8_S8_S8_S8_EEEEZNS1_34radix_sort_onesweep_global_offsetsIS3_Lb0ENS6_6detail15normal_iteratorINS6_10device_ptrIjEEEENSD_INSE_IS9_EEEEjNS0_19identity_decomposerEEE10hipError_tT1_T2_PT3_SN_jT4_jjP12ihipStream_tbEUlT_E_NS1_11comp_targetILNS1_3genE6ELNS1_11target_archE950ELNS1_3gpuE13ELNS1_3repE0EEENS1_52radix_sort_onesweep_histogram_config_static_selectorELNS0_4arch9wavefront6targetE0EEEvSL_ ; -- Begin function _ZN7rocprim17ROCPRIM_400000_NS6detail17trampoline_kernelINS0_14default_configENS1_35radix_sort_onesweep_config_selectorIjN6thrust23THRUST_200600_302600_NS5tupleIffNS6_9null_typeES8_S8_S8_S8_S8_S8_S8_EEEEZNS1_34radix_sort_onesweep_global_offsetsIS3_Lb0ENS6_6detail15normal_iteratorINS6_10device_ptrIjEEEENSD_INSE_IS9_EEEEjNS0_19identity_decomposerEEE10hipError_tT1_T2_PT3_SN_jT4_jjP12ihipStream_tbEUlT_E_NS1_11comp_targetILNS1_3genE6ELNS1_11target_archE950ELNS1_3gpuE13ELNS1_3repE0EEENS1_52radix_sort_onesweep_histogram_config_static_selectorELNS0_4arch9wavefront6targetE0EEEvSL_
	.globl	_ZN7rocprim17ROCPRIM_400000_NS6detail17trampoline_kernelINS0_14default_configENS1_35radix_sort_onesweep_config_selectorIjN6thrust23THRUST_200600_302600_NS5tupleIffNS6_9null_typeES8_S8_S8_S8_S8_S8_S8_EEEEZNS1_34radix_sort_onesweep_global_offsetsIS3_Lb0ENS6_6detail15normal_iteratorINS6_10device_ptrIjEEEENSD_INSE_IS9_EEEEjNS0_19identity_decomposerEEE10hipError_tT1_T2_PT3_SN_jT4_jjP12ihipStream_tbEUlT_E_NS1_11comp_targetILNS1_3genE6ELNS1_11target_archE950ELNS1_3gpuE13ELNS1_3repE0EEENS1_52radix_sort_onesweep_histogram_config_static_selectorELNS0_4arch9wavefront6targetE0EEEvSL_
	.p2align	8
	.type	_ZN7rocprim17ROCPRIM_400000_NS6detail17trampoline_kernelINS0_14default_configENS1_35radix_sort_onesweep_config_selectorIjN6thrust23THRUST_200600_302600_NS5tupleIffNS6_9null_typeES8_S8_S8_S8_S8_S8_S8_EEEEZNS1_34radix_sort_onesweep_global_offsetsIS3_Lb0ENS6_6detail15normal_iteratorINS6_10device_ptrIjEEEENSD_INSE_IS9_EEEEjNS0_19identity_decomposerEEE10hipError_tT1_T2_PT3_SN_jT4_jjP12ihipStream_tbEUlT_E_NS1_11comp_targetILNS1_3genE6ELNS1_11target_archE950ELNS1_3gpuE13ELNS1_3repE0EEENS1_52radix_sort_onesweep_histogram_config_static_selectorELNS0_4arch9wavefront6targetE0EEEvSL_,@function
_ZN7rocprim17ROCPRIM_400000_NS6detail17trampoline_kernelINS0_14default_configENS1_35radix_sort_onesweep_config_selectorIjN6thrust23THRUST_200600_302600_NS5tupleIffNS6_9null_typeES8_S8_S8_S8_S8_S8_S8_EEEEZNS1_34radix_sort_onesweep_global_offsetsIS3_Lb0ENS6_6detail15normal_iteratorINS6_10device_ptrIjEEEENSD_INSE_IS9_EEEEjNS0_19identity_decomposerEEE10hipError_tT1_T2_PT3_SN_jT4_jjP12ihipStream_tbEUlT_E_NS1_11comp_targetILNS1_3genE6ELNS1_11target_archE950ELNS1_3gpuE13ELNS1_3repE0EEENS1_52radix_sort_onesweep_histogram_config_static_selectorELNS0_4arch9wavefront6targetE0EEEvSL_: ; @_ZN7rocprim17ROCPRIM_400000_NS6detail17trampoline_kernelINS0_14default_configENS1_35radix_sort_onesweep_config_selectorIjN6thrust23THRUST_200600_302600_NS5tupleIffNS6_9null_typeES8_S8_S8_S8_S8_S8_S8_EEEEZNS1_34radix_sort_onesweep_global_offsetsIS3_Lb0ENS6_6detail15normal_iteratorINS6_10device_ptrIjEEEENSD_INSE_IS9_EEEEjNS0_19identity_decomposerEEE10hipError_tT1_T2_PT3_SN_jT4_jjP12ihipStream_tbEUlT_E_NS1_11comp_targetILNS1_3genE6ELNS1_11target_archE950ELNS1_3gpuE13ELNS1_3repE0EEENS1_52radix_sort_onesweep_histogram_config_static_selectorELNS0_4arch9wavefront6targetE0EEEvSL_
; %bb.0:
	.section	.rodata,"a",@progbits
	.p2align	6, 0x0
	.amdhsa_kernel _ZN7rocprim17ROCPRIM_400000_NS6detail17trampoline_kernelINS0_14default_configENS1_35radix_sort_onesweep_config_selectorIjN6thrust23THRUST_200600_302600_NS5tupleIffNS6_9null_typeES8_S8_S8_S8_S8_S8_S8_EEEEZNS1_34radix_sort_onesweep_global_offsetsIS3_Lb0ENS6_6detail15normal_iteratorINS6_10device_ptrIjEEEENSD_INSE_IS9_EEEEjNS0_19identity_decomposerEEE10hipError_tT1_T2_PT3_SN_jT4_jjP12ihipStream_tbEUlT_E_NS1_11comp_targetILNS1_3genE6ELNS1_11target_archE950ELNS1_3gpuE13ELNS1_3repE0EEENS1_52radix_sort_onesweep_histogram_config_static_selectorELNS0_4arch9wavefront6targetE0EEEvSL_
		.amdhsa_group_segment_fixed_size 0
		.amdhsa_private_segment_fixed_size 0
		.amdhsa_kernarg_size 40
		.amdhsa_user_sgpr_count 2
		.amdhsa_user_sgpr_dispatch_ptr 0
		.amdhsa_user_sgpr_queue_ptr 0
		.amdhsa_user_sgpr_kernarg_segment_ptr 1
		.amdhsa_user_sgpr_dispatch_id 0
		.amdhsa_user_sgpr_private_segment_size 0
		.amdhsa_wavefront_size32 1
		.amdhsa_uses_dynamic_stack 0
		.amdhsa_enable_private_segment 0
		.amdhsa_system_sgpr_workgroup_id_x 1
		.amdhsa_system_sgpr_workgroup_id_y 0
		.amdhsa_system_sgpr_workgroup_id_z 0
		.amdhsa_system_sgpr_workgroup_info 0
		.amdhsa_system_vgpr_workitem_id 0
		.amdhsa_next_free_vgpr 1
		.amdhsa_next_free_sgpr 1
		.amdhsa_reserve_vcc 0
		.amdhsa_float_round_mode_32 0
		.amdhsa_float_round_mode_16_64 0
		.amdhsa_float_denorm_mode_32 3
		.amdhsa_float_denorm_mode_16_64 3
		.amdhsa_fp16_overflow 0
		.amdhsa_workgroup_processor_mode 1
		.amdhsa_memory_ordered 1
		.amdhsa_forward_progress 1
		.amdhsa_inst_pref_size 0
		.amdhsa_round_robin_scheduling 0
		.amdhsa_exception_fp_ieee_invalid_op 0
		.amdhsa_exception_fp_denorm_src 0
		.amdhsa_exception_fp_ieee_div_zero 0
		.amdhsa_exception_fp_ieee_overflow 0
		.amdhsa_exception_fp_ieee_underflow 0
		.amdhsa_exception_fp_ieee_inexact 0
		.amdhsa_exception_int_div_zero 0
	.end_amdhsa_kernel
	.section	.text._ZN7rocprim17ROCPRIM_400000_NS6detail17trampoline_kernelINS0_14default_configENS1_35radix_sort_onesweep_config_selectorIjN6thrust23THRUST_200600_302600_NS5tupleIffNS6_9null_typeES8_S8_S8_S8_S8_S8_S8_EEEEZNS1_34radix_sort_onesweep_global_offsetsIS3_Lb0ENS6_6detail15normal_iteratorINS6_10device_ptrIjEEEENSD_INSE_IS9_EEEEjNS0_19identity_decomposerEEE10hipError_tT1_T2_PT3_SN_jT4_jjP12ihipStream_tbEUlT_E_NS1_11comp_targetILNS1_3genE6ELNS1_11target_archE950ELNS1_3gpuE13ELNS1_3repE0EEENS1_52radix_sort_onesweep_histogram_config_static_selectorELNS0_4arch9wavefront6targetE0EEEvSL_,"axG",@progbits,_ZN7rocprim17ROCPRIM_400000_NS6detail17trampoline_kernelINS0_14default_configENS1_35radix_sort_onesweep_config_selectorIjN6thrust23THRUST_200600_302600_NS5tupleIffNS6_9null_typeES8_S8_S8_S8_S8_S8_S8_EEEEZNS1_34radix_sort_onesweep_global_offsetsIS3_Lb0ENS6_6detail15normal_iteratorINS6_10device_ptrIjEEEENSD_INSE_IS9_EEEEjNS0_19identity_decomposerEEE10hipError_tT1_T2_PT3_SN_jT4_jjP12ihipStream_tbEUlT_E_NS1_11comp_targetILNS1_3genE6ELNS1_11target_archE950ELNS1_3gpuE13ELNS1_3repE0EEENS1_52radix_sort_onesweep_histogram_config_static_selectorELNS0_4arch9wavefront6targetE0EEEvSL_,comdat
.Lfunc_end140:
	.size	_ZN7rocprim17ROCPRIM_400000_NS6detail17trampoline_kernelINS0_14default_configENS1_35radix_sort_onesweep_config_selectorIjN6thrust23THRUST_200600_302600_NS5tupleIffNS6_9null_typeES8_S8_S8_S8_S8_S8_S8_EEEEZNS1_34radix_sort_onesweep_global_offsetsIS3_Lb0ENS6_6detail15normal_iteratorINS6_10device_ptrIjEEEENSD_INSE_IS9_EEEEjNS0_19identity_decomposerEEE10hipError_tT1_T2_PT3_SN_jT4_jjP12ihipStream_tbEUlT_E_NS1_11comp_targetILNS1_3genE6ELNS1_11target_archE950ELNS1_3gpuE13ELNS1_3repE0EEENS1_52radix_sort_onesweep_histogram_config_static_selectorELNS0_4arch9wavefront6targetE0EEEvSL_, .Lfunc_end140-_ZN7rocprim17ROCPRIM_400000_NS6detail17trampoline_kernelINS0_14default_configENS1_35radix_sort_onesweep_config_selectorIjN6thrust23THRUST_200600_302600_NS5tupleIffNS6_9null_typeES8_S8_S8_S8_S8_S8_S8_EEEEZNS1_34radix_sort_onesweep_global_offsetsIS3_Lb0ENS6_6detail15normal_iteratorINS6_10device_ptrIjEEEENSD_INSE_IS9_EEEEjNS0_19identity_decomposerEEE10hipError_tT1_T2_PT3_SN_jT4_jjP12ihipStream_tbEUlT_E_NS1_11comp_targetILNS1_3genE6ELNS1_11target_archE950ELNS1_3gpuE13ELNS1_3repE0EEENS1_52radix_sort_onesweep_histogram_config_static_selectorELNS0_4arch9wavefront6targetE0EEEvSL_
                                        ; -- End function
	.set _ZN7rocprim17ROCPRIM_400000_NS6detail17trampoline_kernelINS0_14default_configENS1_35radix_sort_onesweep_config_selectorIjN6thrust23THRUST_200600_302600_NS5tupleIffNS6_9null_typeES8_S8_S8_S8_S8_S8_S8_EEEEZNS1_34radix_sort_onesweep_global_offsetsIS3_Lb0ENS6_6detail15normal_iteratorINS6_10device_ptrIjEEEENSD_INSE_IS9_EEEEjNS0_19identity_decomposerEEE10hipError_tT1_T2_PT3_SN_jT4_jjP12ihipStream_tbEUlT_E_NS1_11comp_targetILNS1_3genE6ELNS1_11target_archE950ELNS1_3gpuE13ELNS1_3repE0EEENS1_52radix_sort_onesweep_histogram_config_static_selectorELNS0_4arch9wavefront6targetE0EEEvSL_.num_vgpr, 0
	.set _ZN7rocprim17ROCPRIM_400000_NS6detail17trampoline_kernelINS0_14default_configENS1_35radix_sort_onesweep_config_selectorIjN6thrust23THRUST_200600_302600_NS5tupleIffNS6_9null_typeES8_S8_S8_S8_S8_S8_S8_EEEEZNS1_34radix_sort_onesweep_global_offsetsIS3_Lb0ENS6_6detail15normal_iteratorINS6_10device_ptrIjEEEENSD_INSE_IS9_EEEEjNS0_19identity_decomposerEEE10hipError_tT1_T2_PT3_SN_jT4_jjP12ihipStream_tbEUlT_E_NS1_11comp_targetILNS1_3genE6ELNS1_11target_archE950ELNS1_3gpuE13ELNS1_3repE0EEENS1_52radix_sort_onesweep_histogram_config_static_selectorELNS0_4arch9wavefront6targetE0EEEvSL_.num_agpr, 0
	.set _ZN7rocprim17ROCPRIM_400000_NS6detail17trampoline_kernelINS0_14default_configENS1_35radix_sort_onesweep_config_selectorIjN6thrust23THRUST_200600_302600_NS5tupleIffNS6_9null_typeES8_S8_S8_S8_S8_S8_S8_EEEEZNS1_34radix_sort_onesweep_global_offsetsIS3_Lb0ENS6_6detail15normal_iteratorINS6_10device_ptrIjEEEENSD_INSE_IS9_EEEEjNS0_19identity_decomposerEEE10hipError_tT1_T2_PT3_SN_jT4_jjP12ihipStream_tbEUlT_E_NS1_11comp_targetILNS1_3genE6ELNS1_11target_archE950ELNS1_3gpuE13ELNS1_3repE0EEENS1_52radix_sort_onesweep_histogram_config_static_selectorELNS0_4arch9wavefront6targetE0EEEvSL_.numbered_sgpr, 0
	.set _ZN7rocprim17ROCPRIM_400000_NS6detail17trampoline_kernelINS0_14default_configENS1_35radix_sort_onesweep_config_selectorIjN6thrust23THRUST_200600_302600_NS5tupleIffNS6_9null_typeES8_S8_S8_S8_S8_S8_S8_EEEEZNS1_34radix_sort_onesweep_global_offsetsIS3_Lb0ENS6_6detail15normal_iteratorINS6_10device_ptrIjEEEENSD_INSE_IS9_EEEEjNS0_19identity_decomposerEEE10hipError_tT1_T2_PT3_SN_jT4_jjP12ihipStream_tbEUlT_E_NS1_11comp_targetILNS1_3genE6ELNS1_11target_archE950ELNS1_3gpuE13ELNS1_3repE0EEENS1_52radix_sort_onesweep_histogram_config_static_selectorELNS0_4arch9wavefront6targetE0EEEvSL_.num_named_barrier, 0
	.set _ZN7rocprim17ROCPRIM_400000_NS6detail17trampoline_kernelINS0_14default_configENS1_35radix_sort_onesweep_config_selectorIjN6thrust23THRUST_200600_302600_NS5tupleIffNS6_9null_typeES8_S8_S8_S8_S8_S8_S8_EEEEZNS1_34radix_sort_onesweep_global_offsetsIS3_Lb0ENS6_6detail15normal_iteratorINS6_10device_ptrIjEEEENSD_INSE_IS9_EEEEjNS0_19identity_decomposerEEE10hipError_tT1_T2_PT3_SN_jT4_jjP12ihipStream_tbEUlT_E_NS1_11comp_targetILNS1_3genE6ELNS1_11target_archE950ELNS1_3gpuE13ELNS1_3repE0EEENS1_52radix_sort_onesweep_histogram_config_static_selectorELNS0_4arch9wavefront6targetE0EEEvSL_.private_seg_size, 0
	.set _ZN7rocprim17ROCPRIM_400000_NS6detail17trampoline_kernelINS0_14default_configENS1_35radix_sort_onesweep_config_selectorIjN6thrust23THRUST_200600_302600_NS5tupleIffNS6_9null_typeES8_S8_S8_S8_S8_S8_S8_EEEEZNS1_34radix_sort_onesweep_global_offsetsIS3_Lb0ENS6_6detail15normal_iteratorINS6_10device_ptrIjEEEENSD_INSE_IS9_EEEEjNS0_19identity_decomposerEEE10hipError_tT1_T2_PT3_SN_jT4_jjP12ihipStream_tbEUlT_E_NS1_11comp_targetILNS1_3genE6ELNS1_11target_archE950ELNS1_3gpuE13ELNS1_3repE0EEENS1_52radix_sort_onesweep_histogram_config_static_selectorELNS0_4arch9wavefront6targetE0EEEvSL_.uses_vcc, 0
	.set _ZN7rocprim17ROCPRIM_400000_NS6detail17trampoline_kernelINS0_14default_configENS1_35radix_sort_onesweep_config_selectorIjN6thrust23THRUST_200600_302600_NS5tupleIffNS6_9null_typeES8_S8_S8_S8_S8_S8_S8_EEEEZNS1_34radix_sort_onesweep_global_offsetsIS3_Lb0ENS6_6detail15normal_iteratorINS6_10device_ptrIjEEEENSD_INSE_IS9_EEEEjNS0_19identity_decomposerEEE10hipError_tT1_T2_PT3_SN_jT4_jjP12ihipStream_tbEUlT_E_NS1_11comp_targetILNS1_3genE6ELNS1_11target_archE950ELNS1_3gpuE13ELNS1_3repE0EEENS1_52radix_sort_onesweep_histogram_config_static_selectorELNS0_4arch9wavefront6targetE0EEEvSL_.uses_flat_scratch, 0
	.set _ZN7rocprim17ROCPRIM_400000_NS6detail17trampoline_kernelINS0_14default_configENS1_35radix_sort_onesweep_config_selectorIjN6thrust23THRUST_200600_302600_NS5tupleIffNS6_9null_typeES8_S8_S8_S8_S8_S8_S8_EEEEZNS1_34radix_sort_onesweep_global_offsetsIS3_Lb0ENS6_6detail15normal_iteratorINS6_10device_ptrIjEEEENSD_INSE_IS9_EEEEjNS0_19identity_decomposerEEE10hipError_tT1_T2_PT3_SN_jT4_jjP12ihipStream_tbEUlT_E_NS1_11comp_targetILNS1_3genE6ELNS1_11target_archE950ELNS1_3gpuE13ELNS1_3repE0EEENS1_52radix_sort_onesweep_histogram_config_static_selectorELNS0_4arch9wavefront6targetE0EEEvSL_.has_dyn_sized_stack, 0
	.set _ZN7rocprim17ROCPRIM_400000_NS6detail17trampoline_kernelINS0_14default_configENS1_35radix_sort_onesweep_config_selectorIjN6thrust23THRUST_200600_302600_NS5tupleIffNS6_9null_typeES8_S8_S8_S8_S8_S8_S8_EEEEZNS1_34radix_sort_onesweep_global_offsetsIS3_Lb0ENS6_6detail15normal_iteratorINS6_10device_ptrIjEEEENSD_INSE_IS9_EEEEjNS0_19identity_decomposerEEE10hipError_tT1_T2_PT3_SN_jT4_jjP12ihipStream_tbEUlT_E_NS1_11comp_targetILNS1_3genE6ELNS1_11target_archE950ELNS1_3gpuE13ELNS1_3repE0EEENS1_52radix_sort_onesweep_histogram_config_static_selectorELNS0_4arch9wavefront6targetE0EEEvSL_.has_recursion, 0
	.set _ZN7rocprim17ROCPRIM_400000_NS6detail17trampoline_kernelINS0_14default_configENS1_35radix_sort_onesweep_config_selectorIjN6thrust23THRUST_200600_302600_NS5tupleIffNS6_9null_typeES8_S8_S8_S8_S8_S8_S8_EEEEZNS1_34radix_sort_onesweep_global_offsetsIS3_Lb0ENS6_6detail15normal_iteratorINS6_10device_ptrIjEEEENSD_INSE_IS9_EEEEjNS0_19identity_decomposerEEE10hipError_tT1_T2_PT3_SN_jT4_jjP12ihipStream_tbEUlT_E_NS1_11comp_targetILNS1_3genE6ELNS1_11target_archE950ELNS1_3gpuE13ELNS1_3repE0EEENS1_52radix_sort_onesweep_histogram_config_static_selectorELNS0_4arch9wavefront6targetE0EEEvSL_.has_indirect_call, 0
	.section	.AMDGPU.csdata,"",@progbits
; Kernel info:
; codeLenInByte = 0
; TotalNumSgprs: 0
; NumVgprs: 0
; ScratchSize: 0
; MemoryBound: 0
; FloatMode: 240
; IeeeMode: 1
; LDSByteSize: 0 bytes/workgroup (compile time only)
; SGPRBlocks: 0
; VGPRBlocks: 0
; NumSGPRsForWavesPerEU: 1
; NumVGPRsForWavesPerEU: 1
; Occupancy: 16
; WaveLimiterHint : 0
; COMPUTE_PGM_RSRC2:SCRATCH_EN: 0
; COMPUTE_PGM_RSRC2:USER_SGPR: 2
; COMPUTE_PGM_RSRC2:TRAP_HANDLER: 0
; COMPUTE_PGM_RSRC2:TGID_X_EN: 1
; COMPUTE_PGM_RSRC2:TGID_Y_EN: 0
; COMPUTE_PGM_RSRC2:TGID_Z_EN: 0
; COMPUTE_PGM_RSRC2:TIDIG_COMP_CNT: 0
	.section	.text._ZN7rocprim17ROCPRIM_400000_NS6detail17trampoline_kernelINS0_14default_configENS1_35radix_sort_onesweep_config_selectorIjN6thrust23THRUST_200600_302600_NS5tupleIffNS6_9null_typeES8_S8_S8_S8_S8_S8_S8_EEEEZNS1_34radix_sort_onesweep_global_offsetsIS3_Lb0ENS6_6detail15normal_iteratorINS6_10device_ptrIjEEEENSD_INSE_IS9_EEEEjNS0_19identity_decomposerEEE10hipError_tT1_T2_PT3_SN_jT4_jjP12ihipStream_tbEUlT_E_NS1_11comp_targetILNS1_3genE5ELNS1_11target_archE942ELNS1_3gpuE9ELNS1_3repE0EEENS1_52radix_sort_onesweep_histogram_config_static_selectorELNS0_4arch9wavefront6targetE0EEEvSL_,"axG",@progbits,_ZN7rocprim17ROCPRIM_400000_NS6detail17trampoline_kernelINS0_14default_configENS1_35radix_sort_onesweep_config_selectorIjN6thrust23THRUST_200600_302600_NS5tupleIffNS6_9null_typeES8_S8_S8_S8_S8_S8_S8_EEEEZNS1_34radix_sort_onesweep_global_offsetsIS3_Lb0ENS6_6detail15normal_iteratorINS6_10device_ptrIjEEEENSD_INSE_IS9_EEEEjNS0_19identity_decomposerEEE10hipError_tT1_T2_PT3_SN_jT4_jjP12ihipStream_tbEUlT_E_NS1_11comp_targetILNS1_3genE5ELNS1_11target_archE942ELNS1_3gpuE9ELNS1_3repE0EEENS1_52radix_sort_onesweep_histogram_config_static_selectorELNS0_4arch9wavefront6targetE0EEEvSL_,comdat
	.protected	_ZN7rocprim17ROCPRIM_400000_NS6detail17trampoline_kernelINS0_14default_configENS1_35radix_sort_onesweep_config_selectorIjN6thrust23THRUST_200600_302600_NS5tupleIffNS6_9null_typeES8_S8_S8_S8_S8_S8_S8_EEEEZNS1_34radix_sort_onesweep_global_offsetsIS3_Lb0ENS6_6detail15normal_iteratorINS6_10device_ptrIjEEEENSD_INSE_IS9_EEEEjNS0_19identity_decomposerEEE10hipError_tT1_T2_PT3_SN_jT4_jjP12ihipStream_tbEUlT_E_NS1_11comp_targetILNS1_3genE5ELNS1_11target_archE942ELNS1_3gpuE9ELNS1_3repE0EEENS1_52radix_sort_onesweep_histogram_config_static_selectorELNS0_4arch9wavefront6targetE0EEEvSL_ ; -- Begin function _ZN7rocprim17ROCPRIM_400000_NS6detail17trampoline_kernelINS0_14default_configENS1_35radix_sort_onesweep_config_selectorIjN6thrust23THRUST_200600_302600_NS5tupleIffNS6_9null_typeES8_S8_S8_S8_S8_S8_S8_EEEEZNS1_34radix_sort_onesweep_global_offsetsIS3_Lb0ENS6_6detail15normal_iteratorINS6_10device_ptrIjEEEENSD_INSE_IS9_EEEEjNS0_19identity_decomposerEEE10hipError_tT1_T2_PT3_SN_jT4_jjP12ihipStream_tbEUlT_E_NS1_11comp_targetILNS1_3genE5ELNS1_11target_archE942ELNS1_3gpuE9ELNS1_3repE0EEENS1_52radix_sort_onesweep_histogram_config_static_selectorELNS0_4arch9wavefront6targetE0EEEvSL_
	.globl	_ZN7rocprim17ROCPRIM_400000_NS6detail17trampoline_kernelINS0_14default_configENS1_35radix_sort_onesweep_config_selectorIjN6thrust23THRUST_200600_302600_NS5tupleIffNS6_9null_typeES8_S8_S8_S8_S8_S8_S8_EEEEZNS1_34radix_sort_onesweep_global_offsetsIS3_Lb0ENS6_6detail15normal_iteratorINS6_10device_ptrIjEEEENSD_INSE_IS9_EEEEjNS0_19identity_decomposerEEE10hipError_tT1_T2_PT3_SN_jT4_jjP12ihipStream_tbEUlT_E_NS1_11comp_targetILNS1_3genE5ELNS1_11target_archE942ELNS1_3gpuE9ELNS1_3repE0EEENS1_52radix_sort_onesweep_histogram_config_static_selectorELNS0_4arch9wavefront6targetE0EEEvSL_
	.p2align	8
	.type	_ZN7rocprim17ROCPRIM_400000_NS6detail17trampoline_kernelINS0_14default_configENS1_35radix_sort_onesweep_config_selectorIjN6thrust23THRUST_200600_302600_NS5tupleIffNS6_9null_typeES8_S8_S8_S8_S8_S8_S8_EEEEZNS1_34radix_sort_onesweep_global_offsetsIS3_Lb0ENS6_6detail15normal_iteratorINS6_10device_ptrIjEEEENSD_INSE_IS9_EEEEjNS0_19identity_decomposerEEE10hipError_tT1_T2_PT3_SN_jT4_jjP12ihipStream_tbEUlT_E_NS1_11comp_targetILNS1_3genE5ELNS1_11target_archE942ELNS1_3gpuE9ELNS1_3repE0EEENS1_52radix_sort_onesweep_histogram_config_static_selectorELNS0_4arch9wavefront6targetE0EEEvSL_,@function
_ZN7rocprim17ROCPRIM_400000_NS6detail17trampoline_kernelINS0_14default_configENS1_35radix_sort_onesweep_config_selectorIjN6thrust23THRUST_200600_302600_NS5tupleIffNS6_9null_typeES8_S8_S8_S8_S8_S8_S8_EEEEZNS1_34radix_sort_onesweep_global_offsetsIS3_Lb0ENS6_6detail15normal_iteratorINS6_10device_ptrIjEEEENSD_INSE_IS9_EEEEjNS0_19identity_decomposerEEE10hipError_tT1_T2_PT3_SN_jT4_jjP12ihipStream_tbEUlT_E_NS1_11comp_targetILNS1_3genE5ELNS1_11target_archE942ELNS1_3gpuE9ELNS1_3repE0EEENS1_52radix_sort_onesweep_histogram_config_static_selectorELNS0_4arch9wavefront6targetE0EEEvSL_: ; @_ZN7rocprim17ROCPRIM_400000_NS6detail17trampoline_kernelINS0_14default_configENS1_35radix_sort_onesweep_config_selectorIjN6thrust23THRUST_200600_302600_NS5tupleIffNS6_9null_typeES8_S8_S8_S8_S8_S8_S8_EEEEZNS1_34radix_sort_onesweep_global_offsetsIS3_Lb0ENS6_6detail15normal_iteratorINS6_10device_ptrIjEEEENSD_INSE_IS9_EEEEjNS0_19identity_decomposerEEE10hipError_tT1_T2_PT3_SN_jT4_jjP12ihipStream_tbEUlT_E_NS1_11comp_targetILNS1_3genE5ELNS1_11target_archE942ELNS1_3gpuE9ELNS1_3repE0EEENS1_52radix_sort_onesweep_histogram_config_static_selectorELNS0_4arch9wavefront6targetE0EEEvSL_
; %bb.0:
	.section	.rodata,"a",@progbits
	.p2align	6, 0x0
	.amdhsa_kernel _ZN7rocprim17ROCPRIM_400000_NS6detail17trampoline_kernelINS0_14default_configENS1_35radix_sort_onesweep_config_selectorIjN6thrust23THRUST_200600_302600_NS5tupleIffNS6_9null_typeES8_S8_S8_S8_S8_S8_S8_EEEEZNS1_34radix_sort_onesweep_global_offsetsIS3_Lb0ENS6_6detail15normal_iteratorINS6_10device_ptrIjEEEENSD_INSE_IS9_EEEEjNS0_19identity_decomposerEEE10hipError_tT1_T2_PT3_SN_jT4_jjP12ihipStream_tbEUlT_E_NS1_11comp_targetILNS1_3genE5ELNS1_11target_archE942ELNS1_3gpuE9ELNS1_3repE0EEENS1_52radix_sort_onesweep_histogram_config_static_selectorELNS0_4arch9wavefront6targetE0EEEvSL_
		.amdhsa_group_segment_fixed_size 0
		.amdhsa_private_segment_fixed_size 0
		.amdhsa_kernarg_size 40
		.amdhsa_user_sgpr_count 2
		.amdhsa_user_sgpr_dispatch_ptr 0
		.amdhsa_user_sgpr_queue_ptr 0
		.amdhsa_user_sgpr_kernarg_segment_ptr 1
		.amdhsa_user_sgpr_dispatch_id 0
		.amdhsa_user_sgpr_private_segment_size 0
		.amdhsa_wavefront_size32 1
		.amdhsa_uses_dynamic_stack 0
		.amdhsa_enable_private_segment 0
		.amdhsa_system_sgpr_workgroup_id_x 1
		.amdhsa_system_sgpr_workgroup_id_y 0
		.amdhsa_system_sgpr_workgroup_id_z 0
		.amdhsa_system_sgpr_workgroup_info 0
		.amdhsa_system_vgpr_workitem_id 0
		.amdhsa_next_free_vgpr 1
		.amdhsa_next_free_sgpr 1
		.amdhsa_reserve_vcc 0
		.amdhsa_float_round_mode_32 0
		.amdhsa_float_round_mode_16_64 0
		.amdhsa_float_denorm_mode_32 3
		.amdhsa_float_denorm_mode_16_64 3
		.amdhsa_fp16_overflow 0
		.amdhsa_workgroup_processor_mode 1
		.amdhsa_memory_ordered 1
		.amdhsa_forward_progress 1
		.amdhsa_inst_pref_size 0
		.amdhsa_round_robin_scheduling 0
		.amdhsa_exception_fp_ieee_invalid_op 0
		.amdhsa_exception_fp_denorm_src 0
		.amdhsa_exception_fp_ieee_div_zero 0
		.amdhsa_exception_fp_ieee_overflow 0
		.amdhsa_exception_fp_ieee_underflow 0
		.amdhsa_exception_fp_ieee_inexact 0
		.amdhsa_exception_int_div_zero 0
	.end_amdhsa_kernel
	.section	.text._ZN7rocprim17ROCPRIM_400000_NS6detail17trampoline_kernelINS0_14default_configENS1_35radix_sort_onesweep_config_selectorIjN6thrust23THRUST_200600_302600_NS5tupleIffNS6_9null_typeES8_S8_S8_S8_S8_S8_S8_EEEEZNS1_34radix_sort_onesweep_global_offsetsIS3_Lb0ENS6_6detail15normal_iteratorINS6_10device_ptrIjEEEENSD_INSE_IS9_EEEEjNS0_19identity_decomposerEEE10hipError_tT1_T2_PT3_SN_jT4_jjP12ihipStream_tbEUlT_E_NS1_11comp_targetILNS1_3genE5ELNS1_11target_archE942ELNS1_3gpuE9ELNS1_3repE0EEENS1_52radix_sort_onesweep_histogram_config_static_selectorELNS0_4arch9wavefront6targetE0EEEvSL_,"axG",@progbits,_ZN7rocprim17ROCPRIM_400000_NS6detail17trampoline_kernelINS0_14default_configENS1_35radix_sort_onesweep_config_selectorIjN6thrust23THRUST_200600_302600_NS5tupleIffNS6_9null_typeES8_S8_S8_S8_S8_S8_S8_EEEEZNS1_34radix_sort_onesweep_global_offsetsIS3_Lb0ENS6_6detail15normal_iteratorINS6_10device_ptrIjEEEENSD_INSE_IS9_EEEEjNS0_19identity_decomposerEEE10hipError_tT1_T2_PT3_SN_jT4_jjP12ihipStream_tbEUlT_E_NS1_11comp_targetILNS1_3genE5ELNS1_11target_archE942ELNS1_3gpuE9ELNS1_3repE0EEENS1_52radix_sort_onesweep_histogram_config_static_selectorELNS0_4arch9wavefront6targetE0EEEvSL_,comdat
.Lfunc_end141:
	.size	_ZN7rocprim17ROCPRIM_400000_NS6detail17trampoline_kernelINS0_14default_configENS1_35radix_sort_onesweep_config_selectorIjN6thrust23THRUST_200600_302600_NS5tupleIffNS6_9null_typeES8_S8_S8_S8_S8_S8_S8_EEEEZNS1_34radix_sort_onesweep_global_offsetsIS3_Lb0ENS6_6detail15normal_iteratorINS6_10device_ptrIjEEEENSD_INSE_IS9_EEEEjNS0_19identity_decomposerEEE10hipError_tT1_T2_PT3_SN_jT4_jjP12ihipStream_tbEUlT_E_NS1_11comp_targetILNS1_3genE5ELNS1_11target_archE942ELNS1_3gpuE9ELNS1_3repE0EEENS1_52radix_sort_onesweep_histogram_config_static_selectorELNS0_4arch9wavefront6targetE0EEEvSL_, .Lfunc_end141-_ZN7rocprim17ROCPRIM_400000_NS6detail17trampoline_kernelINS0_14default_configENS1_35radix_sort_onesweep_config_selectorIjN6thrust23THRUST_200600_302600_NS5tupleIffNS6_9null_typeES8_S8_S8_S8_S8_S8_S8_EEEEZNS1_34radix_sort_onesweep_global_offsetsIS3_Lb0ENS6_6detail15normal_iteratorINS6_10device_ptrIjEEEENSD_INSE_IS9_EEEEjNS0_19identity_decomposerEEE10hipError_tT1_T2_PT3_SN_jT4_jjP12ihipStream_tbEUlT_E_NS1_11comp_targetILNS1_3genE5ELNS1_11target_archE942ELNS1_3gpuE9ELNS1_3repE0EEENS1_52radix_sort_onesweep_histogram_config_static_selectorELNS0_4arch9wavefront6targetE0EEEvSL_
                                        ; -- End function
	.set _ZN7rocprim17ROCPRIM_400000_NS6detail17trampoline_kernelINS0_14default_configENS1_35radix_sort_onesweep_config_selectorIjN6thrust23THRUST_200600_302600_NS5tupleIffNS6_9null_typeES8_S8_S8_S8_S8_S8_S8_EEEEZNS1_34radix_sort_onesweep_global_offsetsIS3_Lb0ENS6_6detail15normal_iteratorINS6_10device_ptrIjEEEENSD_INSE_IS9_EEEEjNS0_19identity_decomposerEEE10hipError_tT1_T2_PT3_SN_jT4_jjP12ihipStream_tbEUlT_E_NS1_11comp_targetILNS1_3genE5ELNS1_11target_archE942ELNS1_3gpuE9ELNS1_3repE0EEENS1_52radix_sort_onesweep_histogram_config_static_selectorELNS0_4arch9wavefront6targetE0EEEvSL_.num_vgpr, 0
	.set _ZN7rocprim17ROCPRIM_400000_NS6detail17trampoline_kernelINS0_14default_configENS1_35radix_sort_onesweep_config_selectorIjN6thrust23THRUST_200600_302600_NS5tupleIffNS6_9null_typeES8_S8_S8_S8_S8_S8_S8_EEEEZNS1_34radix_sort_onesweep_global_offsetsIS3_Lb0ENS6_6detail15normal_iteratorINS6_10device_ptrIjEEEENSD_INSE_IS9_EEEEjNS0_19identity_decomposerEEE10hipError_tT1_T2_PT3_SN_jT4_jjP12ihipStream_tbEUlT_E_NS1_11comp_targetILNS1_3genE5ELNS1_11target_archE942ELNS1_3gpuE9ELNS1_3repE0EEENS1_52radix_sort_onesweep_histogram_config_static_selectorELNS0_4arch9wavefront6targetE0EEEvSL_.num_agpr, 0
	.set _ZN7rocprim17ROCPRIM_400000_NS6detail17trampoline_kernelINS0_14default_configENS1_35radix_sort_onesweep_config_selectorIjN6thrust23THRUST_200600_302600_NS5tupleIffNS6_9null_typeES8_S8_S8_S8_S8_S8_S8_EEEEZNS1_34radix_sort_onesweep_global_offsetsIS3_Lb0ENS6_6detail15normal_iteratorINS6_10device_ptrIjEEEENSD_INSE_IS9_EEEEjNS0_19identity_decomposerEEE10hipError_tT1_T2_PT3_SN_jT4_jjP12ihipStream_tbEUlT_E_NS1_11comp_targetILNS1_3genE5ELNS1_11target_archE942ELNS1_3gpuE9ELNS1_3repE0EEENS1_52radix_sort_onesweep_histogram_config_static_selectorELNS0_4arch9wavefront6targetE0EEEvSL_.numbered_sgpr, 0
	.set _ZN7rocprim17ROCPRIM_400000_NS6detail17trampoline_kernelINS0_14default_configENS1_35radix_sort_onesweep_config_selectorIjN6thrust23THRUST_200600_302600_NS5tupleIffNS6_9null_typeES8_S8_S8_S8_S8_S8_S8_EEEEZNS1_34radix_sort_onesweep_global_offsetsIS3_Lb0ENS6_6detail15normal_iteratorINS6_10device_ptrIjEEEENSD_INSE_IS9_EEEEjNS0_19identity_decomposerEEE10hipError_tT1_T2_PT3_SN_jT4_jjP12ihipStream_tbEUlT_E_NS1_11comp_targetILNS1_3genE5ELNS1_11target_archE942ELNS1_3gpuE9ELNS1_3repE0EEENS1_52radix_sort_onesweep_histogram_config_static_selectorELNS0_4arch9wavefront6targetE0EEEvSL_.num_named_barrier, 0
	.set _ZN7rocprim17ROCPRIM_400000_NS6detail17trampoline_kernelINS0_14default_configENS1_35radix_sort_onesweep_config_selectorIjN6thrust23THRUST_200600_302600_NS5tupleIffNS6_9null_typeES8_S8_S8_S8_S8_S8_S8_EEEEZNS1_34radix_sort_onesweep_global_offsetsIS3_Lb0ENS6_6detail15normal_iteratorINS6_10device_ptrIjEEEENSD_INSE_IS9_EEEEjNS0_19identity_decomposerEEE10hipError_tT1_T2_PT3_SN_jT4_jjP12ihipStream_tbEUlT_E_NS1_11comp_targetILNS1_3genE5ELNS1_11target_archE942ELNS1_3gpuE9ELNS1_3repE0EEENS1_52radix_sort_onesweep_histogram_config_static_selectorELNS0_4arch9wavefront6targetE0EEEvSL_.private_seg_size, 0
	.set _ZN7rocprim17ROCPRIM_400000_NS6detail17trampoline_kernelINS0_14default_configENS1_35radix_sort_onesweep_config_selectorIjN6thrust23THRUST_200600_302600_NS5tupleIffNS6_9null_typeES8_S8_S8_S8_S8_S8_S8_EEEEZNS1_34radix_sort_onesweep_global_offsetsIS3_Lb0ENS6_6detail15normal_iteratorINS6_10device_ptrIjEEEENSD_INSE_IS9_EEEEjNS0_19identity_decomposerEEE10hipError_tT1_T2_PT3_SN_jT4_jjP12ihipStream_tbEUlT_E_NS1_11comp_targetILNS1_3genE5ELNS1_11target_archE942ELNS1_3gpuE9ELNS1_3repE0EEENS1_52radix_sort_onesweep_histogram_config_static_selectorELNS0_4arch9wavefront6targetE0EEEvSL_.uses_vcc, 0
	.set _ZN7rocprim17ROCPRIM_400000_NS6detail17trampoline_kernelINS0_14default_configENS1_35radix_sort_onesweep_config_selectorIjN6thrust23THRUST_200600_302600_NS5tupleIffNS6_9null_typeES8_S8_S8_S8_S8_S8_S8_EEEEZNS1_34radix_sort_onesweep_global_offsetsIS3_Lb0ENS6_6detail15normal_iteratorINS6_10device_ptrIjEEEENSD_INSE_IS9_EEEEjNS0_19identity_decomposerEEE10hipError_tT1_T2_PT3_SN_jT4_jjP12ihipStream_tbEUlT_E_NS1_11comp_targetILNS1_3genE5ELNS1_11target_archE942ELNS1_3gpuE9ELNS1_3repE0EEENS1_52radix_sort_onesweep_histogram_config_static_selectorELNS0_4arch9wavefront6targetE0EEEvSL_.uses_flat_scratch, 0
	.set _ZN7rocprim17ROCPRIM_400000_NS6detail17trampoline_kernelINS0_14default_configENS1_35radix_sort_onesweep_config_selectorIjN6thrust23THRUST_200600_302600_NS5tupleIffNS6_9null_typeES8_S8_S8_S8_S8_S8_S8_EEEEZNS1_34radix_sort_onesweep_global_offsetsIS3_Lb0ENS6_6detail15normal_iteratorINS6_10device_ptrIjEEEENSD_INSE_IS9_EEEEjNS0_19identity_decomposerEEE10hipError_tT1_T2_PT3_SN_jT4_jjP12ihipStream_tbEUlT_E_NS1_11comp_targetILNS1_3genE5ELNS1_11target_archE942ELNS1_3gpuE9ELNS1_3repE0EEENS1_52radix_sort_onesweep_histogram_config_static_selectorELNS0_4arch9wavefront6targetE0EEEvSL_.has_dyn_sized_stack, 0
	.set _ZN7rocprim17ROCPRIM_400000_NS6detail17trampoline_kernelINS0_14default_configENS1_35radix_sort_onesweep_config_selectorIjN6thrust23THRUST_200600_302600_NS5tupleIffNS6_9null_typeES8_S8_S8_S8_S8_S8_S8_EEEEZNS1_34radix_sort_onesweep_global_offsetsIS3_Lb0ENS6_6detail15normal_iteratorINS6_10device_ptrIjEEEENSD_INSE_IS9_EEEEjNS0_19identity_decomposerEEE10hipError_tT1_T2_PT3_SN_jT4_jjP12ihipStream_tbEUlT_E_NS1_11comp_targetILNS1_3genE5ELNS1_11target_archE942ELNS1_3gpuE9ELNS1_3repE0EEENS1_52radix_sort_onesweep_histogram_config_static_selectorELNS0_4arch9wavefront6targetE0EEEvSL_.has_recursion, 0
	.set _ZN7rocprim17ROCPRIM_400000_NS6detail17trampoline_kernelINS0_14default_configENS1_35radix_sort_onesweep_config_selectorIjN6thrust23THRUST_200600_302600_NS5tupleIffNS6_9null_typeES8_S8_S8_S8_S8_S8_S8_EEEEZNS1_34radix_sort_onesweep_global_offsetsIS3_Lb0ENS6_6detail15normal_iteratorINS6_10device_ptrIjEEEENSD_INSE_IS9_EEEEjNS0_19identity_decomposerEEE10hipError_tT1_T2_PT3_SN_jT4_jjP12ihipStream_tbEUlT_E_NS1_11comp_targetILNS1_3genE5ELNS1_11target_archE942ELNS1_3gpuE9ELNS1_3repE0EEENS1_52radix_sort_onesweep_histogram_config_static_selectorELNS0_4arch9wavefront6targetE0EEEvSL_.has_indirect_call, 0
	.section	.AMDGPU.csdata,"",@progbits
; Kernel info:
; codeLenInByte = 0
; TotalNumSgprs: 0
; NumVgprs: 0
; ScratchSize: 0
; MemoryBound: 0
; FloatMode: 240
; IeeeMode: 1
; LDSByteSize: 0 bytes/workgroup (compile time only)
; SGPRBlocks: 0
; VGPRBlocks: 0
; NumSGPRsForWavesPerEU: 1
; NumVGPRsForWavesPerEU: 1
; Occupancy: 16
; WaveLimiterHint : 0
; COMPUTE_PGM_RSRC2:SCRATCH_EN: 0
; COMPUTE_PGM_RSRC2:USER_SGPR: 2
; COMPUTE_PGM_RSRC2:TRAP_HANDLER: 0
; COMPUTE_PGM_RSRC2:TGID_X_EN: 1
; COMPUTE_PGM_RSRC2:TGID_Y_EN: 0
; COMPUTE_PGM_RSRC2:TGID_Z_EN: 0
; COMPUTE_PGM_RSRC2:TIDIG_COMP_CNT: 0
	.section	.text._ZN7rocprim17ROCPRIM_400000_NS6detail17trampoline_kernelINS0_14default_configENS1_35radix_sort_onesweep_config_selectorIjN6thrust23THRUST_200600_302600_NS5tupleIffNS6_9null_typeES8_S8_S8_S8_S8_S8_S8_EEEEZNS1_34radix_sort_onesweep_global_offsetsIS3_Lb0ENS6_6detail15normal_iteratorINS6_10device_ptrIjEEEENSD_INSE_IS9_EEEEjNS0_19identity_decomposerEEE10hipError_tT1_T2_PT3_SN_jT4_jjP12ihipStream_tbEUlT_E_NS1_11comp_targetILNS1_3genE2ELNS1_11target_archE906ELNS1_3gpuE6ELNS1_3repE0EEENS1_52radix_sort_onesweep_histogram_config_static_selectorELNS0_4arch9wavefront6targetE0EEEvSL_,"axG",@progbits,_ZN7rocprim17ROCPRIM_400000_NS6detail17trampoline_kernelINS0_14default_configENS1_35radix_sort_onesweep_config_selectorIjN6thrust23THRUST_200600_302600_NS5tupleIffNS6_9null_typeES8_S8_S8_S8_S8_S8_S8_EEEEZNS1_34radix_sort_onesweep_global_offsetsIS3_Lb0ENS6_6detail15normal_iteratorINS6_10device_ptrIjEEEENSD_INSE_IS9_EEEEjNS0_19identity_decomposerEEE10hipError_tT1_T2_PT3_SN_jT4_jjP12ihipStream_tbEUlT_E_NS1_11comp_targetILNS1_3genE2ELNS1_11target_archE906ELNS1_3gpuE6ELNS1_3repE0EEENS1_52radix_sort_onesweep_histogram_config_static_selectorELNS0_4arch9wavefront6targetE0EEEvSL_,comdat
	.protected	_ZN7rocprim17ROCPRIM_400000_NS6detail17trampoline_kernelINS0_14default_configENS1_35radix_sort_onesweep_config_selectorIjN6thrust23THRUST_200600_302600_NS5tupleIffNS6_9null_typeES8_S8_S8_S8_S8_S8_S8_EEEEZNS1_34radix_sort_onesweep_global_offsetsIS3_Lb0ENS6_6detail15normal_iteratorINS6_10device_ptrIjEEEENSD_INSE_IS9_EEEEjNS0_19identity_decomposerEEE10hipError_tT1_T2_PT3_SN_jT4_jjP12ihipStream_tbEUlT_E_NS1_11comp_targetILNS1_3genE2ELNS1_11target_archE906ELNS1_3gpuE6ELNS1_3repE0EEENS1_52radix_sort_onesweep_histogram_config_static_selectorELNS0_4arch9wavefront6targetE0EEEvSL_ ; -- Begin function _ZN7rocprim17ROCPRIM_400000_NS6detail17trampoline_kernelINS0_14default_configENS1_35radix_sort_onesweep_config_selectorIjN6thrust23THRUST_200600_302600_NS5tupleIffNS6_9null_typeES8_S8_S8_S8_S8_S8_S8_EEEEZNS1_34radix_sort_onesweep_global_offsetsIS3_Lb0ENS6_6detail15normal_iteratorINS6_10device_ptrIjEEEENSD_INSE_IS9_EEEEjNS0_19identity_decomposerEEE10hipError_tT1_T2_PT3_SN_jT4_jjP12ihipStream_tbEUlT_E_NS1_11comp_targetILNS1_3genE2ELNS1_11target_archE906ELNS1_3gpuE6ELNS1_3repE0EEENS1_52radix_sort_onesweep_histogram_config_static_selectorELNS0_4arch9wavefront6targetE0EEEvSL_
	.globl	_ZN7rocprim17ROCPRIM_400000_NS6detail17trampoline_kernelINS0_14default_configENS1_35radix_sort_onesweep_config_selectorIjN6thrust23THRUST_200600_302600_NS5tupleIffNS6_9null_typeES8_S8_S8_S8_S8_S8_S8_EEEEZNS1_34radix_sort_onesweep_global_offsetsIS3_Lb0ENS6_6detail15normal_iteratorINS6_10device_ptrIjEEEENSD_INSE_IS9_EEEEjNS0_19identity_decomposerEEE10hipError_tT1_T2_PT3_SN_jT4_jjP12ihipStream_tbEUlT_E_NS1_11comp_targetILNS1_3genE2ELNS1_11target_archE906ELNS1_3gpuE6ELNS1_3repE0EEENS1_52radix_sort_onesweep_histogram_config_static_selectorELNS0_4arch9wavefront6targetE0EEEvSL_
	.p2align	8
	.type	_ZN7rocprim17ROCPRIM_400000_NS6detail17trampoline_kernelINS0_14default_configENS1_35radix_sort_onesweep_config_selectorIjN6thrust23THRUST_200600_302600_NS5tupleIffNS6_9null_typeES8_S8_S8_S8_S8_S8_S8_EEEEZNS1_34radix_sort_onesweep_global_offsetsIS3_Lb0ENS6_6detail15normal_iteratorINS6_10device_ptrIjEEEENSD_INSE_IS9_EEEEjNS0_19identity_decomposerEEE10hipError_tT1_T2_PT3_SN_jT4_jjP12ihipStream_tbEUlT_E_NS1_11comp_targetILNS1_3genE2ELNS1_11target_archE906ELNS1_3gpuE6ELNS1_3repE0EEENS1_52radix_sort_onesweep_histogram_config_static_selectorELNS0_4arch9wavefront6targetE0EEEvSL_,@function
_ZN7rocprim17ROCPRIM_400000_NS6detail17trampoline_kernelINS0_14default_configENS1_35radix_sort_onesweep_config_selectorIjN6thrust23THRUST_200600_302600_NS5tupleIffNS6_9null_typeES8_S8_S8_S8_S8_S8_S8_EEEEZNS1_34radix_sort_onesweep_global_offsetsIS3_Lb0ENS6_6detail15normal_iteratorINS6_10device_ptrIjEEEENSD_INSE_IS9_EEEEjNS0_19identity_decomposerEEE10hipError_tT1_T2_PT3_SN_jT4_jjP12ihipStream_tbEUlT_E_NS1_11comp_targetILNS1_3genE2ELNS1_11target_archE906ELNS1_3gpuE6ELNS1_3repE0EEENS1_52radix_sort_onesweep_histogram_config_static_selectorELNS0_4arch9wavefront6targetE0EEEvSL_: ; @_ZN7rocprim17ROCPRIM_400000_NS6detail17trampoline_kernelINS0_14default_configENS1_35radix_sort_onesweep_config_selectorIjN6thrust23THRUST_200600_302600_NS5tupleIffNS6_9null_typeES8_S8_S8_S8_S8_S8_S8_EEEEZNS1_34radix_sort_onesweep_global_offsetsIS3_Lb0ENS6_6detail15normal_iteratorINS6_10device_ptrIjEEEENSD_INSE_IS9_EEEEjNS0_19identity_decomposerEEE10hipError_tT1_T2_PT3_SN_jT4_jjP12ihipStream_tbEUlT_E_NS1_11comp_targetILNS1_3genE2ELNS1_11target_archE906ELNS1_3gpuE6ELNS1_3repE0EEENS1_52radix_sort_onesweep_histogram_config_static_selectorELNS0_4arch9wavefront6targetE0EEEvSL_
; %bb.0:
	.section	.rodata,"a",@progbits
	.p2align	6, 0x0
	.amdhsa_kernel _ZN7rocprim17ROCPRIM_400000_NS6detail17trampoline_kernelINS0_14default_configENS1_35radix_sort_onesweep_config_selectorIjN6thrust23THRUST_200600_302600_NS5tupleIffNS6_9null_typeES8_S8_S8_S8_S8_S8_S8_EEEEZNS1_34radix_sort_onesweep_global_offsetsIS3_Lb0ENS6_6detail15normal_iteratorINS6_10device_ptrIjEEEENSD_INSE_IS9_EEEEjNS0_19identity_decomposerEEE10hipError_tT1_T2_PT3_SN_jT4_jjP12ihipStream_tbEUlT_E_NS1_11comp_targetILNS1_3genE2ELNS1_11target_archE906ELNS1_3gpuE6ELNS1_3repE0EEENS1_52radix_sort_onesweep_histogram_config_static_selectorELNS0_4arch9wavefront6targetE0EEEvSL_
		.amdhsa_group_segment_fixed_size 0
		.amdhsa_private_segment_fixed_size 0
		.amdhsa_kernarg_size 40
		.amdhsa_user_sgpr_count 2
		.amdhsa_user_sgpr_dispatch_ptr 0
		.amdhsa_user_sgpr_queue_ptr 0
		.amdhsa_user_sgpr_kernarg_segment_ptr 1
		.amdhsa_user_sgpr_dispatch_id 0
		.amdhsa_user_sgpr_private_segment_size 0
		.amdhsa_wavefront_size32 1
		.amdhsa_uses_dynamic_stack 0
		.amdhsa_enable_private_segment 0
		.amdhsa_system_sgpr_workgroup_id_x 1
		.amdhsa_system_sgpr_workgroup_id_y 0
		.amdhsa_system_sgpr_workgroup_id_z 0
		.amdhsa_system_sgpr_workgroup_info 0
		.amdhsa_system_vgpr_workitem_id 0
		.amdhsa_next_free_vgpr 1
		.amdhsa_next_free_sgpr 1
		.amdhsa_reserve_vcc 0
		.amdhsa_float_round_mode_32 0
		.amdhsa_float_round_mode_16_64 0
		.amdhsa_float_denorm_mode_32 3
		.amdhsa_float_denorm_mode_16_64 3
		.amdhsa_fp16_overflow 0
		.amdhsa_workgroup_processor_mode 1
		.amdhsa_memory_ordered 1
		.amdhsa_forward_progress 1
		.amdhsa_inst_pref_size 0
		.amdhsa_round_robin_scheduling 0
		.amdhsa_exception_fp_ieee_invalid_op 0
		.amdhsa_exception_fp_denorm_src 0
		.amdhsa_exception_fp_ieee_div_zero 0
		.amdhsa_exception_fp_ieee_overflow 0
		.amdhsa_exception_fp_ieee_underflow 0
		.amdhsa_exception_fp_ieee_inexact 0
		.amdhsa_exception_int_div_zero 0
	.end_amdhsa_kernel
	.section	.text._ZN7rocprim17ROCPRIM_400000_NS6detail17trampoline_kernelINS0_14default_configENS1_35radix_sort_onesweep_config_selectorIjN6thrust23THRUST_200600_302600_NS5tupleIffNS6_9null_typeES8_S8_S8_S8_S8_S8_S8_EEEEZNS1_34radix_sort_onesweep_global_offsetsIS3_Lb0ENS6_6detail15normal_iteratorINS6_10device_ptrIjEEEENSD_INSE_IS9_EEEEjNS0_19identity_decomposerEEE10hipError_tT1_T2_PT3_SN_jT4_jjP12ihipStream_tbEUlT_E_NS1_11comp_targetILNS1_3genE2ELNS1_11target_archE906ELNS1_3gpuE6ELNS1_3repE0EEENS1_52radix_sort_onesweep_histogram_config_static_selectorELNS0_4arch9wavefront6targetE0EEEvSL_,"axG",@progbits,_ZN7rocprim17ROCPRIM_400000_NS6detail17trampoline_kernelINS0_14default_configENS1_35radix_sort_onesweep_config_selectorIjN6thrust23THRUST_200600_302600_NS5tupleIffNS6_9null_typeES8_S8_S8_S8_S8_S8_S8_EEEEZNS1_34radix_sort_onesweep_global_offsetsIS3_Lb0ENS6_6detail15normal_iteratorINS6_10device_ptrIjEEEENSD_INSE_IS9_EEEEjNS0_19identity_decomposerEEE10hipError_tT1_T2_PT3_SN_jT4_jjP12ihipStream_tbEUlT_E_NS1_11comp_targetILNS1_3genE2ELNS1_11target_archE906ELNS1_3gpuE6ELNS1_3repE0EEENS1_52radix_sort_onesweep_histogram_config_static_selectorELNS0_4arch9wavefront6targetE0EEEvSL_,comdat
.Lfunc_end142:
	.size	_ZN7rocprim17ROCPRIM_400000_NS6detail17trampoline_kernelINS0_14default_configENS1_35radix_sort_onesweep_config_selectorIjN6thrust23THRUST_200600_302600_NS5tupleIffNS6_9null_typeES8_S8_S8_S8_S8_S8_S8_EEEEZNS1_34radix_sort_onesweep_global_offsetsIS3_Lb0ENS6_6detail15normal_iteratorINS6_10device_ptrIjEEEENSD_INSE_IS9_EEEEjNS0_19identity_decomposerEEE10hipError_tT1_T2_PT3_SN_jT4_jjP12ihipStream_tbEUlT_E_NS1_11comp_targetILNS1_3genE2ELNS1_11target_archE906ELNS1_3gpuE6ELNS1_3repE0EEENS1_52radix_sort_onesweep_histogram_config_static_selectorELNS0_4arch9wavefront6targetE0EEEvSL_, .Lfunc_end142-_ZN7rocprim17ROCPRIM_400000_NS6detail17trampoline_kernelINS0_14default_configENS1_35radix_sort_onesweep_config_selectorIjN6thrust23THRUST_200600_302600_NS5tupleIffNS6_9null_typeES8_S8_S8_S8_S8_S8_S8_EEEEZNS1_34radix_sort_onesweep_global_offsetsIS3_Lb0ENS6_6detail15normal_iteratorINS6_10device_ptrIjEEEENSD_INSE_IS9_EEEEjNS0_19identity_decomposerEEE10hipError_tT1_T2_PT3_SN_jT4_jjP12ihipStream_tbEUlT_E_NS1_11comp_targetILNS1_3genE2ELNS1_11target_archE906ELNS1_3gpuE6ELNS1_3repE0EEENS1_52radix_sort_onesweep_histogram_config_static_selectorELNS0_4arch9wavefront6targetE0EEEvSL_
                                        ; -- End function
	.set _ZN7rocprim17ROCPRIM_400000_NS6detail17trampoline_kernelINS0_14default_configENS1_35radix_sort_onesweep_config_selectorIjN6thrust23THRUST_200600_302600_NS5tupleIffNS6_9null_typeES8_S8_S8_S8_S8_S8_S8_EEEEZNS1_34radix_sort_onesweep_global_offsetsIS3_Lb0ENS6_6detail15normal_iteratorINS6_10device_ptrIjEEEENSD_INSE_IS9_EEEEjNS0_19identity_decomposerEEE10hipError_tT1_T2_PT3_SN_jT4_jjP12ihipStream_tbEUlT_E_NS1_11comp_targetILNS1_3genE2ELNS1_11target_archE906ELNS1_3gpuE6ELNS1_3repE0EEENS1_52radix_sort_onesweep_histogram_config_static_selectorELNS0_4arch9wavefront6targetE0EEEvSL_.num_vgpr, 0
	.set _ZN7rocprim17ROCPRIM_400000_NS6detail17trampoline_kernelINS0_14default_configENS1_35radix_sort_onesweep_config_selectorIjN6thrust23THRUST_200600_302600_NS5tupleIffNS6_9null_typeES8_S8_S8_S8_S8_S8_S8_EEEEZNS1_34radix_sort_onesweep_global_offsetsIS3_Lb0ENS6_6detail15normal_iteratorINS6_10device_ptrIjEEEENSD_INSE_IS9_EEEEjNS0_19identity_decomposerEEE10hipError_tT1_T2_PT3_SN_jT4_jjP12ihipStream_tbEUlT_E_NS1_11comp_targetILNS1_3genE2ELNS1_11target_archE906ELNS1_3gpuE6ELNS1_3repE0EEENS1_52radix_sort_onesweep_histogram_config_static_selectorELNS0_4arch9wavefront6targetE0EEEvSL_.num_agpr, 0
	.set _ZN7rocprim17ROCPRIM_400000_NS6detail17trampoline_kernelINS0_14default_configENS1_35radix_sort_onesweep_config_selectorIjN6thrust23THRUST_200600_302600_NS5tupleIffNS6_9null_typeES8_S8_S8_S8_S8_S8_S8_EEEEZNS1_34radix_sort_onesweep_global_offsetsIS3_Lb0ENS6_6detail15normal_iteratorINS6_10device_ptrIjEEEENSD_INSE_IS9_EEEEjNS0_19identity_decomposerEEE10hipError_tT1_T2_PT3_SN_jT4_jjP12ihipStream_tbEUlT_E_NS1_11comp_targetILNS1_3genE2ELNS1_11target_archE906ELNS1_3gpuE6ELNS1_3repE0EEENS1_52radix_sort_onesweep_histogram_config_static_selectorELNS0_4arch9wavefront6targetE0EEEvSL_.numbered_sgpr, 0
	.set _ZN7rocprim17ROCPRIM_400000_NS6detail17trampoline_kernelINS0_14default_configENS1_35radix_sort_onesweep_config_selectorIjN6thrust23THRUST_200600_302600_NS5tupleIffNS6_9null_typeES8_S8_S8_S8_S8_S8_S8_EEEEZNS1_34radix_sort_onesweep_global_offsetsIS3_Lb0ENS6_6detail15normal_iteratorINS6_10device_ptrIjEEEENSD_INSE_IS9_EEEEjNS0_19identity_decomposerEEE10hipError_tT1_T2_PT3_SN_jT4_jjP12ihipStream_tbEUlT_E_NS1_11comp_targetILNS1_3genE2ELNS1_11target_archE906ELNS1_3gpuE6ELNS1_3repE0EEENS1_52radix_sort_onesweep_histogram_config_static_selectorELNS0_4arch9wavefront6targetE0EEEvSL_.num_named_barrier, 0
	.set _ZN7rocprim17ROCPRIM_400000_NS6detail17trampoline_kernelINS0_14default_configENS1_35radix_sort_onesweep_config_selectorIjN6thrust23THRUST_200600_302600_NS5tupleIffNS6_9null_typeES8_S8_S8_S8_S8_S8_S8_EEEEZNS1_34radix_sort_onesweep_global_offsetsIS3_Lb0ENS6_6detail15normal_iteratorINS6_10device_ptrIjEEEENSD_INSE_IS9_EEEEjNS0_19identity_decomposerEEE10hipError_tT1_T2_PT3_SN_jT4_jjP12ihipStream_tbEUlT_E_NS1_11comp_targetILNS1_3genE2ELNS1_11target_archE906ELNS1_3gpuE6ELNS1_3repE0EEENS1_52radix_sort_onesweep_histogram_config_static_selectorELNS0_4arch9wavefront6targetE0EEEvSL_.private_seg_size, 0
	.set _ZN7rocprim17ROCPRIM_400000_NS6detail17trampoline_kernelINS0_14default_configENS1_35radix_sort_onesweep_config_selectorIjN6thrust23THRUST_200600_302600_NS5tupleIffNS6_9null_typeES8_S8_S8_S8_S8_S8_S8_EEEEZNS1_34radix_sort_onesweep_global_offsetsIS3_Lb0ENS6_6detail15normal_iteratorINS6_10device_ptrIjEEEENSD_INSE_IS9_EEEEjNS0_19identity_decomposerEEE10hipError_tT1_T2_PT3_SN_jT4_jjP12ihipStream_tbEUlT_E_NS1_11comp_targetILNS1_3genE2ELNS1_11target_archE906ELNS1_3gpuE6ELNS1_3repE0EEENS1_52radix_sort_onesweep_histogram_config_static_selectorELNS0_4arch9wavefront6targetE0EEEvSL_.uses_vcc, 0
	.set _ZN7rocprim17ROCPRIM_400000_NS6detail17trampoline_kernelINS0_14default_configENS1_35radix_sort_onesweep_config_selectorIjN6thrust23THRUST_200600_302600_NS5tupleIffNS6_9null_typeES8_S8_S8_S8_S8_S8_S8_EEEEZNS1_34radix_sort_onesweep_global_offsetsIS3_Lb0ENS6_6detail15normal_iteratorINS6_10device_ptrIjEEEENSD_INSE_IS9_EEEEjNS0_19identity_decomposerEEE10hipError_tT1_T2_PT3_SN_jT4_jjP12ihipStream_tbEUlT_E_NS1_11comp_targetILNS1_3genE2ELNS1_11target_archE906ELNS1_3gpuE6ELNS1_3repE0EEENS1_52radix_sort_onesweep_histogram_config_static_selectorELNS0_4arch9wavefront6targetE0EEEvSL_.uses_flat_scratch, 0
	.set _ZN7rocprim17ROCPRIM_400000_NS6detail17trampoline_kernelINS0_14default_configENS1_35radix_sort_onesweep_config_selectorIjN6thrust23THRUST_200600_302600_NS5tupleIffNS6_9null_typeES8_S8_S8_S8_S8_S8_S8_EEEEZNS1_34radix_sort_onesweep_global_offsetsIS3_Lb0ENS6_6detail15normal_iteratorINS6_10device_ptrIjEEEENSD_INSE_IS9_EEEEjNS0_19identity_decomposerEEE10hipError_tT1_T2_PT3_SN_jT4_jjP12ihipStream_tbEUlT_E_NS1_11comp_targetILNS1_3genE2ELNS1_11target_archE906ELNS1_3gpuE6ELNS1_3repE0EEENS1_52radix_sort_onesweep_histogram_config_static_selectorELNS0_4arch9wavefront6targetE0EEEvSL_.has_dyn_sized_stack, 0
	.set _ZN7rocprim17ROCPRIM_400000_NS6detail17trampoline_kernelINS0_14default_configENS1_35radix_sort_onesweep_config_selectorIjN6thrust23THRUST_200600_302600_NS5tupleIffNS6_9null_typeES8_S8_S8_S8_S8_S8_S8_EEEEZNS1_34radix_sort_onesweep_global_offsetsIS3_Lb0ENS6_6detail15normal_iteratorINS6_10device_ptrIjEEEENSD_INSE_IS9_EEEEjNS0_19identity_decomposerEEE10hipError_tT1_T2_PT3_SN_jT4_jjP12ihipStream_tbEUlT_E_NS1_11comp_targetILNS1_3genE2ELNS1_11target_archE906ELNS1_3gpuE6ELNS1_3repE0EEENS1_52radix_sort_onesweep_histogram_config_static_selectorELNS0_4arch9wavefront6targetE0EEEvSL_.has_recursion, 0
	.set _ZN7rocprim17ROCPRIM_400000_NS6detail17trampoline_kernelINS0_14default_configENS1_35radix_sort_onesweep_config_selectorIjN6thrust23THRUST_200600_302600_NS5tupleIffNS6_9null_typeES8_S8_S8_S8_S8_S8_S8_EEEEZNS1_34radix_sort_onesweep_global_offsetsIS3_Lb0ENS6_6detail15normal_iteratorINS6_10device_ptrIjEEEENSD_INSE_IS9_EEEEjNS0_19identity_decomposerEEE10hipError_tT1_T2_PT3_SN_jT4_jjP12ihipStream_tbEUlT_E_NS1_11comp_targetILNS1_3genE2ELNS1_11target_archE906ELNS1_3gpuE6ELNS1_3repE0EEENS1_52radix_sort_onesweep_histogram_config_static_selectorELNS0_4arch9wavefront6targetE0EEEvSL_.has_indirect_call, 0
	.section	.AMDGPU.csdata,"",@progbits
; Kernel info:
; codeLenInByte = 0
; TotalNumSgprs: 0
; NumVgprs: 0
; ScratchSize: 0
; MemoryBound: 0
; FloatMode: 240
; IeeeMode: 1
; LDSByteSize: 0 bytes/workgroup (compile time only)
; SGPRBlocks: 0
; VGPRBlocks: 0
; NumSGPRsForWavesPerEU: 1
; NumVGPRsForWavesPerEU: 1
; Occupancy: 16
; WaveLimiterHint : 0
; COMPUTE_PGM_RSRC2:SCRATCH_EN: 0
; COMPUTE_PGM_RSRC2:USER_SGPR: 2
; COMPUTE_PGM_RSRC2:TRAP_HANDLER: 0
; COMPUTE_PGM_RSRC2:TGID_X_EN: 1
; COMPUTE_PGM_RSRC2:TGID_Y_EN: 0
; COMPUTE_PGM_RSRC2:TGID_Z_EN: 0
; COMPUTE_PGM_RSRC2:TIDIG_COMP_CNT: 0
	.section	.text._ZN7rocprim17ROCPRIM_400000_NS6detail17trampoline_kernelINS0_14default_configENS1_35radix_sort_onesweep_config_selectorIjN6thrust23THRUST_200600_302600_NS5tupleIffNS6_9null_typeES8_S8_S8_S8_S8_S8_S8_EEEEZNS1_34radix_sort_onesweep_global_offsetsIS3_Lb0ENS6_6detail15normal_iteratorINS6_10device_ptrIjEEEENSD_INSE_IS9_EEEEjNS0_19identity_decomposerEEE10hipError_tT1_T2_PT3_SN_jT4_jjP12ihipStream_tbEUlT_E_NS1_11comp_targetILNS1_3genE4ELNS1_11target_archE910ELNS1_3gpuE8ELNS1_3repE0EEENS1_52radix_sort_onesweep_histogram_config_static_selectorELNS0_4arch9wavefront6targetE0EEEvSL_,"axG",@progbits,_ZN7rocprim17ROCPRIM_400000_NS6detail17trampoline_kernelINS0_14default_configENS1_35radix_sort_onesweep_config_selectorIjN6thrust23THRUST_200600_302600_NS5tupleIffNS6_9null_typeES8_S8_S8_S8_S8_S8_S8_EEEEZNS1_34radix_sort_onesweep_global_offsetsIS3_Lb0ENS6_6detail15normal_iteratorINS6_10device_ptrIjEEEENSD_INSE_IS9_EEEEjNS0_19identity_decomposerEEE10hipError_tT1_T2_PT3_SN_jT4_jjP12ihipStream_tbEUlT_E_NS1_11comp_targetILNS1_3genE4ELNS1_11target_archE910ELNS1_3gpuE8ELNS1_3repE0EEENS1_52radix_sort_onesweep_histogram_config_static_selectorELNS0_4arch9wavefront6targetE0EEEvSL_,comdat
	.protected	_ZN7rocprim17ROCPRIM_400000_NS6detail17trampoline_kernelINS0_14default_configENS1_35radix_sort_onesweep_config_selectorIjN6thrust23THRUST_200600_302600_NS5tupleIffNS6_9null_typeES8_S8_S8_S8_S8_S8_S8_EEEEZNS1_34radix_sort_onesweep_global_offsetsIS3_Lb0ENS6_6detail15normal_iteratorINS6_10device_ptrIjEEEENSD_INSE_IS9_EEEEjNS0_19identity_decomposerEEE10hipError_tT1_T2_PT3_SN_jT4_jjP12ihipStream_tbEUlT_E_NS1_11comp_targetILNS1_3genE4ELNS1_11target_archE910ELNS1_3gpuE8ELNS1_3repE0EEENS1_52radix_sort_onesweep_histogram_config_static_selectorELNS0_4arch9wavefront6targetE0EEEvSL_ ; -- Begin function _ZN7rocprim17ROCPRIM_400000_NS6detail17trampoline_kernelINS0_14default_configENS1_35radix_sort_onesweep_config_selectorIjN6thrust23THRUST_200600_302600_NS5tupleIffNS6_9null_typeES8_S8_S8_S8_S8_S8_S8_EEEEZNS1_34radix_sort_onesweep_global_offsetsIS3_Lb0ENS6_6detail15normal_iteratorINS6_10device_ptrIjEEEENSD_INSE_IS9_EEEEjNS0_19identity_decomposerEEE10hipError_tT1_T2_PT3_SN_jT4_jjP12ihipStream_tbEUlT_E_NS1_11comp_targetILNS1_3genE4ELNS1_11target_archE910ELNS1_3gpuE8ELNS1_3repE0EEENS1_52radix_sort_onesweep_histogram_config_static_selectorELNS0_4arch9wavefront6targetE0EEEvSL_
	.globl	_ZN7rocprim17ROCPRIM_400000_NS6detail17trampoline_kernelINS0_14default_configENS1_35radix_sort_onesweep_config_selectorIjN6thrust23THRUST_200600_302600_NS5tupleIffNS6_9null_typeES8_S8_S8_S8_S8_S8_S8_EEEEZNS1_34radix_sort_onesweep_global_offsetsIS3_Lb0ENS6_6detail15normal_iteratorINS6_10device_ptrIjEEEENSD_INSE_IS9_EEEEjNS0_19identity_decomposerEEE10hipError_tT1_T2_PT3_SN_jT4_jjP12ihipStream_tbEUlT_E_NS1_11comp_targetILNS1_3genE4ELNS1_11target_archE910ELNS1_3gpuE8ELNS1_3repE0EEENS1_52radix_sort_onesweep_histogram_config_static_selectorELNS0_4arch9wavefront6targetE0EEEvSL_
	.p2align	8
	.type	_ZN7rocprim17ROCPRIM_400000_NS6detail17trampoline_kernelINS0_14default_configENS1_35radix_sort_onesweep_config_selectorIjN6thrust23THRUST_200600_302600_NS5tupleIffNS6_9null_typeES8_S8_S8_S8_S8_S8_S8_EEEEZNS1_34radix_sort_onesweep_global_offsetsIS3_Lb0ENS6_6detail15normal_iteratorINS6_10device_ptrIjEEEENSD_INSE_IS9_EEEEjNS0_19identity_decomposerEEE10hipError_tT1_T2_PT3_SN_jT4_jjP12ihipStream_tbEUlT_E_NS1_11comp_targetILNS1_3genE4ELNS1_11target_archE910ELNS1_3gpuE8ELNS1_3repE0EEENS1_52radix_sort_onesweep_histogram_config_static_selectorELNS0_4arch9wavefront6targetE0EEEvSL_,@function
_ZN7rocprim17ROCPRIM_400000_NS6detail17trampoline_kernelINS0_14default_configENS1_35radix_sort_onesweep_config_selectorIjN6thrust23THRUST_200600_302600_NS5tupleIffNS6_9null_typeES8_S8_S8_S8_S8_S8_S8_EEEEZNS1_34radix_sort_onesweep_global_offsetsIS3_Lb0ENS6_6detail15normal_iteratorINS6_10device_ptrIjEEEENSD_INSE_IS9_EEEEjNS0_19identity_decomposerEEE10hipError_tT1_T2_PT3_SN_jT4_jjP12ihipStream_tbEUlT_E_NS1_11comp_targetILNS1_3genE4ELNS1_11target_archE910ELNS1_3gpuE8ELNS1_3repE0EEENS1_52radix_sort_onesweep_histogram_config_static_selectorELNS0_4arch9wavefront6targetE0EEEvSL_: ; @_ZN7rocprim17ROCPRIM_400000_NS6detail17trampoline_kernelINS0_14default_configENS1_35radix_sort_onesweep_config_selectorIjN6thrust23THRUST_200600_302600_NS5tupleIffNS6_9null_typeES8_S8_S8_S8_S8_S8_S8_EEEEZNS1_34radix_sort_onesweep_global_offsetsIS3_Lb0ENS6_6detail15normal_iteratorINS6_10device_ptrIjEEEENSD_INSE_IS9_EEEEjNS0_19identity_decomposerEEE10hipError_tT1_T2_PT3_SN_jT4_jjP12ihipStream_tbEUlT_E_NS1_11comp_targetILNS1_3genE4ELNS1_11target_archE910ELNS1_3gpuE8ELNS1_3repE0EEENS1_52radix_sort_onesweep_histogram_config_static_selectorELNS0_4arch9wavefront6targetE0EEEvSL_
; %bb.0:
	.section	.rodata,"a",@progbits
	.p2align	6, 0x0
	.amdhsa_kernel _ZN7rocprim17ROCPRIM_400000_NS6detail17trampoline_kernelINS0_14default_configENS1_35radix_sort_onesweep_config_selectorIjN6thrust23THRUST_200600_302600_NS5tupleIffNS6_9null_typeES8_S8_S8_S8_S8_S8_S8_EEEEZNS1_34radix_sort_onesweep_global_offsetsIS3_Lb0ENS6_6detail15normal_iteratorINS6_10device_ptrIjEEEENSD_INSE_IS9_EEEEjNS0_19identity_decomposerEEE10hipError_tT1_T2_PT3_SN_jT4_jjP12ihipStream_tbEUlT_E_NS1_11comp_targetILNS1_3genE4ELNS1_11target_archE910ELNS1_3gpuE8ELNS1_3repE0EEENS1_52radix_sort_onesweep_histogram_config_static_selectorELNS0_4arch9wavefront6targetE0EEEvSL_
		.amdhsa_group_segment_fixed_size 0
		.amdhsa_private_segment_fixed_size 0
		.amdhsa_kernarg_size 40
		.amdhsa_user_sgpr_count 2
		.amdhsa_user_sgpr_dispatch_ptr 0
		.amdhsa_user_sgpr_queue_ptr 0
		.amdhsa_user_sgpr_kernarg_segment_ptr 1
		.amdhsa_user_sgpr_dispatch_id 0
		.amdhsa_user_sgpr_private_segment_size 0
		.amdhsa_wavefront_size32 1
		.amdhsa_uses_dynamic_stack 0
		.amdhsa_enable_private_segment 0
		.amdhsa_system_sgpr_workgroup_id_x 1
		.amdhsa_system_sgpr_workgroup_id_y 0
		.amdhsa_system_sgpr_workgroup_id_z 0
		.amdhsa_system_sgpr_workgroup_info 0
		.amdhsa_system_vgpr_workitem_id 0
		.amdhsa_next_free_vgpr 1
		.amdhsa_next_free_sgpr 1
		.amdhsa_reserve_vcc 0
		.amdhsa_float_round_mode_32 0
		.amdhsa_float_round_mode_16_64 0
		.amdhsa_float_denorm_mode_32 3
		.amdhsa_float_denorm_mode_16_64 3
		.amdhsa_fp16_overflow 0
		.amdhsa_workgroup_processor_mode 1
		.amdhsa_memory_ordered 1
		.amdhsa_forward_progress 1
		.amdhsa_inst_pref_size 0
		.amdhsa_round_robin_scheduling 0
		.amdhsa_exception_fp_ieee_invalid_op 0
		.amdhsa_exception_fp_denorm_src 0
		.amdhsa_exception_fp_ieee_div_zero 0
		.amdhsa_exception_fp_ieee_overflow 0
		.amdhsa_exception_fp_ieee_underflow 0
		.amdhsa_exception_fp_ieee_inexact 0
		.amdhsa_exception_int_div_zero 0
	.end_amdhsa_kernel
	.section	.text._ZN7rocprim17ROCPRIM_400000_NS6detail17trampoline_kernelINS0_14default_configENS1_35radix_sort_onesweep_config_selectorIjN6thrust23THRUST_200600_302600_NS5tupleIffNS6_9null_typeES8_S8_S8_S8_S8_S8_S8_EEEEZNS1_34radix_sort_onesweep_global_offsetsIS3_Lb0ENS6_6detail15normal_iteratorINS6_10device_ptrIjEEEENSD_INSE_IS9_EEEEjNS0_19identity_decomposerEEE10hipError_tT1_T2_PT3_SN_jT4_jjP12ihipStream_tbEUlT_E_NS1_11comp_targetILNS1_3genE4ELNS1_11target_archE910ELNS1_3gpuE8ELNS1_3repE0EEENS1_52radix_sort_onesweep_histogram_config_static_selectorELNS0_4arch9wavefront6targetE0EEEvSL_,"axG",@progbits,_ZN7rocprim17ROCPRIM_400000_NS6detail17trampoline_kernelINS0_14default_configENS1_35radix_sort_onesweep_config_selectorIjN6thrust23THRUST_200600_302600_NS5tupleIffNS6_9null_typeES8_S8_S8_S8_S8_S8_S8_EEEEZNS1_34radix_sort_onesweep_global_offsetsIS3_Lb0ENS6_6detail15normal_iteratorINS6_10device_ptrIjEEEENSD_INSE_IS9_EEEEjNS0_19identity_decomposerEEE10hipError_tT1_T2_PT3_SN_jT4_jjP12ihipStream_tbEUlT_E_NS1_11comp_targetILNS1_3genE4ELNS1_11target_archE910ELNS1_3gpuE8ELNS1_3repE0EEENS1_52radix_sort_onesweep_histogram_config_static_selectorELNS0_4arch9wavefront6targetE0EEEvSL_,comdat
.Lfunc_end143:
	.size	_ZN7rocprim17ROCPRIM_400000_NS6detail17trampoline_kernelINS0_14default_configENS1_35radix_sort_onesweep_config_selectorIjN6thrust23THRUST_200600_302600_NS5tupleIffNS6_9null_typeES8_S8_S8_S8_S8_S8_S8_EEEEZNS1_34radix_sort_onesweep_global_offsetsIS3_Lb0ENS6_6detail15normal_iteratorINS6_10device_ptrIjEEEENSD_INSE_IS9_EEEEjNS0_19identity_decomposerEEE10hipError_tT1_T2_PT3_SN_jT4_jjP12ihipStream_tbEUlT_E_NS1_11comp_targetILNS1_3genE4ELNS1_11target_archE910ELNS1_3gpuE8ELNS1_3repE0EEENS1_52radix_sort_onesweep_histogram_config_static_selectorELNS0_4arch9wavefront6targetE0EEEvSL_, .Lfunc_end143-_ZN7rocprim17ROCPRIM_400000_NS6detail17trampoline_kernelINS0_14default_configENS1_35radix_sort_onesweep_config_selectorIjN6thrust23THRUST_200600_302600_NS5tupleIffNS6_9null_typeES8_S8_S8_S8_S8_S8_S8_EEEEZNS1_34radix_sort_onesweep_global_offsetsIS3_Lb0ENS6_6detail15normal_iteratorINS6_10device_ptrIjEEEENSD_INSE_IS9_EEEEjNS0_19identity_decomposerEEE10hipError_tT1_T2_PT3_SN_jT4_jjP12ihipStream_tbEUlT_E_NS1_11comp_targetILNS1_3genE4ELNS1_11target_archE910ELNS1_3gpuE8ELNS1_3repE0EEENS1_52radix_sort_onesweep_histogram_config_static_selectorELNS0_4arch9wavefront6targetE0EEEvSL_
                                        ; -- End function
	.set _ZN7rocprim17ROCPRIM_400000_NS6detail17trampoline_kernelINS0_14default_configENS1_35radix_sort_onesweep_config_selectorIjN6thrust23THRUST_200600_302600_NS5tupleIffNS6_9null_typeES8_S8_S8_S8_S8_S8_S8_EEEEZNS1_34radix_sort_onesweep_global_offsetsIS3_Lb0ENS6_6detail15normal_iteratorINS6_10device_ptrIjEEEENSD_INSE_IS9_EEEEjNS0_19identity_decomposerEEE10hipError_tT1_T2_PT3_SN_jT4_jjP12ihipStream_tbEUlT_E_NS1_11comp_targetILNS1_3genE4ELNS1_11target_archE910ELNS1_3gpuE8ELNS1_3repE0EEENS1_52radix_sort_onesweep_histogram_config_static_selectorELNS0_4arch9wavefront6targetE0EEEvSL_.num_vgpr, 0
	.set _ZN7rocprim17ROCPRIM_400000_NS6detail17trampoline_kernelINS0_14default_configENS1_35radix_sort_onesweep_config_selectorIjN6thrust23THRUST_200600_302600_NS5tupleIffNS6_9null_typeES8_S8_S8_S8_S8_S8_S8_EEEEZNS1_34radix_sort_onesweep_global_offsetsIS3_Lb0ENS6_6detail15normal_iteratorINS6_10device_ptrIjEEEENSD_INSE_IS9_EEEEjNS0_19identity_decomposerEEE10hipError_tT1_T2_PT3_SN_jT4_jjP12ihipStream_tbEUlT_E_NS1_11comp_targetILNS1_3genE4ELNS1_11target_archE910ELNS1_3gpuE8ELNS1_3repE0EEENS1_52radix_sort_onesweep_histogram_config_static_selectorELNS0_4arch9wavefront6targetE0EEEvSL_.num_agpr, 0
	.set _ZN7rocprim17ROCPRIM_400000_NS6detail17trampoline_kernelINS0_14default_configENS1_35radix_sort_onesweep_config_selectorIjN6thrust23THRUST_200600_302600_NS5tupleIffNS6_9null_typeES8_S8_S8_S8_S8_S8_S8_EEEEZNS1_34radix_sort_onesweep_global_offsetsIS3_Lb0ENS6_6detail15normal_iteratorINS6_10device_ptrIjEEEENSD_INSE_IS9_EEEEjNS0_19identity_decomposerEEE10hipError_tT1_T2_PT3_SN_jT4_jjP12ihipStream_tbEUlT_E_NS1_11comp_targetILNS1_3genE4ELNS1_11target_archE910ELNS1_3gpuE8ELNS1_3repE0EEENS1_52radix_sort_onesweep_histogram_config_static_selectorELNS0_4arch9wavefront6targetE0EEEvSL_.numbered_sgpr, 0
	.set _ZN7rocprim17ROCPRIM_400000_NS6detail17trampoline_kernelINS0_14default_configENS1_35radix_sort_onesweep_config_selectorIjN6thrust23THRUST_200600_302600_NS5tupleIffNS6_9null_typeES8_S8_S8_S8_S8_S8_S8_EEEEZNS1_34radix_sort_onesweep_global_offsetsIS3_Lb0ENS6_6detail15normal_iteratorINS6_10device_ptrIjEEEENSD_INSE_IS9_EEEEjNS0_19identity_decomposerEEE10hipError_tT1_T2_PT3_SN_jT4_jjP12ihipStream_tbEUlT_E_NS1_11comp_targetILNS1_3genE4ELNS1_11target_archE910ELNS1_3gpuE8ELNS1_3repE0EEENS1_52radix_sort_onesweep_histogram_config_static_selectorELNS0_4arch9wavefront6targetE0EEEvSL_.num_named_barrier, 0
	.set _ZN7rocprim17ROCPRIM_400000_NS6detail17trampoline_kernelINS0_14default_configENS1_35radix_sort_onesweep_config_selectorIjN6thrust23THRUST_200600_302600_NS5tupleIffNS6_9null_typeES8_S8_S8_S8_S8_S8_S8_EEEEZNS1_34radix_sort_onesweep_global_offsetsIS3_Lb0ENS6_6detail15normal_iteratorINS6_10device_ptrIjEEEENSD_INSE_IS9_EEEEjNS0_19identity_decomposerEEE10hipError_tT1_T2_PT3_SN_jT4_jjP12ihipStream_tbEUlT_E_NS1_11comp_targetILNS1_3genE4ELNS1_11target_archE910ELNS1_3gpuE8ELNS1_3repE0EEENS1_52radix_sort_onesweep_histogram_config_static_selectorELNS0_4arch9wavefront6targetE0EEEvSL_.private_seg_size, 0
	.set _ZN7rocprim17ROCPRIM_400000_NS6detail17trampoline_kernelINS0_14default_configENS1_35radix_sort_onesweep_config_selectorIjN6thrust23THRUST_200600_302600_NS5tupleIffNS6_9null_typeES8_S8_S8_S8_S8_S8_S8_EEEEZNS1_34radix_sort_onesweep_global_offsetsIS3_Lb0ENS6_6detail15normal_iteratorINS6_10device_ptrIjEEEENSD_INSE_IS9_EEEEjNS0_19identity_decomposerEEE10hipError_tT1_T2_PT3_SN_jT4_jjP12ihipStream_tbEUlT_E_NS1_11comp_targetILNS1_3genE4ELNS1_11target_archE910ELNS1_3gpuE8ELNS1_3repE0EEENS1_52radix_sort_onesweep_histogram_config_static_selectorELNS0_4arch9wavefront6targetE0EEEvSL_.uses_vcc, 0
	.set _ZN7rocprim17ROCPRIM_400000_NS6detail17trampoline_kernelINS0_14default_configENS1_35radix_sort_onesweep_config_selectorIjN6thrust23THRUST_200600_302600_NS5tupleIffNS6_9null_typeES8_S8_S8_S8_S8_S8_S8_EEEEZNS1_34radix_sort_onesweep_global_offsetsIS3_Lb0ENS6_6detail15normal_iteratorINS6_10device_ptrIjEEEENSD_INSE_IS9_EEEEjNS0_19identity_decomposerEEE10hipError_tT1_T2_PT3_SN_jT4_jjP12ihipStream_tbEUlT_E_NS1_11comp_targetILNS1_3genE4ELNS1_11target_archE910ELNS1_3gpuE8ELNS1_3repE0EEENS1_52radix_sort_onesweep_histogram_config_static_selectorELNS0_4arch9wavefront6targetE0EEEvSL_.uses_flat_scratch, 0
	.set _ZN7rocprim17ROCPRIM_400000_NS6detail17trampoline_kernelINS0_14default_configENS1_35radix_sort_onesweep_config_selectorIjN6thrust23THRUST_200600_302600_NS5tupleIffNS6_9null_typeES8_S8_S8_S8_S8_S8_S8_EEEEZNS1_34radix_sort_onesweep_global_offsetsIS3_Lb0ENS6_6detail15normal_iteratorINS6_10device_ptrIjEEEENSD_INSE_IS9_EEEEjNS0_19identity_decomposerEEE10hipError_tT1_T2_PT3_SN_jT4_jjP12ihipStream_tbEUlT_E_NS1_11comp_targetILNS1_3genE4ELNS1_11target_archE910ELNS1_3gpuE8ELNS1_3repE0EEENS1_52radix_sort_onesweep_histogram_config_static_selectorELNS0_4arch9wavefront6targetE0EEEvSL_.has_dyn_sized_stack, 0
	.set _ZN7rocprim17ROCPRIM_400000_NS6detail17trampoline_kernelINS0_14default_configENS1_35radix_sort_onesweep_config_selectorIjN6thrust23THRUST_200600_302600_NS5tupleIffNS6_9null_typeES8_S8_S8_S8_S8_S8_S8_EEEEZNS1_34radix_sort_onesweep_global_offsetsIS3_Lb0ENS6_6detail15normal_iteratorINS6_10device_ptrIjEEEENSD_INSE_IS9_EEEEjNS0_19identity_decomposerEEE10hipError_tT1_T2_PT3_SN_jT4_jjP12ihipStream_tbEUlT_E_NS1_11comp_targetILNS1_3genE4ELNS1_11target_archE910ELNS1_3gpuE8ELNS1_3repE0EEENS1_52radix_sort_onesweep_histogram_config_static_selectorELNS0_4arch9wavefront6targetE0EEEvSL_.has_recursion, 0
	.set _ZN7rocprim17ROCPRIM_400000_NS6detail17trampoline_kernelINS0_14default_configENS1_35radix_sort_onesweep_config_selectorIjN6thrust23THRUST_200600_302600_NS5tupleIffNS6_9null_typeES8_S8_S8_S8_S8_S8_S8_EEEEZNS1_34radix_sort_onesweep_global_offsetsIS3_Lb0ENS6_6detail15normal_iteratorINS6_10device_ptrIjEEEENSD_INSE_IS9_EEEEjNS0_19identity_decomposerEEE10hipError_tT1_T2_PT3_SN_jT4_jjP12ihipStream_tbEUlT_E_NS1_11comp_targetILNS1_3genE4ELNS1_11target_archE910ELNS1_3gpuE8ELNS1_3repE0EEENS1_52radix_sort_onesweep_histogram_config_static_selectorELNS0_4arch9wavefront6targetE0EEEvSL_.has_indirect_call, 0
	.section	.AMDGPU.csdata,"",@progbits
; Kernel info:
; codeLenInByte = 0
; TotalNumSgprs: 0
; NumVgprs: 0
; ScratchSize: 0
; MemoryBound: 0
; FloatMode: 240
; IeeeMode: 1
; LDSByteSize: 0 bytes/workgroup (compile time only)
; SGPRBlocks: 0
; VGPRBlocks: 0
; NumSGPRsForWavesPerEU: 1
; NumVGPRsForWavesPerEU: 1
; Occupancy: 16
; WaveLimiterHint : 0
; COMPUTE_PGM_RSRC2:SCRATCH_EN: 0
; COMPUTE_PGM_RSRC2:USER_SGPR: 2
; COMPUTE_PGM_RSRC2:TRAP_HANDLER: 0
; COMPUTE_PGM_RSRC2:TGID_X_EN: 1
; COMPUTE_PGM_RSRC2:TGID_Y_EN: 0
; COMPUTE_PGM_RSRC2:TGID_Z_EN: 0
; COMPUTE_PGM_RSRC2:TIDIG_COMP_CNT: 0
	.section	.text._ZN7rocprim17ROCPRIM_400000_NS6detail17trampoline_kernelINS0_14default_configENS1_35radix_sort_onesweep_config_selectorIjN6thrust23THRUST_200600_302600_NS5tupleIffNS6_9null_typeES8_S8_S8_S8_S8_S8_S8_EEEEZNS1_34radix_sort_onesweep_global_offsetsIS3_Lb0ENS6_6detail15normal_iteratorINS6_10device_ptrIjEEEENSD_INSE_IS9_EEEEjNS0_19identity_decomposerEEE10hipError_tT1_T2_PT3_SN_jT4_jjP12ihipStream_tbEUlT_E_NS1_11comp_targetILNS1_3genE3ELNS1_11target_archE908ELNS1_3gpuE7ELNS1_3repE0EEENS1_52radix_sort_onesweep_histogram_config_static_selectorELNS0_4arch9wavefront6targetE0EEEvSL_,"axG",@progbits,_ZN7rocprim17ROCPRIM_400000_NS6detail17trampoline_kernelINS0_14default_configENS1_35radix_sort_onesweep_config_selectorIjN6thrust23THRUST_200600_302600_NS5tupleIffNS6_9null_typeES8_S8_S8_S8_S8_S8_S8_EEEEZNS1_34radix_sort_onesweep_global_offsetsIS3_Lb0ENS6_6detail15normal_iteratorINS6_10device_ptrIjEEEENSD_INSE_IS9_EEEEjNS0_19identity_decomposerEEE10hipError_tT1_T2_PT3_SN_jT4_jjP12ihipStream_tbEUlT_E_NS1_11comp_targetILNS1_3genE3ELNS1_11target_archE908ELNS1_3gpuE7ELNS1_3repE0EEENS1_52radix_sort_onesweep_histogram_config_static_selectorELNS0_4arch9wavefront6targetE0EEEvSL_,comdat
	.protected	_ZN7rocprim17ROCPRIM_400000_NS6detail17trampoline_kernelINS0_14default_configENS1_35radix_sort_onesweep_config_selectorIjN6thrust23THRUST_200600_302600_NS5tupleIffNS6_9null_typeES8_S8_S8_S8_S8_S8_S8_EEEEZNS1_34radix_sort_onesweep_global_offsetsIS3_Lb0ENS6_6detail15normal_iteratorINS6_10device_ptrIjEEEENSD_INSE_IS9_EEEEjNS0_19identity_decomposerEEE10hipError_tT1_T2_PT3_SN_jT4_jjP12ihipStream_tbEUlT_E_NS1_11comp_targetILNS1_3genE3ELNS1_11target_archE908ELNS1_3gpuE7ELNS1_3repE0EEENS1_52radix_sort_onesweep_histogram_config_static_selectorELNS0_4arch9wavefront6targetE0EEEvSL_ ; -- Begin function _ZN7rocprim17ROCPRIM_400000_NS6detail17trampoline_kernelINS0_14default_configENS1_35radix_sort_onesweep_config_selectorIjN6thrust23THRUST_200600_302600_NS5tupleIffNS6_9null_typeES8_S8_S8_S8_S8_S8_S8_EEEEZNS1_34radix_sort_onesweep_global_offsetsIS3_Lb0ENS6_6detail15normal_iteratorINS6_10device_ptrIjEEEENSD_INSE_IS9_EEEEjNS0_19identity_decomposerEEE10hipError_tT1_T2_PT3_SN_jT4_jjP12ihipStream_tbEUlT_E_NS1_11comp_targetILNS1_3genE3ELNS1_11target_archE908ELNS1_3gpuE7ELNS1_3repE0EEENS1_52radix_sort_onesweep_histogram_config_static_selectorELNS0_4arch9wavefront6targetE0EEEvSL_
	.globl	_ZN7rocprim17ROCPRIM_400000_NS6detail17trampoline_kernelINS0_14default_configENS1_35radix_sort_onesweep_config_selectorIjN6thrust23THRUST_200600_302600_NS5tupleIffNS6_9null_typeES8_S8_S8_S8_S8_S8_S8_EEEEZNS1_34radix_sort_onesweep_global_offsetsIS3_Lb0ENS6_6detail15normal_iteratorINS6_10device_ptrIjEEEENSD_INSE_IS9_EEEEjNS0_19identity_decomposerEEE10hipError_tT1_T2_PT3_SN_jT4_jjP12ihipStream_tbEUlT_E_NS1_11comp_targetILNS1_3genE3ELNS1_11target_archE908ELNS1_3gpuE7ELNS1_3repE0EEENS1_52radix_sort_onesweep_histogram_config_static_selectorELNS0_4arch9wavefront6targetE0EEEvSL_
	.p2align	8
	.type	_ZN7rocprim17ROCPRIM_400000_NS6detail17trampoline_kernelINS0_14default_configENS1_35radix_sort_onesweep_config_selectorIjN6thrust23THRUST_200600_302600_NS5tupleIffNS6_9null_typeES8_S8_S8_S8_S8_S8_S8_EEEEZNS1_34radix_sort_onesweep_global_offsetsIS3_Lb0ENS6_6detail15normal_iteratorINS6_10device_ptrIjEEEENSD_INSE_IS9_EEEEjNS0_19identity_decomposerEEE10hipError_tT1_T2_PT3_SN_jT4_jjP12ihipStream_tbEUlT_E_NS1_11comp_targetILNS1_3genE3ELNS1_11target_archE908ELNS1_3gpuE7ELNS1_3repE0EEENS1_52radix_sort_onesweep_histogram_config_static_selectorELNS0_4arch9wavefront6targetE0EEEvSL_,@function
_ZN7rocprim17ROCPRIM_400000_NS6detail17trampoline_kernelINS0_14default_configENS1_35radix_sort_onesweep_config_selectorIjN6thrust23THRUST_200600_302600_NS5tupleIffNS6_9null_typeES8_S8_S8_S8_S8_S8_S8_EEEEZNS1_34radix_sort_onesweep_global_offsetsIS3_Lb0ENS6_6detail15normal_iteratorINS6_10device_ptrIjEEEENSD_INSE_IS9_EEEEjNS0_19identity_decomposerEEE10hipError_tT1_T2_PT3_SN_jT4_jjP12ihipStream_tbEUlT_E_NS1_11comp_targetILNS1_3genE3ELNS1_11target_archE908ELNS1_3gpuE7ELNS1_3repE0EEENS1_52radix_sort_onesweep_histogram_config_static_selectorELNS0_4arch9wavefront6targetE0EEEvSL_: ; @_ZN7rocprim17ROCPRIM_400000_NS6detail17trampoline_kernelINS0_14default_configENS1_35radix_sort_onesweep_config_selectorIjN6thrust23THRUST_200600_302600_NS5tupleIffNS6_9null_typeES8_S8_S8_S8_S8_S8_S8_EEEEZNS1_34radix_sort_onesweep_global_offsetsIS3_Lb0ENS6_6detail15normal_iteratorINS6_10device_ptrIjEEEENSD_INSE_IS9_EEEEjNS0_19identity_decomposerEEE10hipError_tT1_T2_PT3_SN_jT4_jjP12ihipStream_tbEUlT_E_NS1_11comp_targetILNS1_3genE3ELNS1_11target_archE908ELNS1_3gpuE7ELNS1_3repE0EEENS1_52radix_sort_onesweep_histogram_config_static_selectorELNS0_4arch9wavefront6targetE0EEEvSL_
; %bb.0:
	.section	.rodata,"a",@progbits
	.p2align	6, 0x0
	.amdhsa_kernel _ZN7rocprim17ROCPRIM_400000_NS6detail17trampoline_kernelINS0_14default_configENS1_35radix_sort_onesweep_config_selectorIjN6thrust23THRUST_200600_302600_NS5tupleIffNS6_9null_typeES8_S8_S8_S8_S8_S8_S8_EEEEZNS1_34radix_sort_onesweep_global_offsetsIS3_Lb0ENS6_6detail15normal_iteratorINS6_10device_ptrIjEEEENSD_INSE_IS9_EEEEjNS0_19identity_decomposerEEE10hipError_tT1_T2_PT3_SN_jT4_jjP12ihipStream_tbEUlT_E_NS1_11comp_targetILNS1_3genE3ELNS1_11target_archE908ELNS1_3gpuE7ELNS1_3repE0EEENS1_52radix_sort_onesweep_histogram_config_static_selectorELNS0_4arch9wavefront6targetE0EEEvSL_
		.amdhsa_group_segment_fixed_size 0
		.amdhsa_private_segment_fixed_size 0
		.amdhsa_kernarg_size 40
		.amdhsa_user_sgpr_count 2
		.amdhsa_user_sgpr_dispatch_ptr 0
		.amdhsa_user_sgpr_queue_ptr 0
		.amdhsa_user_sgpr_kernarg_segment_ptr 1
		.amdhsa_user_sgpr_dispatch_id 0
		.amdhsa_user_sgpr_private_segment_size 0
		.amdhsa_wavefront_size32 1
		.amdhsa_uses_dynamic_stack 0
		.amdhsa_enable_private_segment 0
		.amdhsa_system_sgpr_workgroup_id_x 1
		.amdhsa_system_sgpr_workgroup_id_y 0
		.amdhsa_system_sgpr_workgroup_id_z 0
		.amdhsa_system_sgpr_workgroup_info 0
		.amdhsa_system_vgpr_workitem_id 0
		.amdhsa_next_free_vgpr 1
		.amdhsa_next_free_sgpr 1
		.amdhsa_reserve_vcc 0
		.amdhsa_float_round_mode_32 0
		.amdhsa_float_round_mode_16_64 0
		.amdhsa_float_denorm_mode_32 3
		.amdhsa_float_denorm_mode_16_64 3
		.amdhsa_fp16_overflow 0
		.amdhsa_workgroup_processor_mode 1
		.amdhsa_memory_ordered 1
		.amdhsa_forward_progress 1
		.amdhsa_inst_pref_size 0
		.amdhsa_round_robin_scheduling 0
		.amdhsa_exception_fp_ieee_invalid_op 0
		.amdhsa_exception_fp_denorm_src 0
		.amdhsa_exception_fp_ieee_div_zero 0
		.amdhsa_exception_fp_ieee_overflow 0
		.amdhsa_exception_fp_ieee_underflow 0
		.amdhsa_exception_fp_ieee_inexact 0
		.amdhsa_exception_int_div_zero 0
	.end_amdhsa_kernel
	.section	.text._ZN7rocprim17ROCPRIM_400000_NS6detail17trampoline_kernelINS0_14default_configENS1_35radix_sort_onesweep_config_selectorIjN6thrust23THRUST_200600_302600_NS5tupleIffNS6_9null_typeES8_S8_S8_S8_S8_S8_S8_EEEEZNS1_34radix_sort_onesweep_global_offsetsIS3_Lb0ENS6_6detail15normal_iteratorINS6_10device_ptrIjEEEENSD_INSE_IS9_EEEEjNS0_19identity_decomposerEEE10hipError_tT1_T2_PT3_SN_jT4_jjP12ihipStream_tbEUlT_E_NS1_11comp_targetILNS1_3genE3ELNS1_11target_archE908ELNS1_3gpuE7ELNS1_3repE0EEENS1_52radix_sort_onesweep_histogram_config_static_selectorELNS0_4arch9wavefront6targetE0EEEvSL_,"axG",@progbits,_ZN7rocprim17ROCPRIM_400000_NS6detail17trampoline_kernelINS0_14default_configENS1_35radix_sort_onesweep_config_selectorIjN6thrust23THRUST_200600_302600_NS5tupleIffNS6_9null_typeES8_S8_S8_S8_S8_S8_S8_EEEEZNS1_34radix_sort_onesweep_global_offsetsIS3_Lb0ENS6_6detail15normal_iteratorINS6_10device_ptrIjEEEENSD_INSE_IS9_EEEEjNS0_19identity_decomposerEEE10hipError_tT1_T2_PT3_SN_jT4_jjP12ihipStream_tbEUlT_E_NS1_11comp_targetILNS1_3genE3ELNS1_11target_archE908ELNS1_3gpuE7ELNS1_3repE0EEENS1_52radix_sort_onesweep_histogram_config_static_selectorELNS0_4arch9wavefront6targetE0EEEvSL_,comdat
.Lfunc_end144:
	.size	_ZN7rocprim17ROCPRIM_400000_NS6detail17trampoline_kernelINS0_14default_configENS1_35radix_sort_onesweep_config_selectorIjN6thrust23THRUST_200600_302600_NS5tupleIffNS6_9null_typeES8_S8_S8_S8_S8_S8_S8_EEEEZNS1_34radix_sort_onesweep_global_offsetsIS3_Lb0ENS6_6detail15normal_iteratorINS6_10device_ptrIjEEEENSD_INSE_IS9_EEEEjNS0_19identity_decomposerEEE10hipError_tT1_T2_PT3_SN_jT4_jjP12ihipStream_tbEUlT_E_NS1_11comp_targetILNS1_3genE3ELNS1_11target_archE908ELNS1_3gpuE7ELNS1_3repE0EEENS1_52radix_sort_onesweep_histogram_config_static_selectorELNS0_4arch9wavefront6targetE0EEEvSL_, .Lfunc_end144-_ZN7rocprim17ROCPRIM_400000_NS6detail17trampoline_kernelINS0_14default_configENS1_35radix_sort_onesweep_config_selectorIjN6thrust23THRUST_200600_302600_NS5tupleIffNS6_9null_typeES8_S8_S8_S8_S8_S8_S8_EEEEZNS1_34radix_sort_onesweep_global_offsetsIS3_Lb0ENS6_6detail15normal_iteratorINS6_10device_ptrIjEEEENSD_INSE_IS9_EEEEjNS0_19identity_decomposerEEE10hipError_tT1_T2_PT3_SN_jT4_jjP12ihipStream_tbEUlT_E_NS1_11comp_targetILNS1_3genE3ELNS1_11target_archE908ELNS1_3gpuE7ELNS1_3repE0EEENS1_52radix_sort_onesweep_histogram_config_static_selectorELNS0_4arch9wavefront6targetE0EEEvSL_
                                        ; -- End function
	.set _ZN7rocprim17ROCPRIM_400000_NS6detail17trampoline_kernelINS0_14default_configENS1_35radix_sort_onesweep_config_selectorIjN6thrust23THRUST_200600_302600_NS5tupleIffNS6_9null_typeES8_S8_S8_S8_S8_S8_S8_EEEEZNS1_34radix_sort_onesweep_global_offsetsIS3_Lb0ENS6_6detail15normal_iteratorINS6_10device_ptrIjEEEENSD_INSE_IS9_EEEEjNS0_19identity_decomposerEEE10hipError_tT1_T2_PT3_SN_jT4_jjP12ihipStream_tbEUlT_E_NS1_11comp_targetILNS1_3genE3ELNS1_11target_archE908ELNS1_3gpuE7ELNS1_3repE0EEENS1_52radix_sort_onesweep_histogram_config_static_selectorELNS0_4arch9wavefront6targetE0EEEvSL_.num_vgpr, 0
	.set _ZN7rocprim17ROCPRIM_400000_NS6detail17trampoline_kernelINS0_14default_configENS1_35radix_sort_onesweep_config_selectorIjN6thrust23THRUST_200600_302600_NS5tupleIffNS6_9null_typeES8_S8_S8_S8_S8_S8_S8_EEEEZNS1_34radix_sort_onesweep_global_offsetsIS3_Lb0ENS6_6detail15normal_iteratorINS6_10device_ptrIjEEEENSD_INSE_IS9_EEEEjNS0_19identity_decomposerEEE10hipError_tT1_T2_PT3_SN_jT4_jjP12ihipStream_tbEUlT_E_NS1_11comp_targetILNS1_3genE3ELNS1_11target_archE908ELNS1_3gpuE7ELNS1_3repE0EEENS1_52radix_sort_onesweep_histogram_config_static_selectorELNS0_4arch9wavefront6targetE0EEEvSL_.num_agpr, 0
	.set _ZN7rocprim17ROCPRIM_400000_NS6detail17trampoline_kernelINS0_14default_configENS1_35radix_sort_onesweep_config_selectorIjN6thrust23THRUST_200600_302600_NS5tupleIffNS6_9null_typeES8_S8_S8_S8_S8_S8_S8_EEEEZNS1_34radix_sort_onesweep_global_offsetsIS3_Lb0ENS6_6detail15normal_iteratorINS6_10device_ptrIjEEEENSD_INSE_IS9_EEEEjNS0_19identity_decomposerEEE10hipError_tT1_T2_PT3_SN_jT4_jjP12ihipStream_tbEUlT_E_NS1_11comp_targetILNS1_3genE3ELNS1_11target_archE908ELNS1_3gpuE7ELNS1_3repE0EEENS1_52radix_sort_onesweep_histogram_config_static_selectorELNS0_4arch9wavefront6targetE0EEEvSL_.numbered_sgpr, 0
	.set _ZN7rocprim17ROCPRIM_400000_NS6detail17trampoline_kernelINS0_14default_configENS1_35radix_sort_onesweep_config_selectorIjN6thrust23THRUST_200600_302600_NS5tupleIffNS6_9null_typeES8_S8_S8_S8_S8_S8_S8_EEEEZNS1_34radix_sort_onesweep_global_offsetsIS3_Lb0ENS6_6detail15normal_iteratorINS6_10device_ptrIjEEEENSD_INSE_IS9_EEEEjNS0_19identity_decomposerEEE10hipError_tT1_T2_PT3_SN_jT4_jjP12ihipStream_tbEUlT_E_NS1_11comp_targetILNS1_3genE3ELNS1_11target_archE908ELNS1_3gpuE7ELNS1_3repE0EEENS1_52radix_sort_onesweep_histogram_config_static_selectorELNS0_4arch9wavefront6targetE0EEEvSL_.num_named_barrier, 0
	.set _ZN7rocprim17ROCPRIM_400000_NS6detail17trampoline_kernelINS0_14default_configENS1_35radix_sort_onesweep_config_selectorIjN6thrust23THRUST_200600_302600_NS5tupleIffNS6_9null_typeES8_S8_S8_S8_S8_S8_S8_EEEEZNS1_34radix_sort_onesweep_global_offsetsIS3_Lb0ENS6_6detail15normal_iteratorINS6_10device_ptrIjEEEENSD_INSE_IS9_EEEEjNS0_19identity_decomposerEEE10hipError_tT1_T2_PT3_SN_jT4_jjP12ihipStream_tbEUlT_E_NS1_11comp_targetILNS1_3genE3ELNS1_11target_archE908ELNS1_3gpuE7ELNS1_3repE0EEENS1_52radix_sort_onesweep_histogram_config_static_selectorELNS0_4arch9wavefront6targetE0EEEvSL_.private_seg_size, 0
	.set _ZN7rocprim17ROCPRIM_400000_NS6detail17trampoline_kernelINS0_14default_configENS1_35radix_sort_onesweep_config_selectorIjN6thrust23THRUST_200600_302600_NS5tupleIffNS6_9null_typeES8_S8_S8_S8_S8_S8_S8_EEEEZNS1_34radix_sort_onesweep_global_offsetsIS3_Lb0ENS6_6detail15normal_iteratorINS6_10device_ptrIjEEEENSD_INSE_IS9_EEEEjNS0_19identity_decomposerEEE10hipError_tT1_T2_PT3_SN_jT4_jjP12ihipStream_tbEUlT_E_NS1_11comp_targetILNS1_3genE3ELNS1_11target_archE908ELNS1_3gpuE7ELNS1_3repE0EEENS1_52radix_sort_onesweep_histogram_config_static_selectorELNS0_4arch9wavefront6targetE0EEEvSL_.uses_vcc, 0
	.set _ZN7rocprim17ROCPRIM_400000_NS6detail17trampoline_kernelINS0_14default_configENS1_35radix_sort_onesweep_config_selectorIjN6thrust23THRUST_200600_302600_NS5tupleIffNS6_9null_typeES8_S8_S8_S8_S8_S8_S8_EEEEZNS1_34radix_sort_onesweep_global_offsetsIS3_Lb0ENS6_6detail15normal_iteratorINS6_10device_ptrIjEEEENSD_INSE_IS9_EEEEjNS0_19identity_decomposerEEE10hipError_tT1_T2_PT3_SN_jT4_jjP12ihipStream_tbEUlT_E_NS1_11comp_targetILNS1_3genE3ELNS1_11target_archE908ELNS1_3gpuE7ELNS1_3repE0EEENS1_52radix_sort_onesweep_histogram_config_static_selectorELNS0_4arch9wavefront6targetE0EEEvSL_.uses_flat_scratch, 0
	.set _ZN7rocprim17ROCPRIM_400000_NS6detail17trampoline_kernelINS0_14default_configENS1_35radix_sort_onesweep_config_selectorIjN6thrust23THRUST_200600_302600_NS5tupleIffNS6_9null_typeES8_S8_S8_S8_S8_S8_S8_EEEEZNS1_34radix_sort_onesweep_global_offsetsIS3_Lb0ENS6_6detail15normal_iteratorINS6_10device_ptrIjEEEENSD_INSE_IS9_EEEEjNS0_19identity_decomposerEEE10hipError_tT1_T2_PT3_SN_jT4_jjP12ihipStream_tbEUlT_E_NS1_11comp_targetILNS1_3genE3ELNS1_11target_archE908ELNS1_3gpuE7ELNS1_3repE0EEENS1_52radix_sort_onesweep_histogram_config_static_selectorELNS0_4arch9wavefront6targetE0EEEvSL_.has_dyn_sized_stack, 0
	.set _ZN7rocprim17ROCPRIM_400000_NS6detail17trampoline_kernelINS0_14default_configENS1_35radix_sort_onesweep_config_selectorIjN6thrust23THRUST_200600_302600_NS5tupleIffNS6_9null_typeES8_S8_S8_S8_S8_S8_S8_EEEEZNS1_34radix_sort_onesweep_global_offsetsIS3_Lb0ENS6_6detail15normal_iteratorINS6_10device_ptrIjEEEENSD_INSE_IS9_EEEEjNS0_19identity_decomposerEEE10hipError_tT1_T2_PT3_SN_jT4_jjP12ihipStream_tbEUlT_E_NS1_11comp_targetILNS1_3genE3ELNS1_11target_archE908ELNS1_3gpuE7ELNS1_3repE0EEENS1_52radix_sort_onesweep_histogram_config_static_selectorELNS0_4arch9wavefront6targetE0EEEvSL_.has_recursion, 0
	.set _ZN7rocprim17ROCPRIM_400000_NS6detail17trampoline_kernelINS0_14default_configENS1_35radix_sort_onesweep_config_selectorIjN6thrust23THRUST_200600_302600_NS5tupleIffNS6_9null_typeES8_S8_S8_S8_S8_S8_S8_EEEEZNS1_34radix_sort_onesweep_global_offsetsIS3_Lb0ENS6_6detail15normal_iteratorINS6_10device_ptrIjEEEENSD_INSE_IS9_EEEEjNS0_19identity_decomposerEEE10hipError_tT1_T2_PT3_SN_jT4_jjP12ihipStream_tbEUlT_E_NS1_11comp_targetILNS1_3genE3ELNS1_11target_archE908ELNS1_3gpuE7ELNS1_3repE0EEENS1_52radix_sort_onesweep_histogram_config_static_selectorELNS0_4arch9wavefront6targetE0EEEvSL_.has_indirect_call, 0
	.section	.AMDGPU.csdata,"",@progbits
; Kernel info:
; codeLenInByte = 0
; TotalNumSgprs: 0
; NumVgprs: 0
; ScratchSize: 0
; MemoryBound: 0
; FloatMode: 240
; IeeeMode: 1
; LDSByteSize: 0 bytes/workgroup (compile time only)
; SGPRBlocks: 0
; VGPRBlocks: 0
; NumSGPRsForWavesPerEU: 1
; NumVGPRsForWavesPerEU: 1
; Occupancy: 16
; WaveLimiterHint : 0
; COMPUTE_PGM_RSRC2:SCRATCH_EN: 0
; COMPUTE_PGM_RSRC2:USER_SGPR: 2
; COMPUTE_PGM_RSRC2:TRAP_HANDLER: 0
; COMPUTE_PGM_RSRC2:TGID_X_EN: 1
; COMPUTE_PGM_RSRC2:TGID_Y_EN: 0
; COMPUTE_PGM_RSRC2:TGID_Z_EN: 0
; COMPUTE_PGM_RSRC2:TIDIG_COMP_CNT: 0
	.section	.text._ZN7rocprim17ROCPRIM_400000_NS6detail17trampoline_kernelINS0_14default_configENS1_35radix_sort_onesweep_config_selectorIjN6thrust23THRUST_200600_302600_NS5tupleIffNS6_9null_typeES8_S8_S8_S8_S8_S8_S8_EEEEZNS1_34radix_sort_onesweep_global_offsetsIS3_Lb0ENS6_6detail15normal_iteratorINS6_10device_ptrIjEEEENSD_INSE_IS9_EEEEjNS0_19identity_decomposerEEE10hipError_tT1_T2_PT3_SN_jT4_jjP12ihipStream_tbEUlT_E_NS1_11comp_targetILNS1_3genE10ELNS1_11target_archE1201ELNS1_3gpuE5ELNS1_3repE0EEENS1_52radix_sort_onesweep_histogram_config_static_selectorELNS0_4arch9wavefront6targetE0EEEvSL_,"axG",@progbits,_ZN7rocprim17ROCPRIM_400000_NS6detail17trampoline_kernelINS0_14default_configENS1_35radix_sort_onesweep_config_selectorIjN6thrust23THRUST_200600_302600_NS5tupleIffNS6_9null_typeES8_S8_S8_S8_S8_S8_S8_EEEEZNS1_34radix_sort_onesweep_global_offsetsIS3_Lb0ENS6_6detail15normal_iteratorINS6_10device_ptrIjEEEENSD_INSE_IS9_EEEEjNS0_19identity_decomposerEEE10hipError_tT1_T2_PT3_SN_jT4_jjP12ihipStream_tbEUlT_E_NS1_11comp_targetILNS1_3genE10ELNS1_11target_archE1201ELNS1_3gpuE5ELNS1_3repE0EEENS1_52radix_sort_onesweep_histogram_config_static_selectorELNS0_4arch9wavefront6targetE0EEEvSL_,comdat
	.protected	_ZN7rocprim17ROCPRIM_400000_NS6detail17trampoline_kernelINS0_14default_configENS1_35radix_sort_onesweep_config_selectorIjN6thrust23THRUST_200600_302600_NS5tupleIffNS6_9null_typeES8_S8_S8_S8_S8_S8_S8_EEEEZNS1_34radix_sort_onesweep_global_offsetsIS3_Lb0ENS6_6detail15normal_iteratorINS6_10device_ptrIjEEEENSD_INSE_IS9_EEEEjNS0_19identity_decomposerEEE10hipError_tT1_T2_PT3_SN_jT4_jjP12ihipStream_tbEUlT_E_NS1_11comp_targetILNS1_3genE10ELNS1_11target_archE1201ELNS1_3gpuE5ELNS1_3repE0EEENS1_52radix_sort_onesweep_histogram_config_static_selectorELNS0_4arch9wavefront6targetE0EEEvSL_ ; -- Begin function _ZN7rocprim17ROCPRIM_400000_NS6detail17trampoline_kernelINS0_14default_configENS1_35radix_sort_onesweep_config_selectorIjN6thrust23THRUST_200600_302600_NS5tupleIffNS6_9null_typeES8_S8_S8_S8_S8_S8_S8_EEEEZNS1_34radix_sort_onesweep_global_offsetsIS3_Lb0ENS6_6detail15normal_iteratorINS6_10device_ptrIjEEEENSD_INSE_IS9_EEEEjNS0_19identity_decomposerEEE10hipError_tT1_T2_PT3_SN_jT4_jjP12ihipStream_tbEUlT_E_NS1_11comp_targetILNS1_3genE10ELNS1_11target_archE1201ELNS1_3gpuE5ELNS1_3repE0EEENS1_52radix_sort_onesweep_histogram_config_static_selectorELNS0_4arch9wavefront6targetE0EEEvSL_
	.globl	_ZN7rocprim17ROCPRIM_400000_NS6detail17trampoline_kernelINS0_14default_configENS1_35radix_sort_onesweep_config_selectorIjN6thrust23THRUST_200600_302600_NS5tupleIffNS6_9null_typeES8_S8_S8_S8_S8_S8_S8_EEEEZNS1_34radix_sort_onesweep_global_offsetsIS3_Lb0ENS6_6detail15normal_iteratorINS6_10device_ptrIjEEEENSD_INSE_IS9_EEEEjNS0_19identity_decomposerEEE10hipError_tT1_T2_PT3_SN_jT4_jjP12ihipStream_tbEUlT_E_NS1_11comp_targetILNS1_3genE10ELNS1_11target_archE1201ELNS1_3gpuE5ELNS1_3repE0EEENS1_52radix_sort_onesweep_histogram_config_static_selectorELNS0_4arch9wavefront6targetE0EEEvSL_
	.p2align	8
	.type	_ZN7rocprim17ROCPRIM_400000_NS6detail17trampoline_kernelINS0_14default_configENS1_35radix_sort_onesweep_config_selectorIjN6thrust23THRUST_200600_302600_NS5tupleIffNS6_9null_typeES8_S8_S8_S8_S8_S8_S8_EEEEZNS1_34radix_sort_onesweep_global_offsetsIS3_Lb0ENS6_6detail15normal_iteratorINS6_10device_ptrIjEEEENSD_INSE_IS9_EEEEjNS0_19identity_decomposerEEE10hipError_tT1_T2_PT3_SN_jT4_jjP12ihipStream_tbEUlT_E_NS1_11comp_targetILNS1_3genE10ELNS1_11target_archE1201ELNS1_3gpuE5ELNS1_3repE0EEENS1_52radix_sort_onesweep_histogram_config_static_selectorELNS0_4arch9wavefront6targetE0EEEvSL_,@function
_ZN7rocprim17ROCPRIM_400000_NS6detail17trampoline_kernelINS0_14default_configENS1_35radix_sort_onesweep_config_selectorIjN6thrust23THRUST_200600_302600_NS5tupleIffNS6_9null_typeES8_S8_S8_S8_S8_S8_S8_EEEEZNS1_34radix_sort_onesweep_global_offsetsIS3_Lb0ENS6_6detail15normal_iteratorINS6_10device_ptrIjEEEENSD_INSE_IS9_EEEEjNS0_19identity_decomposerEEE10hipError_tT1_T2_PT3_SN_jT4_jjP12ihipStream_tbEUlT_E_NS1_11comp_targetILNS1_3genE10ELNS1_11target_archE1201ELNS1_3gpuE5ELNS1_3repE0EEENS1_52radix_sort_onesweep_histogram_config_static_selectorELNS0_4arch9wavefront6targetE0EEEvSL_: ; @_ZN7rocprim17ROCPRIM_400000_NS6detail17trampoline_kernelINS0_14default_configENS1_35radix_sort_onesweep_config_selectorIjN6thrust23THRUST_200600_302600_NS5tupleIffNS6_9null_typeES8_S8_S8_S8_S8_S8_S8_EEEEZNS1_34radix_sort_onesweep_global_offsetsIS3_Lb0ENS6_6detail15normal_iteratorINS6_10device_ptrIjEEEENSD_INSE_IS9_EEEEjNS0_19identity_decomposerEEE10hipError_tT1_T2_PT3_SN_jT4_jjP12ihipStream_tbEUlT_E_NS1_11comp_targetILNS1_3genE10ELNS1_11target_archE1201ELNS1_3gpuE5ELNS1_3repE0EEENS1_52radix_sort_onesweep_histogram_config_static_selectorELNS0_4arch9wavefront6targetE0EEEvSL_
; %bb.0:
	s_clause 0x2
	s_load_b32 s9, s[0:1], 0x14
	s_load_b128 s[4:7], s[0:1], 0x0
	s_load_b64 s[2:3], s[0:1], 0x1c
	s_lshl_b32 s8, ttmp9, 14
	s_mov_b32 s10, -1
	s_wait_kmcnt 0x0
	s_cmp_ge_u32 ttmp9, s9
	s_cbranch_scc0 .LBB145_313
; %bb.1:
	s_load_b32 s0, s[0:1], 0x10
	s_lshl_b32 s1, s9, 14
	s_mov_b32 s9, 0
                                        ; implicit-def: $vgpr32
	s_wait_kmcnt 0x0
	s_sub_co_i32 s10, s0, s1
	s_lshl_b64 s[0:1], s[8:9], 2
	s_mov_b32 s9, exec_lo
	s_add_nc_u64 s[0:1], s[4:5], s[0:1]
	v_cmpx_gt_u32_e64 s10, v0
	s_cbranch_execz .LBB145_3
; %bb.2:
	v_lshlrev_b32_e32 v1, 2, v0
	global_load_b32 v32, v1, s[0:1]
.LBB145_3:
	s_or_b32 exec_lo, exec_lo, s9
	v_or_b32_e32 v31, 0x400, v0
	s_mov_b32 s9, exec_lo
                                        ; implicit-def: $vgpr30
	s_delay_alu instid0(VALU_DEP_1)
	v_cmpx_gt_u32_e64 s10, v31
	s_cbranch_execz .LBB145_5
; %bb.4:
	v_lshlrev_b32_e32 v1, 2, v0
	global_load_b32 v30, v1, s[0:1] offset:4096
.LBB145_5:
	s_or_b32 exec_lo, exec_lo, s9
	v_or_b32_e32 v29, 0x800, v0
	s_mov_b32 s9, exec_lo
                                        ; implicit-def: $vgpr28
	s_delay_alu instid0(VALU_DEP_1)
	v_cmpx_gt_u32_e64 s10, v29
	s_cbranch_execz .LBB145_7
; %bb.6:
	v_lshlrev_b32_e32 v1, 2, v0
	global_load_b32 v28, v1, s[0:1] offset:8192
.LBB145_7:
	s_or_b32 exec_lo, exec_lo, s9
	v_or_b32_e32 v27, 0xc00, v0
	s_mov_b32 s9, exec_lo
                                        ; implicit-def: $vgpr26
	s_delay_alu instid0(VALU_DEP_1)
	v_cmpx_gt_u32_e64 s10, v27
	s_cbranch_execz .LBB145_9
; %bb.8:
	v_lshlrev_b32_e32 v1, 2, v0
	global_load_b32 v26, v1, s[0:1] offset:12288
.LBB145_9:
	s_or_b32 exec_lo, exec_lo, s9
	v_or_b32_e32 v25, 0x1000, v0
	s_mov_b32 s9, exec_lo
                                        ; implicit-def: $vgpr24
	s_delay_alu instid0(VALU_DEP_1)
	v_cmpx_gt_u32_e64 s10, v25
	s_cbranch_execz .LBB145_11
; %bb.10:
	v_lshlrev_b32_e32 v1, 2, v0
	global_load_b32 v24, v1, s[0:1] offset:16384
.LBB145_11:
	s_or_b32 exec_lo, exec_lo, s9
	v_or_b32_e32 v23, 0x1400, v0
	s_mov_b32 s9, exec_lo
                                        ; implicit-def: $vgpr22
	s_delay_alu instid0(VALU_DEP_1)
	v_cmpx_gt_u32_e64 s10, v23
	s_cbranch_execz .LBB145_13
; %bb.12:
	v_lshlrev_b32_e32 v1, 2, v0
	global_load_b32 v22, v1, s[0:1] offset:20480
.LBB145_13:
	s_or_b32 exec_lo, exec_lo, s9
	v_or_b32_e32 v21, 0x1800, v0
	s_mov_b32 s9, exec_lo
                                        ; implicit-def: $vgpr20
	s_delay_alu instid0(VALU_DEP_1)
	v_cmpx_gt_u32_e64 s10, v21
	s_cbranch_execz .LBB145_15
; %bb.14:
	v_lshlrev_b32_e32 v1, 2, v0
	global_load_b32 v20, v1, s[0:1] offset:24576
.LBB145_15:
	s_or_b32 exec_lo, exec_lo, s9
	v_or_b32_e32 v19, 0x1c00, v0
	s_mov_b32 s9, exec_lo
                                        ; implicit-def: $vgpr18
	s_delay_alu instid0(VALU_DEP_1)
	v_cmpx_gt_u32_e64 s10, v19
	s_cbranch_execz .LBB145_17
; %bb.16:
	v_lshlrev_b32_e32 v1, 2, v0
	global_load_b32 v18, v1, s[0:1] offset:28672
.LBB145_17:
	s_or_b32 exec_lo, exec_lo, s9
	v_or_b32_e32 v17, 0x2000, v0
	s_mov_b32 s9, exec_lo
                                        ; implicit-def: $vgpr16
	s_delay_alu instid0(VALU_DEP_1)
	v_cmpx_gt_u32_e64 s10, v17
	s_cbranch_execz .LBB145_19
; %bb.18:
	v_lshlrev_b32_e32 v1, 2, v0
	global_load_b32 v16, v1, s[0:1] offset:32768
.LBB145_19:
	s_or_b32 exec_lo, exec_lo, s9
	v_or_b32_e32 v15, 0x2400, v0
	s_mov_b32 s9, exec_lo
                                        ; implicit-def: $vgpr14
	s_delay_alu instid0(VALU_DEP_1)
	v_cmpx_gt_u32_e64 s10, v15
	s_cbranch_execz .LBB145_21
; %bb.20:
	v_lshlrev_b32_e32 v1, 2, v0
	global_load_b32 v14, v1, s[0:1] offset:36864
.LBB145_21:
	s_or_b32 exec_lo, exec_lo, s9
	v_or_b32_e32 v13, 0x2800, v0
	s_mov_b32 s9, exec_lo
                                        ; implicit-def: $vgpr12
	s_delay_alu instid0(VALU_DEP_1)
	v_cmpx_gt_u32_e64 s10, v13
	s_cbranch_execz .LBB145_23
; %bb.22:
	v_lshlrev_b32_e32 v1, 2, v0
	global_load_b32 v12, v1, s[0:1] offset:40960
.LBB145_23:
	s_or_b32 exec_lo, exec_lo, s9
	v_or_b32_e32 v11, 0x2c00, v0
	s_mov_b32 s9, exec_lo
                                        ; implicit-def: $vgpr10
	s_delay_alu instid0(VALU_DEP_1)
	v_cmpx_gt_u32_e64 s10, v11
	s_cbranch_execz .LBB145_25
; %bb.24:
	v_lshlrev_b32_e32 v1, 2, v0
	global_load_b32 v10, v1, s[0:1] offset:45056
.LBB145_25:
	s_or_b32 exec_lo, exec_lo, s9
	v_or_b32_e32 v9, 0x3000, v0
	s_mov_b32 s9, exec_lo
                                        ; implicit-def: $vgpr8
	s_delay_alu instid0(VALU_DEP_1)
	v_cmpx_gt_u32_e64 s10, v9
	s_cbranch_execz .LBB145_27
; %bb.26:
	v_lshlrev_b32_e32 v1, 2, v0
	global_load_b32 v8, v1, s[0:1] offset:49152
.LBB145_27:
	s_or_b32 exec_lo, exec_lo, s9
	v_or_b32_e32 v7, 0x3400, v0
	s_mov_b32 s9, exec_lo
                                        ; implicit-def: $vgpr6
	s_delay_alu instid0(VALU_DEP_1)
	v_cmpx_gt_u32_e64 s10, v7
	s_cbranch_execz .LBB145_29
; %bb.28:
	v_lshlrev_b32_e32 v1, 2, v0
	global_load_b32 v6, v1, s[0:1] offset:53248
.LBB145_29:
	s_or_b32 exec_lo, exec_lo, s9
	v_or_b32_e32 v5, 0x3800, v0
	s_mov_b32 s9, exec_lo
                                        ; implicit-def: $vgpr4
	s_delay_alu instid0(VALU_DEP_1)
	v_cmpx_gt_u32_e64 s10, v5
	s_cbranch_execz .LBB145_31
; %bb.30:
	v_lshlrev_b32_e32 v1, 2, v0
	global_load_b32 v4, v1, s[0:1] offset:57344
.LBB145_31:
	s_or_b32 exec_lo, exec_lo, s9
	v_or_b32_e32 v3, 0x3c00, v0
	s_mov_b32 s9, exec_lo
                                        ; implicit-def: $vgpr1
	s_delay_alu instid0(VALU_DEP_1)
	v_cmpx_gt_u32_e64 s10, v3
	s_cbranch_execz .LBB145_33
; %bb.32:
	v_lshlrev_b32_e32 v1, 2, v0
	global_load_b32 v1, v1, s[0:1] offset:61440
.LBB145_33:
	s_or_b32 exec_lo, exec_lo, s9
	v_or_b32_e32 v2, 0xfffffc00, v0
	v_dual_mov_b32 v34, 0 :: v_dual_lshlrev_b32 v33, 2, v0
	s_mov_b32 s0, 0
.LBB145_34:                             ; =>This Inner Loop Header: Depth=1
	s_delay_alu instid0(VALU_DEP_2) | instskip(SKIP_4) | instid1(SALU_CYCLE_1)
	v_add_nc_u32_e32 v2, 0x400, v2
	ds_store_b32 v33, v34
	v_add_nc_u32_e32 v33, 0x1000, v33
	v_cmp_lt_u32_e32 vcc_lo, 0xbff, v2
	s_or_b32 s0, vcc_lo, s0
	s_and_not1_b32 exec_lo, exec_lo, s0
	s_cbranch_execnz .LBB145_34
; %bb.35:
	s_or_b32 exec_lo, exec_lo, s0
	s_cmp_ge_u32 s2, s3
	v_cmp_le_u32_e32 vcc_lo, s10, v0
	s_cselect_b32 s1, -1, 0
	s_wait_loadcnt_dscnt 0x0
	s_and_b32 s0, s1, exec_lo
	s_cselect_b32 s9, 8, 10
	s_delay_alu instid0(SALU_CYCLE_1)
	v_dual_mov_b32 v33, s9 :: v_dual_and_b32 v2, 3, v0
	s_nor_b32 s11, s1, vcc_lo
	s_barrier_signal -1
	s_barrier_wait -1
	global_inv scope:SCOPE_SE
	s_wait_alu 0xfffe
	s_and_saveexec_b32 s0, s11
	s_cbranch_execz .LBB145_37
; %bb.36:
	v_lshrrev_b32_e32 v33, s2, v32
	s_sub_co_i32 s11, s3, s2
	v_lshlrev_b32_e32 v34, 2, v2
	s_wait_alu 0xfffe
	s_min_u32 s11, s11, 8
	s_wait_alu 0xfffe
	v_bfe_u32 v33, v33, 0, s11
	s_delay_alu instid0(VALU_DEP_1)
	v_lshl_or_b32 v33, v33, 4, v34
	v_mov_b32_e32 v34, 1
	ds_add_u32 v33, v34
	v_mov_b32_e32 v33, 0
.LBB145_37:
	s_or_b32 exec_lo, exec_lo, s0
	s_mov_b32 s12, -1
	s_mov_b32 s11, exec_lo
	s_delay_alu instid0(VALU_DEP_1)
	v_cmpx_gt_i32_e32 10, v33
; %bb.38:
	v_cmp_eq_u32_e64 s0, 0, v33
	s_or_not1_b32 s12, s0, exec_lo
; %bb.39:
	s_wait_alu 0xfffe
	s_or_b32 exec_lo, exec_lo, s11
	s_and_saveexec_b32 s11, s12
	s_cbranch_execz .LBB145_52
; %bb.40:
	s_add_co_i32 s12, s2, 8
	s_delay_alu instid0(SALU_CYCLE_1) | instskip(SKIP_1) | instid1(SALU_CYCLE_1)
	s_cmp_le_u32 s3, s12
	s_cselect_b32 s0, -1, 0
	s_and_b32 s13, s0, exec_lo
	s_cselect_b32 s13, 8, 10
	s_delay_alu instid0(SALU_CYCLE_1)
	v_mov_b32_e32 v33, s13
	s_nor_b32 s13, s0, vcc_lo
	s_wait_alu 0xfffe
	s_and_saveexec_b32 s0, s13
	s_cbranch_execz .LBB145_42
; %bb.41:
	v_lshrrev_b32_e32 v33, s12, v32
	s_sub_co_i32 s12, s3, s12
	v_lshlrev_b32_e32 v34, 2, v2
	s_wait_alu 0xfffe
	s_min_u32 s12, s12, 8
	s_wait_alu 0xfffe
	v_bfe_u32 v33, v33, 0, s12
	s_delay_alu instid0(VALU_DEP_1)
	v_lshl_or_b32 v33, v33, 4, v34
	v_mov_b32_e32 v34, 1
	ds_add_u32 v33, v34 offset:4096
	v_mov_b32_e32 v33, 0
.LBB145_42:
	s_or_b32 exec_lo, exec_lo, s0
	s_mov_b32 s12, -1
	s_mov_b32 s13, exec_lo
	s_delay_alu instid0(VALU_DEP_1)
	v_cmpx_gt_i32_e32 10, v33
; %bb.43:
	v_cmp_eq_u32_e64 s0, 0, v33
	s_or_not1_b32 s12, s0, exec_lo
; %bb.44:
	s_wait_alu 0xfffe
	s_or_b32 exec_lo, exec_lo, s13
	s_delay_alu instid0(SALU_CYCLE_1)
	s_and_b32 exec_lo, exec_lo, s12
	s_cbranch_execz .LBB145_52
; %bb.45:
	s_add_co_i32 s12, s2, 16
	s_wait_alu 0xfffe
	s_cmp_le_u32 s3, s12
	s_cselect_b32 s0, -1, 0
	s_delay_alu instid0(SALU_CYCLE_1)
	s_and_b32 s13, s0, exec_lo
	s_cselect_b32 s13, 8, 10
	s_wait_alu 0xfffe
	v_mov_b32_e32 v33, s13
	s_nor_b32 s13, s0, vcc_lo
	s_wait_alu 0xfffe
	s_and_saveexec_b32 s0, s13
	s_cbranch_execz .LBB145_47
; %bb.46:
	v_lshrrev_b32_e32 v33, s12, v32
	s_sub_co_i32 s12, s3, s12
	v_lshlrev_b32_e32 v34, 2, v2
	s_wait_alu 0xfffe
	s_min_u32 s12, s12, 8
	s_wait_alu 0xfffe
	v_bfe_u32 v33, v33, 0, s12
	s_delay_alu instid0(VALU_DEP_1)
	v_lshl_or_b32 v33, v33, 4, v34
	v_mov_b32_e32 v34, 1
	ds_add_u32 v33, v34 offset:8192
	v_mov_b32_e32 v33, 0
.LBB145_47:
	s_or_b32 exec_lo, exec_lo, s0
	s_mov_b32 s12, -1
	s_mov_b32 s13, exec_lo
	s_delay_alu instid0(VALU_DEP_1)
	v_cmpx_gt_i32_e32 10, v33
; %bb.48:
	v_cmp_eq_u32_e64 s0, 0, v33
	s_or_not1_b32 s12, s0, exec_lo
; %bb.49:
	s_wait_alu 0xfffe
	s_or_b32 exec_lo, exec_lo, s13
	s_delay_alu instid0(SALU_CYCLE_1)
	s_and_b32 exec_lo, exec_lo, s12
	s_cbranch_execz .LBB145_52
; %bb.50:
	s_add_co_i32 s0, s2, 24
	s_delay_alu instid0(SALU_CYCLE_1)
	s_cmp_gt_u32 s3, s0
	s_cselect_b32 s12, -1, 0
	s_xor_b32 s13, vcc_lo, -1
	s_wait_alu 0xfffe
	s_and_b32 s12, s12, s13
	s_wait_alu 0xfffe
	s_and_b32 exec_lo, exec_lo, s12
	s_cbranch_execz .LBB145_52
; %bb.51:
	v_lshrrev_b32_e32 v32, s0, v32
	s_sub_co_i32 s0, s3, s0
	v_lshlrev_b32_e32 v33, 2, v2
	s_wait_alu 0xfffe
	s_min_u32 s0, s0, 8
	s_wait_alu 0xfffe
	v_bfe_u32 v32, v32, 0, s0
	s_delay_alu instid0(VALU_DEP_1)
	v_lshl_or_b32 v32, v32, 4, v33
	v_mov_b32_e32 v33, 1
	ds_add_u32 v32, v33 offset:12288
.LBB145_52:
	s_wait_alu 0xfffe
	s_or_b32 exec_lo, exec_lo, s11
	v_cmp_le_u32_e32 vcc_lo, s10, v31
	v_mov_b32_e32 v31, s9
	s_nor_b32 s11, s1, vcc_lo
	s_wait_alu 0xfffe
	s_and_saveexec_b32 s0, s11
	s_cbranch_execz .LBB145_54
; %bb.53:
	v_lshrrev_b32_e32 v31, s2, v30
	s_sub_co_i32 s11, s3, s2
	v_lshlrev_b32_e32 v32, 2, v2
	s_wait_alu 0xfffe
	s_min_u32 s11, s11, 8
	s_wait_alu 0xfffe
	v_bfe_u32 v31, v31, 0, s11
	s_delay_alu instid0(VALU_DEP_1)
	v_lshl_or_b32 v31, v31, 4, v32
	v_mov_b32_e32 v32, 1
	ds_add_u32 v31, v32
	v_mov_b32_e32 v31, 0
.LBB145_54:
	s_wait_alu 0xfffe
	s_or_b32 exec_lo, exec_lo, s0
	s_mov_b32 s12, -1
	s_mov_b32 s11, exec_lo
	v_cmpx_gt_i32_e32 10, v31
; %bb.55:
	v_cmp_eq_u32_e64 s0, 0, v31
	s_or_not1_b32 s12, s0, exec_lo
; %bb.56:
	s_wait_alu 0xfffe
	s_or_b32 exec_lo, exec_lo, s11
	s_and_saveexec_b32 s11, s12
	s_cbranch_execz .LBB145_69
; %bb.57:
	s_add_co_i32 s12, s2, 8
	s_wait_alu 0xfffe
	s_cmp_le_u32 s3, s12
	s_cselect_b32 s0, -1, 0
	s_wait_alu 0xfffe
	s_and_b32 s13, s0, exec_lo
	s_cselect_b32 s13, 8, 10
	s_wait_alu 0xfffe
	v_mov_b32_e32 v31, s13
	s_nor_b32 s13, s0, vcc_lo
	s_wait_alu 0xfffe
	s_and_saveexec_b32 s0, s13
	s_cbranch_execz .LBB145_59
; %bb.58:
	v_lshrrev_b32_e32 v31, s12, v30
	s_sub_co_i32 s12, s3, s12
	v_lshlrev_b32_e32 v32, 2, v2
	s_wait_alu 0xfffe
	s_min_u32 s12, s12, 8
	s_wait_alu 0xfffe
	v_bfe_u32 v31, v31, 0, s12
	s_delay_alu instid0(VALU_DEP_1)
	v_lshl_or_b32 v31, v31, 4, v32
	v_mov_b32_e32 v32, 1
	ds_add_u32 v31, v32 offset:4096
	v_mov_b32_e32 v31, 0
.LBB145_59:
	s_wait_alu 0xfffe
	s_or_b32 exec_lo, exec_lo, s0
	s_mov_b32 s12, -1
	s_mov_b32 s13, exec_lo
	v_cmpx_gt_i32_e32 10, v31
; %bb.60:
	v_cmp_eq_u32_e64 s0, 0, v31
	s_or_not1_b32 s12, s0, exec_lo
; %bb.61:
	s_wait_alu 0xfffe
	s_or_b32 exec_lo, exec_lo, s13
	s_delay_alu instid0(SALU_CYCLE_1)
	s_and_b32 exec_lo, exec_lo, s12
	s_cbranch_execz .LBB145_69
; %bb.62:
	s_add_co_i32 s12, s2, 16
	s_wait_alu 0xfffe
	s_cmp_le_u32 s3, s12
	s_cselect_b32 s0, -1, 0
	s_wait_alu 0xfffe
	s_and_b32 s13, s0, exec_lo
	s_cselect_b32 s13, 8, 10
	s_wait_alu 0xfffe
	v_mov_b32_e32 v31, s13
	s_nor_b32 s13, s0, vcc_lo
	s_wait_alu 0xfffe
	s_and_saveexec_b32 s0, s13
	s_cbranch_execz .LBB145_64
; %bb.63:
	v_lshrrev_b32_e32 v31, s12, v30
	s_sub_co_i32 s12, s3, s12
	v_lshlrev_b32_e32 v32, 2, v2
	s_wait_alu 0xfffe
	s_min_u32 s12, s12, 8
	s_wait_alu 0xfffe
	v_bfe_u32 v31, v31, 0, s12
	s_delay_alu instid0(VALU_DEP_1)
	v_lshl_or_b32 v31, v31, 4, v32
	v_mov_b32_e32 v32, 1
	ds_add_u32 v31, v32 offset:8192
	v_mov_b32_e32 v31, 0
.LBB145_64:
	s_wait_alu 0xfffe
	s_or_b32 exec_lo, exec_lo, s0
	s_mov_b32 s12, -1
	s_mov_b32 s13, exec_lo
	v_cmpx_gt_i32_e32 10, v31
; %bb.65:
	v_cmp_eq_u32_e64 s0, 0, v31
	s_or_not1_b32 s12, s0, exec_lo
; %bb.66:
	s_wait_alu 0xfffe
	s_or_b32 exec_lo, exec_lo, s13
	s_delay_alu instid0(SALU_CYCLE_1)
	s_and_b32 exec_lo, exec_lo, s12
	s_cbranch_execz .LBB145_69
; %bb.67:
	s_add_co_i32 s0, s2, 24
	s_wait_alu 0xfffe
	s_cmp_gt_u32 s3, s0
	s_cselect_b32 s12, -1, 0
	s_xor_b32 s13, vcc_lo, -1
	s_wait_alu 0xfffe
	s_and_b32 s12, s12, s13
	s_wait_alu 0xfffe
	s_and_b32 exec_lo, exec_lo, s12
	s_cbranch_execz .LBB145_69
; %bb.68:
	v_lshrrev_b32_e32 v30, s0, v30
	s_sub_co_i32 s0, s3, s0
	v_lshlrev_b32_e32 v31, 2, v2
	s_wait_alu 0xfffe
	s_min_u32 s0, s0, 8
	s_wait_alu 0xfffe
	v_bfe_u32 v30, v30, 0, s0
	s_delay_alu instid0(VALU_DEP_1)
	v_lshl_or_b32 v30, v30, 4, v31
	v_mov_b32_e32 v31, 1
	ds_add_u32 v30, v31 offset:12288
.LBB145_69:
	s_wait_alu 0xfffe
	s_or_b32 exec_lo, exec_lo, s11
	v_cmp_le_u32_e32 vcc_lo, s10, v29
	v_mov_b32_e32 v29, s9
	s_nor_b32 s11, s1, vcc_lo
	s_wait_alu 0xfffe
	s_and_saveexec_b32 s0, s11
	s_cbranch_execz .LBB145_71
; %bb.70:
	v_lshrrev_b32_e32 v29, s2, v28
	s_sub_co_i32 s11, s3, s2
	v_lshlrev_b32_e32 v30, 2, v2
	s_wait_alu 0xfffe
	s_min_u32 s11, s11, 8
	s_wait_alu 0xfffe
	v_bfe_u32 v29, v29, 0, s11
	s_delay_alu instid0(VALU_DEP_1)
	v_lshl_or_b32 v29, v29, 4, v30
	v_mov_b32_e32 v30, 1
	ds_add_u32 v29, v30
	v_mov_b32_e32 v29, 0
.LBB145_71:
	s_wait_alu 0xfffe
	s_or_b32 exec_lo, exec_lo, s0
	s_mov_b32 s12, -1
	s_mov_b32 s11, exec_lo
	v_cmpx_gt_i32_e32 10, v29
; %bb.72:
	v_cmp_eq_u32_e64 s0, 0, v29
	s_or_not1_b32 s12, s0, exec_lo
; %bb.73:
	s_wait_alu 0xfffe
	s_or_b32 exec_lo, exec_lo, s11
	s_and_saveexec_b32 s11, s12
	s_cbranch_execz .LBB145_86
; %bb.74:
	s_add_co_i32 s12, s2, 8
	s_wait_alu 0xfffe
	s_cmp_le_u32 s3, s12
	s_cselect_b32 s0, -1, 0
	s_wait_alu 0xfffe
	s_and_b32 s13, s0, exec_lo
	s_cselect_b32 s13, 8, 10
	s_wait_alu 0xfffe
	v_mov_b32_e32 v29, s13
	s_nor_b32 s13, s0, vcc_lo
	s_wait_alu 0xfffe
	s_and_saveexec_b32 s0, s13
	s_cbranch_execz .LBB145_76
; %bb.75:
	v_lshrrev_b32_e32 v29, s12, v28
	s_sub_co_i32 s12, s3, s12
	v_lshlrev_b32_e32 v30, 2, v2
	s_wait_alu 0xfffe
	s_min_u32 s12, s12, 8
	s_wait_alu 0xfffe
	v_bfe_u32 v29, v29, 0, s12
	s_delay_alu instid0(VALU_DEP_1)
	v_lshl_or_b32 v29, v29, 4, v30
	v_mov_b32_e32 v30, 1
	ds_add_u32 v29, v30 offset:4096
	v_mov_b32_e32 v29, 0
.LBB145_76:
	s_wait_alu 0xfffe
	s_or_b32 exec_lo, exec_lo, s0
	s_mov_b32 s12, -1
	s_mov_b32 s13, exec_lo
	v_cmpx_gt_i32_e32 10, v29
; %bb.77:
	v_cmp_eq_u32_e64 s0, 0, v29
	s_or_not1_b32 s12, s0, exec_lo
; %bb.78:
	s_wait_alu 0xfffe
	s_or_b32 exec_lo, exec_lo, s13
	s_delay_alu instid0(SALU_CYCLE_1)
	s_and_b32 exec_lo, exec_lo, s12
	s_cbranch_execz .LBB145_86
; %bb.79:
	s_add_co_i32 s12, s2, 16
	s_wait_alu 0xfffe
	s_cmp_le_u32 s3, s12
	s_cselect_b32 s0, -1, 0
	s_wait_alu 0xfffe
	s_and_b32 s13, s0, exec_lo
	s_cselect_b32 s13, 8, 10
	s_wait_alu 0xfffe
	v_mov_b32_e32 v29, s13
	s_nor_b32 s13, s0, vcc_lo
	s_wait_alu 0xfffe
	s_and_saveexec_b32 s0, s13
	s_cbranch_execz .LBB145_81
; %bb.80:
	v_lshrrev_b32_e32 v29, s12, v28
	s_sub_co_i32 s12, s3, s12
	v_lshlrev_b32_e32 v30, 2, v2
	s_wait_alu 0xfffe
	s_min_u32 s12, s12, 8
	s_wait_alu 0xfffe
	v_bfe_u32 v29, v29, 0, s12
	s_delay_alu instid0(VALU_DEP_1)
	v_lshl_or_b32 v29, v29, 4, v30
	v_mov_b32_e32 v30, 1
	ds_add_u32 v29, v30 offset:8192
	v_mov_b32_e32 v29, 0
.LBB145_81:
	s_wait_alu 0xfffe
	s_or_b32 exec_lo, exec_lo, s0
	s_mov_b32 s12, -1
	s_mov_b32 s13, exec_lo
	v_cmpx_gt_i32_e32 10, v29
; %bb.82:
	v_cmp_eq_u32_e64 s0, 0, v29
	s_or_not1_b32 s12, s0, exec_lo
; %bb.83:
	s_wait_alu 0xfffe
	s_or_b32 exec_lo, exec_lo, s13
	s_delay_alu instid0(SALU_CYCLE_1)
	s_and_b32 exec_lo, exec_lo, s12
	s_cbranch_execz .LBB145_86
; %bb.84:
	s_add_co_i32 s0, s2, 24
	s_wait_alu 0xfffe
	s_cmp_gt_u32 s3, s0
	s_cselect_b32 s12, -1, 0
	s_xor_b32 s13, vcc_lo, -1
	s_wait_alu 0xfffe
	s_and_b32 s12, s12, s13
	s_wait_alu 0xfffe
	s_and_b32 exec_lo, exec_lo, s12
	s_cbranch_execz .LBB145_86
; %bb.85:
	v_lshrrev_b32_e32 v28, s0, v28
	s_sub_co_i32 s0, s3, s0
	v_lshlrev_b32_e32 v29, 2, v2
	s_wait_alu 0xfffe
	s_min_u32 s0, s0, 8
	s_wait_alu 0xfffe
	v_bfe_u32 v28, v28, 0, s0
	s_delay_alu instid0(VALU_DEP_1)
	v_lshl_or_b32 v28, v28, 4, v29
	v_mov_b32_e32 v29, 1
	ds_add_u32 v28, v29 offset:12288
.LBB145_86:
	s_wait_alu 0xfffe
	s_or_b32 exec_lo, exec_lo, s11
	v_cmp_le_u32_e32 vcc_lo, s10, v27
	v_mov_b32_e32 v27, s9
	s_nor_b32 s11, s1, vcc_lo
	s_wait_alu 0xfffe
	s_and_saveexec_b32 s0, s11
	s_cbranch_execz .LBB145_88
; %bb.87:
	v_lshrrev_b32_e32 v27, s2, v26
	s_sub_co_i32 s11, s3, s2
	v_lshlrev_b32_e32 v28, 2, v2
	s_wait_alu 0xfffe
	s_min_u32 s11, s11, 8
	s_wait_alu 0xfffe
	v_bfe_u32 v27, v27, 0, s11
	s_delay_alu instid0(VALU_DEP_1)
	v_lshl_or_b32 v27, v27, 4, v28
	v_mov_b32_e32 v28, 1
	ds_add_u32 v27, v28
	v_mov_b32_e32 v27, 0
.LBB145_88:
	s_wait_alu 0xfffe
	s_or_b32 exec_lo, exec_lo, s0
	s_mov_b32 s12, -1
	s_mov_b32 s11, exec_lo
	v_cmpx_gt_i32_e32 10, v27
; %bb.89:
	v_cmp_eq_u32_e64 s0, 0, v27
	s_or_not1_b32 s12, s0, exec_lo
; %bb.90:
	s_wait_alu 0xfffe
	s_or_b32 exec_lo, exec_lo, s11
	s_and_saveexec_b32 s11, s12
	s_cbranch_execz .LBB145_103
; %bb.91:
	s_add_co_i32 s12, s2, 8
	s_wait_alu 0xfffe
	s_cmp_le_u32 s3, s12
	s_cselect_b32 s0, -1, 0
	s_wait_alu 0xfffe
	s_and_b32 s13, s0, exec_lo
	s_cselect_b32 s13, 8, 10
	s_wait_alu 0xfffe
	v_mov_b32_e32 v27, s13
	s_nor_b32 s13, s0, vcc_lo
	s_wait_alu 0xfffe
	s_and_saveexec_b32 s0, s13
	s_cbranch_execz .LBB145_93
; %bb.92:
	v_lshrrev_b32_e32 v27, s12, v26
	s_sub_co_i32 s12, s3, s12
	v_lshlrev_b32_e32 v28, 2, v2
	s_wait_alu 0xfffe
	s_min_u32 s12, s12, 8
	s_wait_alu 0xfffe
	v_bfe_u32 v27, v27, 0, s12
	s_delay_alu instid0(VALU_DEP_1)
	v_lshl_or_b32 v27, v27, 4, v28
	v_mov_b32_e32 v28, 1
	ds_add_u32 v27, v28 offset:4096
	v_mov_b32_e32 v27, 0
.LBB145_93:
	s_wait_alu 0xfffe
	s_or_b32 exec_lo, exec_lo, s0
	s_mov_b32 s12, -1
	s_mov_b32 s13, exec_lo
	v_cmpx_gt_i32_e32 10, v27
; %bb.94:
	v_cmp_eq_u32_e64 s0, 0, v27
	s_or_not1_b32 s12, s0, exec_lo
; %bb.95:
	s_wait_alu 0xfffe
	s_or_b32 exec_lo, exec_lo, s13
	s_delay_alu instid0(SALU_CYCLE_1)
	s_and_b32 exec_lo, exec_lo, s12
	s_cbranch_execz .LBB145_103
; %bb.96:
	s_add_co_i32 s12, s2, 16
	s_wait_alu 0xfffe
	s_cmp_le_u32 s3, s12
	s_cselect_b32 s0, -1, 0
	s_wait_alu 0xfffe
	s_and_b32 s13, s0, exec_lo
	s_cselect_b32 s13, 8, 10
	s_wait_alu 0xfffe
	v_mov_b32_e32 v27, s13
	s_nor_b32 s13, s0, vcc_lo
	s_wait_alu 0xfffe
	s_and_saveexec_b32 s0, s13
	s_cbranch_execz .LBB145_98
; %bb.97:
	v_lshrrev_b32_e32 v27, s12, v26
	s_sub_co_i32 s12, s3, s12
	v_lshlrev_b32_e32 v28, 2, v2
	s_wait_alu 0xfffe
	s_min_u32 s12, s12, 8
	s_wait_alu 0xfffe
	v_bfe_u32 v27, v27, 0, s12
	s_delay_alu instid0(VALU_DEP_1)
	v_lshl_or_b32 v27, v27, 4, v28
	v_mov_b32_e32 v28, 1
	ds_add_u32 v27, v28 offset:8192
	v_mov_b32_e32 v27, 0
.LBB145_98:
	s_wait_alu 0xfffe
	s_or_b32 exec_lo, exec_lo, s0
	s_mov_b32 s12, -1
	s_mov_b32 s13, exec_lo
	v_cmpx_gt_i32_e32 10, v27
; %bb.99:
	v_cmp_eq_u32_e64 s0, 0, v27
	s_or_not1_b32 s12, s0, exec_lo
; %bb.100:
	s_wait_alu 0xfffe
	s_or_b32 exec_lo, exec_lo, s13
	s_delay_alu instid0(SALU_CYCLE_1)
	s_and_b32 exec_lo, exec_lo, s12
	s_cbranch_execz .LBB145_103
; %bb.101:
	s_add_co_i32 s0, s2, 24
	s_wait_alu 0xfffe
	s_cmp_gt_u32 s3, s0
	s_cselect_b32 s12, -1, 0
	s_xor_b32 s13, vcc_lo, -1
	s_wait_alu 0xfffe
	s_and_b32 s12, s12, s13
	s_wait_alu 0xfffe
	s_and_b32 exec_lo, exec_lo, s12
	s_cbranch_execz .LBB145_103
; %bb.102:
	v_lshrrev_b32_e32 v26, s0, v26
	s_sub_co_i32 s0, s3, s0
	v_lshlrev_b32_e32 v27, 2, v2
	s_wait_alu 0xfffe
	s_min_u32 s0, s0, 8
	s_wait_alu 0xfffe
	v_bfe_u32 v26, v26, 0, s0
	s_delay_alu instid0(VALU_DEP_1)
	v_lshl_or_b32 v26, v26, 4, v27
	v_mov_b32_e32 v27, 1
	ds_add_u32 v26, v27 offset:12288
.LBB145_103:
	s_wait_alu 0xfffe
	s_or_b32 exec_lo, exec_lo, s11
	v_cmp_le_u32_e32 vcc_lo, s10, v25
	v_mov_b32_e32 v25, s9
	s_nor_b32 s11, s1, vcc_lo
	s_wait_alu 0xfffe
	s_and_saveexec_b32 s0, s11
	s_cbranch_execz .LBB145_105
; %bb.104:
	v_lshrrev_b32_e32 v25, s2, v24
	s_sub_co_i32 s11, s3, s2
	v_lshlrev_b32_e32 v26, 2, v2
	s_wait_alu 0xfffe
	s_min_u32 s11, s11, 8
	s_wait_alu 0xfffe
	v_bfe_u32 v25, v25, 0, s11
	s_delay_alu instid0(VALU_DEP_1)
	v_lshl_or_b32 v25, v25, 4, v26
	v_mov_b32_e32 v26, 1
	ds_add_u32 v25, v26
	v_mov_b32_e32 v25, 0
.LBB145_105:
	s_wait_alu 0xfffe
	s_or_b32 exec_lo, exec_lo, s0
	s_mov_b32 s12, -1
	s_mov_b32 s11, exec_lo
	v_cmpx_gt_i32_e32 10, v25
; %bb.106:
	v_cmp_eq_u32_e64 s0, 0, v25
	s_or_not1_b32 s12, s0, exec_lo
; %bb.107:
	s_wait_alu 0xfffe
	s_or_b32 exec_lo, exec_lo, s11
	s_and_saveexec_b32 s11, s12
	s_cbranch_execz .LBB145_120
; %bb.108:
	s_add_co_i32 s12, s2, 8
	s_wait_alu 0xfffe
	s_cmp_le_u32 s3, s12
	s_cselect_b32 s0, -1, 0
	s_wait_alu 0xfffe
	s_and_b32 s13, s0, exec_lo
	s_cselect_b32 s13, 8, 10
	s_wait_alu 0xfffe
	v_mov_b32_e32 v25, s13
	s_nor_b32 s13, s0, vcc_lo
	s_wait_alu 0xfffe
	s_and_saveexec_b32 s0, s13
	s_cbranch_execz .LBB145_110
; %bb.109:
	v_lshrrev_b32_e32 v25, s12, v24
	s_sub_co_i32 s12, s3, s12
	v_lshlrev_b32_e32 v26, 2, v2
	s_wait_alu 0xfffe
	s_min_u32 s12, s12, 8
	s_wait_alu 0xfffe
	v_bfe_u32 v25, v25, 0, s12
	s_delay_alu instid0(VALU_DEP_1)
	v_lshl_or_b32 v25, v25, 4, v26
	v_mov_b32_e32 v26, 1
	ds_add_u32 v25, v26 offset:4096
	v_mov_b32_e32 v25, 0
.LBB145_110:
	s_wait_alu 0xfffe
	s_or_b32 exec_lo, exec_lo, s0
	s_mov_b32 s12, -1
	s_mov_b32 s13, exec_lo
	v_cmpx_gt_i32_e32 10, v25
; %bb.111:
	v_cmp_eq_u32_e64 s0, 0, v25
	s_or_not1_b32 s12, s0, exec_lo
; %bb.112:
	s_wait_alu 0xfffe
	s_or_b32 exec_lo, exec_lo, s13
	s_delay_alu instid0(SALU_CYCLE_1)
	s_and_b32 exec_lo, exec_lo, s12
	s_cbranch_execz .LBB145_120
; %bb.113:
	s_add_co_i32 s12, s2, 16
	s_wait_alu 0xfffe
	s_cmp_le_u32 s3, s12
	s_cselect_b32 s0, -1, 0
	s_wait_alu 0xfffe
	s_and_b32 s13, s0, exec_lo
	s_cselect_b32 s13, 8, 10
	s_wait_alu 0xfffe
	v_mov_b32_e32 v25, s13
	s_nor_b32 s13, s0, vcc_lo
	s_wait_alu 0xfffe
	s_and_saveexec_b32 s0, s13
	s_cbranch_execz .LBB145_115
; %bb.114:
	v_lshrrev_b32_e32 v25, s12, v24
	s_sub_co_i32 s12, s3, s12
	v_lshlrev_b32_e32 v26, 2, v2
	s_wait_alu 0xfffe
	s_min_u32 s12, s12, 8
	s_wait_alu 0xfffe
	v_bfe_u32 v25, v25, 0, s12
	s_delay_alu instid0(VALU_DEP_1)
	v_lshl_or_b32 v25, v25, 4, v26
	v_mov_b32_e32 v26, 1
	ds_add_u32 v25, v26 offset:8192
	v_mov_b32_e32 v25, 0
.LBB145_115:
	s_wait_alu 0xfffe
	s_or_b32 exec_lo, exec_lo, s0
	s_mov_b32 s12, -1
	s_mov_b32 s13, exec_lo
	v_cmpx_gt_i32_e32 10, v25
; %bb.116:
	v_cmp_eq_u32_e64 s0, 0, v25
	s_or_not1_b32 s12, s0, exec_lo
; %bb.117:
	s_wait_alu 0xfffe
	s_or_b32 exec_lo, exec_lo, s13
	s_delay_alu instid0(SALU_CYCLE_1)
	s_and_b32 exec_lo, exec_lo, s12
	s_cbranch_execz .LBB145_120
; %bb.118:
	s_add_co_i32 s0, s2, 24
	s_wait_alu 0xfffe
	s_cmp_gt_u32 s3, s0
	s_cselect_b32 s12, -1, 0
	s_xor_b32 s13, vcc_lo, -1
	s_wait_alu 0xfffe
	s_and_b32 s12, s12, s13
	s_wait_alu 0xfffe
	s_and_b32 exec_lo, exec_lo, s12
	s_cbranch_execz .LBB145_120
; %bb.119:
	v_lshrrev_b32_e32 v24, s0, v24
	s_sub_co_i32 s0, s3, s0
	v_lshlrev_b32_e32 v25, 2, v2
	s_wait_alu 0xfffe
	s_min_u32 s0, s0, 8
	s_wait_alu 0xfffe
	v_bfe_u32 v24, v24, 0, s0
	s_delay_alu instid0(VALU_DEP_1)
	v_lshl_or_b32 v24, v24, 4, v25
	v_mov_b32_e32 v25, 1
	ds_add_u32 v24, v25 offset:12288
.LBB145_120:
	s_wait_alu 0xfffe
	s_or_b32 exec_lo, exec_lo, s11
	v_cmp_le_u32_e32 vcc_lo, s10, v23
	v_mov_b32_e32 v23, s9
	s_nor_b32 s11, s1, vcc_lo
	s_wait_alu 0xfffe
	s_and_saveexec_b32 s0, s11
	s_cbranch_execz .LBB145_122
; %bb.121:
	v_lshrrev_b32_e32 v23, s2, v22
	s_sub_co_i32 s11, s3, s2
	v_lshlrev_b32_e32 v24, 2, v2
	s_wait_alu 0xfffe
	s_min_u32 s11, s11, 8
	s_wait_alu 0xfffe
	v_bfe_u32 v23, v23, 0, s11
	s_delay_alu instid0(VALU_DEP_1)
	v_lshl_or_b32 v23, v23, 4, v24
	v_mov_b32_e32 v24, 1
	ds_add_u32 v23, v24
	v_mov_b32_e32 v23, 0
.LBB145_122:
	s_wait_alu 0xfffe
	s_or_b32 exec_lo, exec_lo, s0
	s_mov_b32 s12, -1
	s_mov_b32 s11, exec_lo
	v_cmpx_gt_i32_e32 10, v23
; %bb.123:
	v_cmp_eq_u32_e64 s0, 0, v23
	s_or_not1_b32 s12, s0, exec_lo
; %bb.124:
	s_wait_alu 0xfffe
	s_or_b32 exec_lo, exec_lo, s11
	s_and_saveexec_b32 s11, s12
	s_cbranch_execz .LBB145_137
; %bb.125:
	s_add_co_i32 s12, s2, 8
	s_wait_alu 0xfffe
	s_cmp_le_u32 s3, s12
	s_cselect_b32 s0, -1, 0
	s_wait_alu 0xfffe
	s_and_b32 s13, s0, exec_lo
	s_cselect_b32 s13, 8, 10
	s_wait_alu 0xfffe
	v_mov_b32_e32 v23, s13
	s_nor_b32 s13, s0, vcc_lo
	s_wait_alu 0xfffe
	s_and_saveexec_b32 s0, s13
	s_cbranch_execz .LBB145_127
; %bb.126:
	v_lshrrev_b32_e32 v23, s12, v22
	s_sub_co_i32 s12, s3, s12
	v_lshlrev_b32_e32 v24, 2, v2
	s_wait_alu 0xfffe
	s_min_u32 s12, s12, 8
	s_wait_alu 0xfffe
	v_bfe_u32 v23, v23, 0, s12
	s_delay_alu instid0(VALU_DEP_1)
	v_lshl_or_b32 v23, v23, 4, v24
	v_mov_b32_e32 v24, 1
	ds_add_u32 v23, v24 offset:4096
	v_mov_b32_e32 v23, 0
.LBB145_127:
	s_wait_alu 0xfffe
	s_or_b32 exec_lo, exec_lo, s0
	s_mov_b32 s12, -1
	s_mov_b32 s13, exec_lo
	v_cmpx_gt_i32_e32 10, v23
; %bb.128:
	v_cmp_eq_u32_e64 s0, 0, v23
	s_or_not1_b32 s12, s0, exec_lo
; %bb.129:
	s_wait_alu 0xfffe
	s_or_b32 exec_lo, exec_lo, s13
	s_delay_alu instid0(SALU_CYCLE_1)
	s_and_b32 exec_lo, exec_lo, s12
	s_cbranch_execz .LBB145_137
; %bb.130:
	s_add_co_i32 s12, s2, 16
	s_wait_alu 0xfffe
	s_cmp_le_u32 s3, s12
	s_cselect_b32 s0, -1, 0
	s_wait_alu 0xfffe
	s_and_b32 s13, s0, exec_lo
	s_cselect_b32 s13, 8, 10
	s_wait_alu 0xfffe
	v_mov_b32_e32 v23, s13
	s_nor_b32 s13, s0, vcc_lo
	s_wait_alu 0xfffe
	s_and_saveexec_b32 s0, s13
	s_cbranch_execz .LBB145_132
; %bb.131:
	v_lshrrev_b32_e32 v23, s12, v22
	s_sub_co_i32 s12, s3, s12
	v_lshlrev_b32_e32 v24, 2, v2
	s_wait_alu 0xfffe
	s_min_u32 s12, s12, 8
	s_wait_alu 0xfffe
	v_bfe_u32 v23, v23, 0, s12
	s_delay_alu instid0(VALU_DEP_1)
	v_lshl_or_b32 v23, v23, 4, v24
	v_mov_b32_e32 v24, 1
	ds_add_u32 v23, v24 offset:8192
	v_mov_b32_e32 v23, 0
.LBB145_132:
	s_wait_alu 0xfffe
	s_or_b32 exec_lo, exec_lo, s0
	s_mov_b32 s12, -1
	s_mov_b32 s13, exec_lo
	v_cmpx_gt_i32_e32 10, v23
; %bb.133:
	v_cmp_eq_u32_e64 s0, 0, v23
	s_or_not1_b32 s12, s0, exec_lo
; %bb.134:
	s_wait_alu 0xfffe
	s_or_b32 exec_lo, exec_lo, s13
	s_delay_alu instid0(SALU_CYCLE_1)
	s_and_b32 exec_lo, exec_lo, s12
	s_cbranch_execz .LBB145_137
; %bb.135:
	s_add_co_i32 s0, s2, 24
	s_wait_alu 0xfffe
	s_cmp_gt_u32 s3, s0
	s_cselect_b32 s12, -1, 0
	s_xor_b32 s13, vcc_lo, -1
	s_wait_alu 0xfffe
	s_and_b32 s12, s12, s13
	s_wait_alu 0xfffe
	s_and_b32 exec_lo, exec_lo, s12
	s_cbranch_execz .LBB145_137
; %bb.136:
	v_lshrrev_b32_e32 v22, s0, v22
	s_sub_co_i32 s0, s3, s0
	v_lshlrev_b32_e32 v23, 2, v2
	s_wait_alu 0xfffe
	s_min_u32 s0, s0, 8
	s_wait_alu 0xfffe
	v_bfe_u32 v22, v22, 0, s0
	s_delay_alu instid0(VALU_DEP_1)
	v_lshl_or_b32 v22, v22, 4, v23
	v_mov_b32_e32 v23, 1
	ds_add_u32 v22, v23 offset:12288
.LBB145_137:
	s_wait_alu 0xfffe
	s_or_b32 exec_lo, exec_lo, s11
	v_cmp_le_u32_e32 vcc_lo, s10, v21
	v_mov_b32_e32 v21, s9
	s_nor_b32 s11, s1, vcc_lo
	s_wait_alu 0xfffe
	s_and_saveexec_b32 s0, s11
	s_cbranch_execz .LBB145_139
; %bb.138:
	v_lshrrev_b32_e32 v21, s2, v20
	s_sub_co_i32 s11, s3, s2
	v_lshlrev_b32_e32 v22, 2, v2
	s_wait_alu 0xfffe
	s_min_u32 s11, s11, 8
	s_wait_alu 0xfffe
	v_bfe_u32 v21, v21, 0, s11
	s_delay_alu instid0(VALU_DEP_1)
	v_lshl_or_b32 v21, v21, 4, v22
	v_mov_b32_e32 v22, 1
	ds_add_u32 v21, v22
	v_mov_b32_e32 v21, 0
.LBB145_139:
	s_wait_alu 0xfffe
	s_or_b32 exec_lo, exec_lo, s0
	s_mov_b32 s12, -1
	s_mov_b32 s11, exec_lo
	v_cmpx_gt_i32_e32 10, v21
; %bb.140:
	v_cmp_eq_u32_e64 s0, 0, v21
	s_or_not1_b32 s12, s0, exec_lo
; %bb.141:
	s_wait_alu 0xfffe
	s_or_b32 exec_lo, exec_lo, s11
	s_and_saveexec_b32 s11, s12
	s_cbranch_execz .LBB145_154
; %bb.142:
	s_add_co_i32 s12, s2, 8
	s_wait_alu 0xfffe
	s_cmp_le_u32 s3, s12
	s_cselect_b32 s0, -1, 0
	s_wait_alu 0xfffe
	s_and_b32 s13, s0, exec_lo
	s_cselect_b32 s13, 8, 10
	s_wait_alu 0xfffe
	v_mov_b32_e32 v21, s13
	s_nor_b32 s13, s0, vcc_lo
	s_wait_alu 0xfffe
	s_and_saveexec_b32 s0, s13
	s_cbranch_execz .LBB145_144
; %bb.143:
	v_lshrrev_b32_e32 v21, s12, v20
	s_sub_co_i32 s12, s3, s12
	v_lshlrev_b32_e32 v22, 2, v2
	s_wait_alu 0xfffe
	s_min_u32 s12, s12, 8
	s_wait_alu 0xfffe
	v_bfe_u32 v21, v21, 0, s12
	s_delay_alu instid0(VALU_DEP_1)
	v_lshl_or_b32 v21, v21, 4, v22
	v_mov_b32_e32 v22, 1
	ds_add_u32 v21, v22 offset:4096
	v_mov_b32_e32 v21, 0
.LBB145_144:
	s_wait_alu 0xfffe
	s_or_b32 exec_lo, exec_lo, s0
	s_mov_b32 s12, -1
	s_mov_b32 s13, exec_lo
	v_cmpx_gt_i32_e32 10, v21
; %bb.145:
	v_cmp_eq_u32_e64 s0, 0, v21
	s_or_not1_b32 s12, s0, exec_lo
; %bb.146:
	s_wait_alu 0xfffe
	s_or_b32 exec_lo, exec_lo, s13
	s_delay_alu instid0(SALU_CYCLE_1)
	s_and_b32 exec_lo, exec_lo, s12
	s_cbranch_execz .LBB145_154
; %bb.147:
	s_add_co_i32 s12, s2, 16
	s_wait_alu 0xfffe
	s_cmp_le_u32 s3, s12
	s_cselect_b32 s0, -1, 0
	s_wait_alu 0xfffe
	s_and_b32 s13, s0, exec_lo
	s_cselect_b32 s13, 8, 10
	s_wait_alu 0xfffe
	v_mov_b32_e32 v21, s13
	s_nor_b32 s13, s0, vcc_lo
	s_wait_alu 0xfffe
	s_and_saveexec_b32 s0, s13
	s_cbranch_execz .LBB145_149
; %bb.148:
	v_lshrrev_b32_e32 v21, s12, v20
	s_sub_co_i32 s12, s3, s12
	v_lshlrev_b32_e32 v22, 2, v2
	s_wait_alu 0xfffe
	s_min_u32 s12, s12, 8
	s_wait_alu 0xfffe
	v_bfe_u32 v21, v21, 0, s12
	s_delay_alu instid0(VALU_DEP_1)
	v_lshl_or_b32 v21, v21, 4, v22
	v_mov_b32_e32 v22, 1
	ds_add_u32 v21, v22 offset:8192
	v_mov_b32_e32 v21, 0
.LBB145_149:
	s_wait_alu 0xfffe
	s_or_b32 exec_lo, exec_lo, s0
	s_mov_b32 s12, -1
	s_mov_b32 s13, exec_lo
	v_cmpx_gt_i32_e32 10, v21
; %bb.150:
	v_cmp_eq_u32_e64 s0, 0, v21
	s_or_not1_b32 s12, s0, exec_lo
; %bb.151:
	s_wait_alu 0xfffe
	s_or_b32 exec_lo, exec_lo, s13
	s_delay_alu instid0(SALU_CYCLE_1)
	s_and_b32 exec_lo, exec_lo, s12
	s_cbranch_execz .LBB145_154
; %bb.152:
	s_add_co_i32 s0, s2, 24
	s_wait_alu 0xfffe
	s_cmp_gt_u32 s3, s0
	s_cselect_b32 s12, -1, 0
	s_xor_b32 s13, vcc_lo, -1
	s_wait_alu 0xfffe
	s_and_b32 s12, s12, s13
	s_wait_alu 0xfffe
	s_and_b32 exec_lo, exec_lo, s12
	s_cbranch_execz .LBB145_154
; %bb.153:
	v_lshrrev_b32_e32 v20, s0, v20
	s_sub_co_i32 s0, s3, s0
	v_lshlrev_b32_e32 v21, 2, v2
	s_wait_alu 0xfffe
	s_min_u32 s0, s0, 8
	s_wait_alu 0xfffe
	v_bfe_u32 v20, v20, 0, s0
	s_delay_alu instid0(VALU_DEP_1)
	v_lshl_or_b32 v20, v20, 4, v21
	v_mov_b32_e32 v21, 1
	ds_add_u32 v20, v21 offset:12288
.LBB145_154:
	s_wait_alu 0xfffe
	s_or_b32 exec_lo, exec_lo, s11
	v_cmp_le_u32_e32 vcc_lo, s10, v19
	v_mov_b32_e32 v19, s9
	s_nor_b32 s11, s1, vcc_lo
	s_wait_alu 0xfffe
	s_and_saveexec_b32 s0, s11
	s_cbranch_execz .LBB145_156
; %bb.155:
	v_lshrrev_b32_e32 v19, s2, v18
	s_sub_co_i32 s11, s3, s2
	v_lshlrev_b32_e32 v20, 2, v2
	s_wait_alu 0xfffe
	s_min_u32 s11, s11, 8
	s_wait_alu 0xfffe
	v_bfe_u32 v19, v19, 0, s11
	s_delay_alu instid0(VALU_DEP_1)
	v_lshl_or_b32 v19, v19, 4, v20
	v_mov_b32_e32 v20, 1
	ds_add_u32 v19, v20
	v_mov_b32_e32 v19, 0
.LBB145_156:
	s_wait_alu 0xfffe
	s_or_b32 exec_lo, exec_lo, s0
	s_mov_b32 s12, -1
	s_mov_b32 s11, exec_lo
	v_cmpx_gt_i32_e32 10, v19
; %bb.157:
	v_cmp_eq_u32_e64 s0, 0, v19
	s_or_not1_b32 s12, s0, exec_lo
; %bb.158:
	s_wait_alu 0xfffe
	s_or_b32 exec_lo, exec_lo, s11
	s_and_saveexec_b32 s11, s12
	s_cbranch_execz .LBB145_171
; %bb.159:
	s_add_co_i32 s12, s2, 8
	s_wait_alu 0xfffe
	s_cmp_le_u32 s3, s12
	s_cselect_b32 s0, -1, 0
	s_wait_alu 0xfffe
	s_and_b32 s13, s0, exec_lo
	s_cselect_b32 s13, 8, 10
	s_wait_alu 0xfffe
	v_mov_b32_e32 v19, s13
	s_nor_b32 s13, s0, vcc_lo
	s_wait_alu 0xfffe
	s_and_saveexec_b32 s0, s13
	s_cbranch_execz .LBB145_161
; %bb.160:
	v_lshrrev_b32_e32 v19, s12, v18
	s_sub_co_i32 s12, s3, s12
	v_lshlrev_b32_e32 v20, 2, v2
	s_wait_alu 0xfffe
	s_min_u32 s12, s12, 8
	s_wait_alu 0xfffe
	v_bfe_u32 v19, v19, 0, s12
	s_delay_alu instid0(VALU_DEP_1)
	v_lshl_or_b32 v19, v19, 4, v20
	v_mov_b32_e32 v20, 1
	ds_add_u32 v19, v20 offset:4096
	v_mov_b32_e32 v19, 0
.LBB145_161:
	s_wait_alu 0xfffe
	s_or_b32 exec_lo, exec_lo, s0
	s_mov_b32 s12, -1
	s_mov_b32 s13, exec_lo
	v_cmpx_gt_i32_e32 10, v19
; %bb.162:
	v_cmp_eq_u32_e64 s0, 0, v19
	s_or_not1_b32 s12, s0, exec_lo
; %bb.163:
	s_wait_alu 0xfffe
	s_or_b32 exec_lo, exec_lo, s13
	s_delay_alu instid0(SALU_CYCLE_1)
	s_and_b32 exec_lo, exec_lo, s12
	s_cbranch_execz .LBB145_171
; %bb.164:
	s_add_co_i32 s12, s2, 16
	s_wait_alu 0xfffe
	s_cmp_le_u32 s3, s12
	s_cselect_b32 s0, -1, 0
	s_wait_alu 0xfffe
	s_and_b32 s13, s0, exec_lo
	s_cselect_b32 s13, 8, 10
	s_wait_alu 0xfffe
	v_mov_b32_e32 v19, s13
	s_nor_b32 s13, s0, vcc_lo
	s_wait_alu 0xfffe
	s_and_saveexec_b32 s0, s13
	s_cbranch_execz .LBB145_166
; %bb.165:
	v_lshrrev_b32_e32 v19, s12, v18
	s_sub_co_i32 s12, s3, s12
	v_lshlrev_b32_e32 v20, 2, v2
	s_wait_alu 0xfffe
	s_min_u32 s12, s12, 8
	s_wait_alu 0xfffe
	v_bfe_u32 v19, v19, 0, s12
	s_delay_alu instid0(VALU_DEP_1)
	v_lshl_or_b32 v19, v19, 4, v20
	v_mov_b32_e32 v20, 1
	ds_add_u32 v19, v20 offset:8192
	v_mov_b32_e32 v19, 0
.LBB145_166:
	s_wait_alu 0xfffe
	s_or_b32 exec_lo, exec_lo, s0
	s_mov_b32 s12, -1
	s_mov_b32 s13, exec_lo
	v_cmpx_gt_i32_e32 10, v19
; %bb.167:
	v_cmp_eq_u32_e64 s0, 0, v19
	s_or_not1_b32 s12, s0, exec_lo
; %bb.168:
	s_wait_alu 0xfffe
	s_or_b32 exec_lo, exec_lo, s13
	s_delay_alu instid0(SALU_CYCLE_1)
	s_and_b32 exec_lo, exec_lo, s12
	s_cbranch_execz .LBB145_171
; %bb.169:
	s_add_co_i32 s0, s2, 24
	s_wait_alu 0xfffe
	s_cmp_gt_u32 s3, s0
	s_cselect_b32 s12, -1, 0
	s_xor_b32 s13, vcc_lo, -1
	s_wait_alu 0xfffe
	s_and_b32 s12, s12, s13
	s_wait_alu 0xfffe
	s_and_b32 exec_lo, exec_lo, s12
	s_cbranch_execz .LBB145_171
; %bb.170:
	v_lshrrev_b32_e32 v18, s0, v18
	s_sub_co_i32 s0, s3, s0
	v_lshlrev_b32_e32 v19, 2, v2
	s_wait_alu 0xfffe
	s_min_u32 s0, s0, 8
	s_wait_alu 0xfffe
	v_bfe_u32 v18, v18, 0, s0
	s_delay_alu instid0(VALU_DEP_1)
	v_lshl_or_b32 v18, v18, 4, v19
	v_mov_b32_e32 v19, 1
	ds_add_u32 v18, v19 offset:12288
.LBB145_171:
	s_wait_alu 0xfffe
	s_or_b32 exec_lo, exec_lo, s11
	v_cmp_le_u32_e32 vcc_lo, s10, v17
	v_mov_b32_e32 v17, s9
	s_nor_b32 s11, s1, vcc_lo
	s_wait_alu 0xfffe
	s_and_saveexec_b32 s0, s11
	s_cbranch_execz .LBB145_173
; %bb.172:
	v_lshrrev_b32_e32 v17, s2, v16
	s_sub_co_i32 s11, s3, s2
	v_lshlrev_b32_e32 v18, 2, v2
	s_wait_alu 0xfffe
	s_min_u32 s11, s11, 8
	s_wait_alu 0xfffe
	v_bfe_u32 v17, v17, 0, s11
	s_delay_alu instid0(VALU_DEP_1)
	v_lshl_or_b32 v17, v17, 4, v18
	v_mov_b32_e32 v18, 1
	ds_add_u32 v17, v18
	v_mov_b32_e32 v17, 0
.LBB145_173:
	s_wait_alu 0xfffe
	s_or_b32 exec_lo, exec_lo, s0
	s_mov_b32 s12, -1
	s_mov_b32 s11, exec_lo
	v_cmpx_gt_i32_e32 10, v17
; %bb.174:
	v_cmp_eq_u32_e64 s0, 0, v17
	s_or_not1_b32 s12, s0, exec_lo
; %bb.175:
	s_wait_alu 0xfffe
	s_or_b32 exec_lo, exec_lo, s11
	s_and_saveexec_b32 s11, s12
	s_cbranch_execz .LBB145_188
; %bb.176:
	s_add_co_i32 s12, s2, 8
	s_wait_alu 0xfffe
	s_cmp_le_u32 s3, s12
	s_cselect_b32 s0, -1, 0
	s_wait_alu 0xfffe
	s_and_b32 s13, s0, exec_lo
	s_cselect_b32 s13, 8, 10
	s_wait_alu 0xfffe
	v_mov_b32_e32 v17, s13
	s_nor_b32 s13, s0, vcc_lo
	s_wait_alu 0xfffe
	s_and_saveexec_b32 s0, s13
	s_cbranch_execz .LBB145_178
; %bb.177:
	v_lshrrev_b32_e32 v17, s12, v16
	s_sub_co_i32 s12, s3, s12
	v_lshlrev_b32_e32 v18, 2, v2
	s_wait_alu 0xfffe
	s_min_u32 s12, s12, 8
	s_wait_alu 0xfffe
	v_bfe_u32 v17, v17, 0, s12
	s_delay_alu instid0(VALU_DEP_1)
	v_lshl_or_b32 v17, v17, 4, v18
	v_mov_b32_e32 v18, 1
	ds_add_u32 v17, v18 offset:4096
	v_mov_b32_e32 v17, 0
.LBB145_178:
	s_wait_alu 0xfffe
	s_or_b32 exec_lo, exec_lo, s0
	s_mov_b32 s12, -1
	s_mov_b32 s13, exec_lo
	v_cmpx_gt_i32_e32 10, v17
; %bb.179:
	v_cmp_eq_u32_e64 s0, 0, v17
	s_or_not1_b32 s12, s0, exec_lo
; %bb.180:
	s_wait_alu 0xfffe
	s_or_b32 exec_lo, exec_lo, s13
	s_delay_alu instid0(SALU_CYCLE_1)
	s_and_b32 exec_lo, exec_lo, s12
	s_cbranch_execz .LBB145_188
; %bb.181:
	s_add_co_i32 s12, s2, 16
	s_wait_alu 0xfffe
	s_cmp_le_u32 s3, s12
	s_cselect_b32 s0, -1, 0
	s_wait_alu 0xfffe
	s_and_b32 s13, s0, exec_lo
	s_cselect_b32 s13, 8, 10
	s_wait_alu 0xfffe
	v_mov_b32_e32 v17, s13
	s_nor_b32 s13, s0, vcc_lo
	s_wait_alu 0xfffe
	s_and_saveexec_b32 s0, s13
	s_cbranch_execz .LBB145_183
; %bb.182:
	v_lshrrev_b32_e32 v17, s12, v16
	s_sub_co_i32 s12, s3, s12
	v_lshlrev_b32_e32 v18, 2, v2
	s_wait_alu 0xfffe
	s_min_u32 s12, s12, 8
	s_wait_alu 0xfffe
	v_bfe_u32 v17, v17, 0, s12
	s_delay_alu instid0(VALU_DEP_1)
	v_lshl_or_b32 v17, v17, 4, v18
	v_mov_b32_e32 v18, 1
	ds_add_u32 v17, v18 offset:8192
	v_mov_b32_e32 v17, 0
.LBB145_183:
	s_wait_alu 0xfffe
	s_or_b32 exec_lo, exec_lo, s0
	s_mov_b32 s12, -1
	s_mov_b32 s13, exec_lo
	v_cmpx_gt_i32_e32 10, v17
; %bb.184:
	v_cmp_eq_u32_e64 s0, 0, v17
	s_or_not1_b32 s12, s0, exec_lo
; %bb.185:
	s_wait_alu 0xfffe
	s_or_b32 exec_lo, exec_lo, s13
	s_delay_alu instid0(SALU_CYCLE_1)
	s_and_b32 exec_lo, exec_lo, s12
	s_cbranch_execz .LBB145_188
; %bb.186:
	s_add_co_i32 s0, s2, 24
	s_wait_alu 0xfffe
	s_cmp_gt_u32 s3, s0
	s_cselect_b32 s12, -1, 0
	s_xor_b32 s13, vcc_lo, -1
	s_wait_alu 0xfffe
	s_and_b32 s12, s12, s13
	s_wait_alu 0xfffe
	s_and_b32 exec_lo, exec_lo, s12
	s_cbranch_execz .LBB145_188
; %bb.187:
	v_lshrrev_b32_e32 v16, s0, v16
	s_sub_co_i32 s0, s3, s0
	v_lshlrev_b32_e32 v17, 2, v2
	s_wait_alu 0xfffe
	s_min_u32 s0, s0, 8
	s_wait_alu 0xfffe
	v_bfe_u32 v16, v16, 0, s0
	s_delay_alu instid0(VALU_DEP_1)
	v_lshl_or_b32 v16, v16, 4, v17
	v_mov_b32_e32 v17, 1
	ds_add_u32 v16, v17 offset:12288
.LBB145_188:
	s_wait_alu 0xfffe
	s_or_b32 exec_lo, exec_lo, s11
	v_cmp_le_u32_e32 vcc_lo, s10, v15
	v_mov_b32_e32 v15, s9
	s_nor_b32 s11, s1, vcc_lo
	s_wait_alu 0xfffe
	s_and_saveexec_b32 s0, s11
	s_cbranch_execz .LBB145_190
; %bb.189:
	v_lshrrev_b32_e32 v15, s2, v14
	s_sub_co_i32 s11, s3, s2
	v_lshlrev_b32_e32 v16, 2, v2
	s_wait_alu 0xfffe
	s_min_u32 s11, s11, 8
	s_wait_alu 0xfffe
	v_bfe_u32 v15, v15, 0, s11
	s_delay_alu instid0(VALU_DEP_1)
	v_lshl_or_b32 v15, v15, 4, v16
	v_mov_b32_e32 v16, 1
	ds_add_u32 v15, v16
	v_mov_b32_e32 v15, 0
.LBB145_190:
	s_wait_alu 0xfffe
	s_or_b32 exec_lo, exec_lo, s0
	s_mov_b32 s12, -1
	s_mov_b32 s11, exec_lo
	v_cmpx_gt_i32_e32 10, v15
; %bb.191:
	v_cmp_eq_u32_e64 s0, 0, v15
	s_or_not1_b32 s12, s0, exec_lo
; %bb.192:
	s_wait_alu 0xfffe
	s_or_b32 exec_lo, exec_lo, s11
	s_and_saveexec_b32 s11, s12
	s_cbranch_execz .LBB145_205
; %bb.193:
	s_add_co_i32 s12, s2, 8
	s_wait_alu 0xfffe
	s_cmp_le_u32 s3, s12
	s_cselect_b32 s0, -1, 0
	s_wait_alu 0xfffe
	s_and_b32 s13, s0, exec_lo
	s_cselect_b32 s13, 8, 10
	s_wait_alu 0xfffe
	v_mov_b32_e32 v15, s13
	s_nor_b32 s13, s0, vcc_lo
	s_wait_alu 0xfffe
	s_and_saveexec_b32 s0, s13
	s_cbranch_execz .LBB145_195
; %bb.194:
	v_lshrrev_b32_e32 v15, s12, v14
	s_sub_co_i32 s12, s3, s12
	v_lshlrev_b32_e32 v16, 2, v2
	s_wait_alu 0xfffe
	s_min_u32 s12, s12, 8
	s_wait_alu 0xfffe
	v_bfe_u32 v15, v15, 0, s12
	s_delay_alu instid0(VALU_DEP_1)
	v_lshl_or_b32 v15, v15, 4, v16
	v_mov_b32_e32 v16, 1
	ds_add_u32 v15, v16 offset:4096
	v_mov_b32_e32 v15, 0
.LBB145_195:
	s_wait_alu 0xfffe
	s_or_b32 exec_lo, exec_lo, s0
	s_mov_b32 s12, -1
	s_mov_b32 s13, exec_lo
	v_cmpx_gt_i32_e32 10, v15
; %bb.196:
	v_cmp_eq_u32_e64 s0, 0, v15
	s_or_not1_b32 s12, s0, exec_lo
; %bb.197:
	s_wait_alu 0xfffe
	s_or_b32 exec_lo, exec_lo, s13
	s_delay_alu instid0(SALU_CYCLE_1)
	s_and_b32 exec_lo, exec_lo, s12
	s_cbranch_execz .LBB145_205
; %bb.198:
	s_add_co_i32 s12, s2, 16
	s_wait_alu 0xfffe
	s_cmp_le_u32 s3, s12
	s_cselect_b32 s0, -1, 0
	s_wait_alu 0xfffe
	s_and_b32 s13, s0, exec_lo
	s_cselect_b32 s13, 8, 10
	s_wait_alu 0xfffe
	v_mov_b32_e32 v15, s13
	s_nor_b32 s13, s0, vcc_lo
	s_wait_alu 0xfffe
	s_and_saveexec_b32 s0, s13
	s_cbranch_execz .LBB145_200
; %bb.199:
	v_lshrrev_b32_e32 v15, s12, v14
	s_sub_co_i32 s12, s3, s12
	v_lshlrev_b32_e32 v16, 2, v2
	s_wait_alu 0xfffe
	s_min_u32 s12, s12, 8
	s_wait_alu 0xfffe
	v_bfe_u32 v15, v15, 0, s12
	s_delay_alu instid0(VALU_DEP_1)
	v_lshl_or_b32 v15, v15, 4, v16
	v_mov_b32_e32 v16, 1
	ds_add_u32 v15, v16 offset:8192
	v_mov_b32_e32 v15, 0
.LBB145_200:
	s_wait_alu 0xfffe
	s_or_b32 exec_lo, exec_lo, s0
	s_mov_b32 s12, -1
	s_mov_b32 s13, exec_lo
	v_cmpx_gt_i32_e32 10, v15
; %bb.201:
	v_cmp_eq_u32_e64 s0, 0, v15
	s_or_not1_b32 s12, s0, exec_lo
; %bb.202:
	s_wait_alu 0xfffe
	s_or_b32 exec_lo, exec_lo, s13
	s_delay_alu instid0(SALU_CYCLE_1)
	s_and_b32 exec_lo, exec_lo, s12
	s_cbranch_execz .LBB145_205
; %bb.203:
	s_add_co_i32 s0, s2, 24
	s_wait_alu 0xfffe
	s_cmp_gt_u32 s3, s0
	s_cselect_b32 s12, -1, 0
	s_xor_b32 s13, vcc_lo, -1
	s_wait_alu 0xfffe
	s_and_b32 s12, s12, s13
	s_wait_alu 0xfffe
	s_and_b32 exec_lo, exec_lo, s12
	s_cbranch_execz .LBB145_205
; %bb.204:
	v_lshrrev_b32_e32 v14, s0, v14
	s_sub_co_i32 s0, s3, s0
	v_lshlrev_b32_e32 v15, 2, v2
	s_wait_alu 0xfffe
	s_min_u32 s0, s0, 8
	s_wait_alu 0xfffe
	v_bfe_u32 v14, v14, 0, s0
	s_delay_alu instid0(VALU_DEP_1)
	v_lshl_or_b32 v14, v14, 4, v15
	v_mov_b32_e32 v15, 1
	ds_add_u32 v14, v15 offset:12288
.LBB145_205:
	s_wait_alu 0xfffe
	s_or_b32 exec_lo, exec_lo, s11
	v_cmp_le_u32_e32 vcc_lo, s10, v13
	v_mov_b32_e32 v13, s9
	s_nor_b32 s11, s1, vcc_lo
	s_wait_alu 0xfffe
	s_and_saveexec_b32 s0, s11
	s_cbranch_execz .LBB145_207
; %bb.206:
	v_lshrrev_b32_e32 v13, s2, v12
	s_sub_co_i32 s11, s3, s2
	v_lshlrev_b32_e32 v14, 2, v2
	s_wait_alu 0xfffe
	s_min_u32 s11, s11, 8
	s_wait_alu 0xfffe
	v_bfe_u32 v13, v13, 0, s11
	s_delay_alu instid0(VALU_DEP_1)
	v_lshl_or_b32 v13, v13, 4, v14
	v_mov_b32_e32 v14, 1
	ds_add_u32 v13, v14
	v_mov_b32_e32 v13, 0
.LBB145_207:
	s_wait_alu 0xfffe
	s_or_b32 exec_lo, exec_lo, s0
	s_mov_b32 s12, -1
	s_mov_b32 s11, exec_lo
	v_cmpx_gt_i32_e32 10, v13
; %bb.208:
	v_cmp_eq_u32_e64 s0, 0, v13
	s_or_not1_b32 s12, s0, exec_lo
; %bb.209:
	s_wait_alu 0xfffe
	s_or_b32 exec_lo, exec_lo, s11
	s_and_saveexec_b32 s11, s12
	s_cbranch_execz .LBB145_222
; %bb.210:
	s_add_co_i32 s12, s2, 8
	s_wait_alu 0xfffe
	s_cmp_le_u32 s3, s12
	s_cselect_b32 s0, -1, 0
	s_wait_alu 0xfffe
	s_and_b32 s13, s0, exec_lo
	s_cselect_b32 s13, 8, 10
	s_wait_alu 0xfffe
	v_mov_b32_e32 v13, s13
	s_nor_b32 s13, s0, vcc_lo
	s_wait_alu 0xfffe
	s_and_saveexec_b32 s0, s13
	s_cbranch_execz .LBB145_212
; %bb.211:
	v_lshrrev_b32_e32 v13, s12, v12
	s_sub_co_i32 s12, s3, s12
	v_lshlrev_b32_e32 v14, 2, v2
	s_wait_alu 0xfffe
	s_min_u32 s12, s12, 8
	s_wait_alu 0xfffe
	v_bfe_u32 v13, v13, 0, s12
	s_delay_alu instid0(VALU_DEP_1)
	v_lshl_or_b32 v13, v13, 4, v14
	v_mov_b32_e32 v14, 1
	ds_add_u32 v13, v14 offset:4096
	v_mov_b32_e32 v13, 0
.LBB145_212:
	s_wait_alu 0xfffe
	s_or_b32 exec_lo, exec_lo, s0
	s_mov_b32 s12, -1
	s_mov_b32 s13, exec_lo
	v_cmpx_gt_i32_e32 10, v13
; %bb.213:
	v_cmp_eq_u32_e64 s0, 0, v13
	s_or_not1_b32 s12, s0, exec_lo
; %bb.214:
	s_wait_alu 0xfffe
	s_or_b32 exec_lo, exec_lo, s13
	s_delay_alu instid0(SALU_CYCLE_1)
	s_and_b32 exec_lo, exec_lo, s12
	s_cbranch_execz .LBB145_222
; %bb.215:
	s_add_co_i32 s12, s2, 16
	s_wait_alu 0xfffe
	s_cmp_le_u32 s3, s12
	s_cselect_b32 s0, -1, 0
	s_wait_alu 0xfffe
	s_and_b32 s13, s0, exec_lo
	s_cselect_b32 s13, 8, 10
	s_wait_alu 0xfffe
	v_mov_b32_e32 v13, s13
	s_nor_b32 s13, s0, vcc_lo
	s_wait_alu 0xfffe
	s_and_saveexec_b32 s0, s13
	s_cbranch_execz .LBB145_217
; %bb.216:
	v_lshrrev_b32_e32 v13, s12, v12
	s_sub_co_i32 s12, s3, s12
	v_lshlrev_b32_e32 v14, 2, v2
	s_wait_alu 0xfffe
	s_min_u32 s12, s12, 8
	s_wait_alu 0xfffe
	v_bfe_u32 v13, v13, 0, s12
	s_delay_alu instid0(VALU_DEP_1)
	v_lshl_or_b32 v13, v13, 4, v14
	v_mov_b32_e32 v14, 1
	ds_add_u32 v13, v14 offset:8192
	v_mov_b32_e32 v13, 0
.LBB145_217:
	s_wait_alu 0xfffe
	s_or_b32 exec_lo, exec_lo, s0
	s_mov_b32 s12, -1
	s_mov_b32 s13, exec_lo
	v_cmpx_gt_i32_e32 10, v13
; %bb.218:
	v_cmp_eq_u32_e64 s0, 0, v13
	s_or_not1_b32 s12, s0, exec_lo
; %bb.219:
	s_wait_alu 0xfffe
	s_or_b32 exec_lo, exec_lo, s13
	s_delay_alu instid0(SALU_CYCLE_1)
	s_and_b32 exec_lo, exec_lo, s12
	s_cbranch_execz .LBB145_222
; %bb.220:
	s_add_co_i32 s0, s2, 24
	s_wait_alu 0xfffe
	s_cmp_gt_u32 s3, s0
	s_cselect_b32 s12, -1, 0
	s_xor_b32 s13, vcc_lo, -1
	s_wait_alu 0xfffe
	s_and_b32 s12, s12, s13
	s_wait_alu 0xfffe
	s_and_b32 exec_lo, exec_lo, s12
	s_cbranch_execz .LBB145_222
; %bb.221:
	v_lshrrev_b32_e32 v12, s0, v12
	s_sub_co_i32 s0, s3, s0
	v_lshlrev_b32_e32 v13, 2, v2
	s_wait_alu 0xfffe
	s_min_u32 s0, s0, 8
	s_wait_alu 0xfffe
	v_bfe_u32 v12, v12, 0, s0
	s_delay_alu instid0(VALU_DEP_1)
	v_lshl_or_b32 v12, v12, 4, v13
	v_mov_b32_e32 v13, 1
	ds_add_u32 v12, v13 offset:12288
.LBB145_222:
	s_wait_alu 0xfffe
	s_or_b32 exec_lo, exec_lo, s11
	v_cmp_le_u32_e32 vcc_lo, s10, v11
	v_mov_b32_e32 v11, s9
	s_nor_b32 s11, s1, vcc_lo
	s_wait_alu 0xfffe
	s_and_saveexec_b32 s0, s11
	s_cbranch_execz .LBB145_224
; %bb.223:
	v_lshrrev_b32_e32 v11, s2, v10
	s_sub_co_i32 s11, s3, s2
	v_lshlrev_b32_e32 v12, 2, v2
	s_wait_alu 0xfffe
	s_min_u32 s11, s11, 8
	s_wait_alu 0xfffe
	v_bfe_u32 v11, v11, 0, s11
	s_delay_alu instid0(VALU_DEP_1)
	v_lshl_or_b32 v11, v11, 4, v12
	v_mov_b32_e32 v12, 1
	ds_add_u32 v11, v12
	v_mov_b32_e32 v11, 0
.LBB145_224:
	s_wait_alu 0xfffe
	s_or_b32 exec_lo, exec_lo, s0
	s_mov_b32 s12, -1
	s_mov_b32 s11, exec_lo
	v_cmpx_gt_i32_e32 10, v11
; %bb.225:
	v_cmp_eq_u32_e64 s0, 0, v11
	s_or_not1_b32 s12, s0, exec_lo
; %bb.226:
	s_wait_alu 0xfffe
	s_or_b32 exec_lo, exec_lo, s11
	s_and_saveexec_b32 s11, s12
	s_cbranch_execz .LBB145_239
; %bb.227:
	s_add_co_i32 s12, s2, 8
	s_wait_alu 0xfffe
	s_cmp_le_u32 s3, s12
	s_cselect_b32 s0, -1, 0
	s_wait_alu 0xfffe
	s_and_b32 s13, s0, exec_lo
	s_cselect_b32 s13, 8, 10
	s_wait_alu 0xfffe
	v_mov_b32_e32 v11, s13
	s_nor_b32 s13, s0, vcc_lo
	s_wait_alu 0xfffe
	s_and_saveexec_b32 s0, s13
	s_cbranch_execz .LBB145_229
; %bb.228:
	v_lshrrev_b32_e32 v11, s12, v10
	s_sub_co_i32 s12, s3, s12
	v_lshlrev_b32_e32 v12, 2, v2
	s_wait_alu 0xfffe
	s_min_u32 s12, s12, 8
	s_wait_alu 0xfffe
	v_bfe_u32 v11, v11, 0, s12
	s_delay_alu instid0(VALU_DEP_1)
	v_lshl_or_b32 v11, v11, 4, v12
	v_mov_b32_e32 v12, 1
	ds_add_u32 v11, v12 offset:4096
	v_mov_b32_e32 v11, 0
.LBB145_229:
	s_wait_alu 0xfffe
	s_or_b32 exec_lo, exec_lo, s0
	s_mov_b32 s12, -1
	s_mov_b32 s13, exec_lo
	v_cmpx_gt_i32_e32 10, v11
; %bb.230:
	v_cmp_eq_u32_e64 s0, 0, v11
	s_or_not1_b32 s12, s0, exec_lo
; %bb.231:
	s_wait_alu 0xfffe
	s_or_b32 exec_lo, exec_lo, s13
	s_delay_alu instid0(SALU_CYCLE_1)
	s_and_b32 exec_lo, exec_lo, s12
	s_cbranch_execz .LBB145_239
; %bb.232:
	s_add_co_i32 s12, s2, 16
	s_wait_alu 0xfffe
	s_cmp_le_u32 s3, s12
	s_cselect_b32 s0, -1, 0
	s_wait_alu 0xfffe
	s_and_b32 s13, s0, exec_lo
	s_cselect_b32 s13, 8, 10
	s_wait_alu 0xfffe
	v_mov_b32_e32 v11, s13
	s_nor_b32 s13, s0, vcc_lo
	s_wait_alu 0xfffe
	s_and_saveexec_b32 s0, s13
	s_cbranch_execz .LBB145_234
; %bb.233:
	v_lshrrev_b32_e32 v11, s12, v10
	s_sub_co_i32 s12, s3, s12
	v_lshlrev_b32_e32 v12, 2, v2
	s_wait_alu 0xfffe
	s_min_u32 s12, s12, 8
	s_wait_alu 0xfffe
	v_bfe_u32 v11, v11, 0, s12
	s_delay_alu instid0(VALU_DEP_1)
	v_lshl_or_b32 v11, v11, 4, v12
	v_mov_b32_e32 v12, 1
	ds_add_u32 v11, v12 offset:8192
	v_mov_b32_e32 v11, 0
.LBB145_234:
	s_wait_alu 0xfffe
	s_or_b32 exec_lo, exec_lo, s0
	s_mov_b32 s12, -1
	s_mov_b32 s13, exec_lo
	v_cmpx_gt_i32_e32 10, v11
; %bb.235:
	v_cmp_eq_u32_e64 s0, 0, v11
	s_or_not1_b32 s12, s0, exec_lo
; %bb.236:
	s_wait_alu 0xfffe
	s_or_b32 exec_lo, exec_lo, s13
	s_delay_alu instid0(SALU_CYCLE_1)
	s_and_b32 exec_lo, exec_lo, s12
	s_cbranch_execz .LBB145_239
; %bb.237:
	s_add_co_i32 s0, s2, 24
	s_wait_alu 0xfffe
	s_cmp_gt_u32 s3, s0
	s_cselect_b32 s12, -1, 0
	s_xor_b32 s13, vcc_lo, -1
	s_wait_alu 0xfffe
	s_and_b32 s12, s12, s13
	s_wait_alu 0xfffe
	s_and_b32 exec_lo, exec_lo, s12
	s_cbranch_execz .LBB145_239
; %bb.238:
	v_lshrrev_b32_e32 v10, s0, v10
	s_sub_co_i32 s0, s3, s0
	v_lshlrev_b32_e32 v11, 2, v2
	s_wait_alu 0xfffe
	s_min_u32 s0, s0, 8
	s_wait_alu 0xfffe
	v_bfe_u32 v10, v10, 0, s0
	s_delay_alu instid0(VALU_DEP_1)
	v_lshl_or_b32 v10, v10, 4, v11
	v_mov_b32_e32 v11, 1
	ds_add_u32 v10, v11 offset:12288
.LBB145_239:
	s_wait_alu 0xfffe
	s_or_b32 exec_lo, exec_lo, s11
	v_cmp_le_u32_e32 vcc_lo, s10, v9
	v_mov_b32_e32 v9, s9
	s_nor_b32 s11, s1, vcc_lo
	s_wait_alu 0xfffe
	s_and_saveexec_b32 s0, s11
	s_cbranch_execz .LBB145_241
; %bb.240:
	v_lshrrev_b32_e32 v9, s2, v8
	s_sub_co_i32 s11, s3, s2
	v_lshlrev_b32_e32 v10, 2, v2
	s_wait_alu 0xfffe
	s_min_u32 s11, s11, 8
	s_wait_alu 0xfffe
	v_bfe_u32 v9, v9, 0, s11
	s_delay_alu instid0(VALU_DEP_1)
	v_lshl_or_b32 v9, v9, 4, v10
	v_mov_b32_e32 v10, 1
	ds_add_u32 v9, v10
	v_mov_b32_e32 v9, 0
.LBB145_241:
	s_wait_alu 0xfffe
	s_or_b32 exec_lo, exec_lo, s0
	s_mov_b32 s12, -1
	s_mov_b32 s11, exec_lo
	v_cmpx_gt_i32_e32 10, v9
; %bb.242:
	v_cmp_eq_u32_e64 s0, 0, v9
	s_or_not1_b32 s12, s0, exec_lo
; %bb.243:
	s_wait_alu 0xfffe
	s_or_b32 exec_lo, exec_lo, s11
	s_and_saveexec_b32 s11, s12
	s_cbranch_execz .LBB145_256
; %bb.244:
	s_add_co_i32 s12, s2, 8
	s_wait_alu 0xfffe
	s_cmp_le_u32 s3, s12
	s_cselect_b32 s0, -1, 0
	s_wait_alu 0xfffe
	s_and_b32 s13, s0, exec_lo
	s_cselect_b32 s13, 8, 10
	s_wait_alu 0xfffe
	v_mov_b32_e32 v9, s13
	s_nor_b32 s13, s0, vcc_lo
	s_wait_alu 0xfffe
	s_and_saveexec_b32 s0, s13
	s_cbranch_execz .LBB145_246
; %bb.245:
	v_lshrrev_b32_e32 v9, s12, v8
	s_sub_co_i32 s12, s3, s12
	v_lshlrev_b32_e32 v10, 2, v2
	s_wait_alu 0xfffe
	s_min_u32 s12, s12, 8
	s_wait_alu 0xfffe
	v_bfe_u32 v9, v9, 0, s12
	s_delay_alu instid0(VALU_DEP_1)
	v_lshl_or_b32 v9, v9, 4, v10
	v_mov_b32_e32 v10, 1
	ds_add_u32 v9, v10 offset:4096
	v_mov_b32_e32 v9, 0
.LBB145_246:
	s_wait_alu 0xfffe
	s_or_b32 exec_lo, exec_lo, s0
	s_mov_b32 s12, -1
	s_mov_b32 s13, exec_lo
	v_cmpx_gt_i32_e32 10, v9
; %bb.247:
	v_cmp_eq_u32_e64 s0, 0, v9
	s_or_not1_b32 s12, s0, exec_lo
; %bb.248:
	s_wait_alu 0xfffe
	s_or_b32 exec_lo, exec_lo, s13
	s_delay_alu instid0(SALU_CYCLE_1)
	s_and_b32 exec_lo, exec_lo, s12
	s_cbranch_execz .LBB145_256
; %bb.249:
	s_add_co_i32 s12, s2, 16
	s_wait_alu 0xfffe
	s_cmp_le_u32 s3, s12
	s_cselect_b32 s0, -1, 0
	s_wait_alu 0xfffe
	s_and_b32 s13, s0, exec_lo
	s_cselect_b32 s13, 8, 10
	s_wait_alu 0xfffe
	v_mov_b32_e32 v9, s13
	s_nor_b32 s13, s0, vcc_lo
	s_wait_alu 0xfffe
	s_and_saveexec_b32 s0, s13
	s_cbranch_execz .LBB145_251
; %bb.250:
	v_lshrrev_b32_e32 v9, s12, v8
	s_sub_co_i32 s12, s3, s12
	v_lshlrev_b32_e32 v10, 2, v2
	s_wait_alu 0xfffe
	s_min_u32 s12, s12, 8
	s_wait_alu 0xfffe
	v_bfe_u32 v9, v9, 0, s12
	s_delay_alu instid0(VALU_DEP_1)
	v_lshl_or_b32 v9, v9, 4, v10
	v_mov_b32_e32 v10, 1
	ds_add_u32 v9, v10 offset:8192
	v_mov_b32_e32 v9, 0
.LBB145_251:
	s_wait_alu 0xfffe
	s_or_b32 exec_lo, exec_lo, s0
	s_mov_b32 s12, -1
	s_mov_b32 s13, exec_lo
	v_cmpx_gt_i32_e32 10, v9
; %bb.252:
	v_cmp_eq_u32_e64 s0, 0, v9
	s_or_not1_b32 s12, s0, exec_lo
; %bb.253:
	s_wait_alu 0xfffe
	s_or_b32 exec_lo, exec_lo, s13
	s_delay_alu instid0(SALU_CYCLE_1)
	s_and_b32 exec_lo, exec_lo, s12
	s_cbranch_execz .LBB145_256
; %bb.254:
	s_add_co_i32 s0, s2, 24
	s_wait_alu 0xfffe
	s_cmp_gt_u32 s3, s0
	s_cselect_b32 s12, -1, 0
	s_xor_b32 s13, vcc_lo, -1
	s_wait_alu 0xfffe
	s_and_b32 s12, s12, s13
	s_wait_alu 0xfffe
	s_and_b32 exec_lo, exec_lo, s12
	s_cbranch_execz .LBB145_256
; %bb.255:
	v_lshrrev_b32_e32 v8, s0, v8
	s_sub_co_i32 s0, s3, s0
	v_lshlrev_b32_e32 v9, 2, v2
	s_wait_alu 0xfffe
	s_min_u32 s0, s0, 8
	s_wait_alu 0xfffe
	v_bfe_u32 v8, v8, 0, s0
	s_delay_alu instid0(VALU_DEP_1)
	v_lshl_or_b32 v8, v8, 4, v9
	v_mov_b32_e32 v9, 1
	ds_add_u32 v8, v9 offset:12288
.LBB145_256:
	s_wait_alu 0xfffe
	s_or_b32 exec_lo, exec_lo, s11
	v_cmp_le_u32_e32 vcc_lo, s10, v7
	v_mov_b32_e32 v7, s9
	s_nor_b32 s11, s1, vcc_lo
	s_wait_alu 0xfffe
	s_and_saveexec_b32 s0, s11
	s_cbranch_execz .LBB145_258
; %bb.257:
	v_lshrrev_b32_e32 v7, s2, v6
	s_sub_co_i32 s11, s3, s2
	v_lshlrev_b32_e32 v8, 2, v2
	s_wait_alu 0xfffe
	s_min_u32 s11, s11, 8
	s_wait_alu 0xfffe
	v_bfe_u32 v7, v7, 0, s11
	s_delay_alu instid0(VALU_DEP_1)
	v_lshl_or_b32 v7, v7, 4, v8
	v_mov_b32_e32 v8, 1
	ds_add_u32 v7, v8
	v_mov_b32_e32 v7, 0
.LBB145_258:
	s_wait_alu 0xfffe
	s_or_b32 exec_lo, exec_lo, s0
	s_mov_b32 s12, -1
	s_mov_b32 s11, exec_lo
	v_cmpx_gt_i32_e32 10, v7
; %bb.259:
	v_cmp_eq_u32_e64 s0, 0, v7
	s_or_not1_b32 s12, s0, exec_lo
; %bb.260:
	s_wait_alu 0xfffe
	s_or_b32 exec_lo, exec_lo, s11
	s_and_saveexec_b32 s11, s12
	s_cbranch_execz .LBB145_273
; %bb.261:
	s_add_co_i32 s12, s2, 8
	s_wait_alu 0xfffe
	s_cmp_le_u32 s3, s12
	s_cselect_b32 s0, -1, 0
	s_wait_alu 0xfffe
	s_and_b32 s13, s0, exec_lo
	s_cselect_b32 s13, 8, 10
	s_wait_alu 0xfffe
	v_mov_b32_e32 v7, s13
	s_nor_b32 s13, s0, vcc_lo
	s_wait_alu 0xfffe
	s_and_saveexec_b32 s0, s13
	s_cbranch_execz .LBB145_263
; %bb.262:
	v_lshrrev_b32_e32 v7, s12, v6
	s_sub_co_i32 s12, s3, s12
	v_lshlrev_b32_e32 v8, 2, v2
	s_wait_alu 0xfffe
	s_min_u32 s12, s12, 8
	s_wait_alu 0xfffe
	v_bfe_u32 v7, v7, 0, s12
	s_delay_alu instid0(VALU_DEP_1)
	v_lshl_or_b32 v7, v7, 4, v8
	v_mov_b32_e32 v8, 1
	ds_add_u32 v7, v8 offset:4096
	v_mov_b32_e32 v7, 0
.LBB145_263:
	s_wait_alu 0xfffe
	s_or_b32 exec_lo, exec_lo, s0
	s_mov_b32 s12, -1
	s_mov_b32 s13, exec_lo
	v_cmpx_gt_i32_e32 10, v7
; %bb.264:
	v_cmp_eq_u32_e64 s0, 0, v7
	s_or_not1_b32 s12, s0, exec_lo
; %bb.265:
	s_wait_alu 0xfffe
	s_or_b32 exec_lo, exec_lo, s13
	s_delay_alu instid0(SALU_CYCLE_1)
	s_and_b32 exec_lo, exec_lo, s12
	s_cbranch_execz .LBB145_273
; %bb.266:
	s_add_co_i32 s12, s2, 16
	s_wait_alu 0xfffe
	s_cmp_le_u32 s3, s12
	s_cselect_b32 s0, -1, 0
	s_wait_alu 0xfffe
	s_and_b32 s13, s0, exec_lo
	s_cselect_b32 s13, 8, 10
	s_wait_alu 0xfffe
	v_mov_b32_e32 v7, s13
	s_nor_b32 s13, s0, vcc_lo
	s_wait_alu 0xfffe
	s_and_saveexec_b32 s0, s13
	s_cbranch_execz .LBB145_268
; %bb.267:
	v_lshrrev_b32_e32 v7, s12, v6
	s_sub_co_i32 s12, s3, s12
	v_lshlrev_b32_e32 v8, 2, v2
	s_wait_alu 0xfffe
	s_min_u32 s12, s12, 8
	s_wait_alu 0xfffe
	v_bfe_u32 v7, v7, 0, s12
	s_delay_alu instid0(VALU_DEP_1)
	v_lshl_or_b32 v7, v7, 4, v8
	v_mov_b32_e32 v8, 1
	ds_add_u32 v7, v8 offset:8192
	v_mov_b32_e32 v7, 0
.LBB145_268:
	s_wait_alu 0xfffe
	s_or_b32 exec_lo, exec_lo, s0
	s_mov_b32 s12, -1
	s_mov_b32 s13, exec_lo
	v_cmpx_gt_i32_e32 10, v7
; %bb.269:
	v_cmp_eq_u32_e64 s0, 0, v7
	s_or_not1_b32 s12, s0, exec_lo
; %bb.270:
	s_wait_alu 0xfffe
	s_or_b32 exec_lo, exec_lo, s13
	s_delay_alu instid0(SALU_CYCLE_1)
	s_and_b32 exec_lo, exec_lo, s12
	s_cbranch_execz .LBB145_273
; %bb.271:
	s_add_co_i32 s0, s2, 24
	s_wait_alu 0xfffe
	s_cmp_gt_u32 s3, s0
	s_cselect_b32 s12, -1, 0
	s_xor_b32 s13, vcc_lo, -1
	s_wait_alu 0xfffe
	s_and_b32 s12, s12, s13
	s_wait_alu 0xfffe
	s_and_b32 exec_lo, exec_lo, s12
	s_cbranch_execz .LBB145_273
; %bb.272:
	v_lshrrev_b32_e32 v6, s0, v6
	s_sub_co_i32 s0, s3, s0
	v_lshlrev_b32_e32 v7, 2, v2
	s_wait_alu 0xfffe
	s_min_u32 s0, s0, 8
	s_wait_alu 0xfffe
	v_bfe_u32 v6, v6, 0, s0
	s_delay_alu instid0(VALU_DEP_1)
	v_lshl_or_b32 v6, v6, 4, v7
	v_mov_b32_e32 v7, 1
	ds_add_u32 v6, v7 offset:12288
.LBB145_273:
	s_wait_alu 0xfffe
	s_or_b32 exec_lo, exec_lo, s11
	v_cmp_le_u32_e32 vcc_lo, s10, v5
	v_mov_b32_e32 v5, s9
	s_nor_b32 s11, s1, vcc_lo
	s_wait_alu 0xfffe
	s_and_saveexec_b32 s0, s11
	s_cbranch_execz .LBB145_275
; %bb.274:
	v_lshrrev_b32_e32 v5, s2, v4
	s_sub_co_i32 s11, s3, s2
	v_lshlrev_b32_e32 v6, 2, v2
	s_wait_alu 0xfffe
	s_min_u32 s11, s11, 8
	s_wait_alu 0xfffe
	v_bfe_u32 v5, v5, 0, s11
	s_delay_alu instid0(VALU_DEP_1)
	v_lshl_or_b32 v5, v5, 4, v6
	v_mov_b32_e32 v6, 1
	ds_add_u32 v5, v6
	v_mov_b32_e32 v5, 0
.LBB145_275:
	s_wait_alu 0xfffe
	s_or_b32 exec_lo, exec_lo, s0
	s_mov_b32 s12, -1
	s_mov_b32 s11, exec_lo
	v_cmpx_gt_i32_e32 10, v5
; %bb.276:
	v_cmp_eq_u32_e64 s0, 0, v5
	s_or_not1_b32 s12, s0, exec_lo
; %bb.277:
	s_wait_alu 0xfffe
	s_or_b32 exec_lo, exec_lo, s11
	s_and_saveexec_b32 s11, s12
	s_cbranch_execz .LBB145_290
; %bb.278:
	s_add_co_i32 s12, s2, 8
	s_wait_alu 0xfffe
	s_cmp_le_u32 s3, s12
	s_cselect_b32 s0, -1, 0
	s_wait_alu 0xfffe
	s_and_b32 s13, s0, exec_lo
	s_cselect_b32 s13, 8, 10
	s_wait_alu 0xfffe
	v_mov_b32_e32 v5, s13
	s_nor_b32 s13, s0, vcc_lo
	s_wait_alu 0xfffe
	s_and_saveexec_b32 s0, s13
	s_cbranch_execz .LBB145_280
; %bb.279:
	v_lshrrev_b32_e32 v5, s12, v4
	s_sub_co_i32 s12, s3, s12
	v_lshlrev_b32_e32 v6, 2, v2
	s_wait_alu 0xfffe
	s_min_u32 s12, s12, 8
	s_wait_alu 0xfffe
	v_bfe_u32 v5, v5, 0, s12
	s_delay_alu instid0(VALU_DEP_1)
	v_lshl_or_b32 v5, v5, 4, v6
	v_mov_b32_e32 v6, 1
	ds_add_u32 v5, v6 offset:4096
	v_mov_b32_e32 v5, 0
.LBB145_280:
	s_wait_alu 0xfffe
	s_or_b32 exec_lo, exec_lo, s0
	s_mov_b32 s12, -1
	s_mov_b32 s13, exec_lo
	v_cmpx_gt_i32_e32 10, v5
; %bb.281:
	v_cmp_eq_u32_e64 s0, 0, v5
	s_or_not1_b32 s12, s0, exec_lo
; %bb.282:
	s_wait_alu 0xfffe
	s_or_b32 exec_lo, exec_lo, s13
	s_delay_alu instid0(SALU_CYCLE_1)
	s_and_b32 exec_lo, exec_lo, s12
	s_cbranch_execz .LBB145_290
; %bb.283:
	s_add_co_i32 s12, s2, 16
	s_wait_alu 0xfffe
	s_cmp_le_u32 s3, s12
	s_cselect_b32 s0, -1, 0
	s_wait_alu 0xfffe
	s_and_b32 s13, s0, exec_lo
	s_cselect_b32 s13, 8, 10
	s_wait_alu 0xfffe
	v_mov_b32_e32 v5, s13
	s_nor_b32 s13, s0, vcc_lo
	s_wait_alu 0xfffe
	s_and_saveexec_b32 s0, s13
	s_cbranch_execz .LBB145_285
; %bb.284:
	v_lshrrev_b32_e32 v5, s12, v4
	s_sub_co_i32 s12, s3, s12
	v_lshlrev_b32_e32 v6, 2, v2
	s_wait_alu 0xfffe
	s_min_u32 s12, s12, 8
	s_wait_alu 0xfffe
	v_bfe_u32 v5, v5, 0, s12
	s_delay_alu instid0(VALU_DEP_1)
	v_lshl_or_b32 v5, v5, 4, v6
	v_mov_b32_e32 v6, 1
	ds_add_u32 v5, v6 offset:8192
	v_mov_b32_e32 v5, 0
.LBB145_285:
	s_wait_alu 0xfffe
	s_or_b32 exec_lo, exec_lo, s0
	s_mov_b32 s12, -1
	s_mov_b32 s13, exec_lo
	v_cmpx_gt_i32_e32 10, v5
; %bb.286:
	v_cmp_eq_u32_e64 s0, 0, v5
	s_or_not1_b32 s12, s0, exec_lo
; %bb.287:
	s_wait_alu 0xfffe
	s_or_b32 exec_lo, exec_lo, s13
	s_delay_alu instid0(SALU_CYCLE_1)
	s_and_b32 exec_lo, exec_lo, s12
	s_cbranch_execz .LBB145_290
; %bb.288:
	s_add_co_i32 s0, s2, 24
	s_wait_alu 0xfffe
	s_cmp_gt_u32 s3, s0
	s_cselect_b32 s12, -1, 0
	s_xor_b32 s13, vcc_lo, -1
	s_wait_alu 0xfffe
	s_and_b32 s12, s12, s13
	s_wait_alu 0xfffe
	s_and_b32 exec_lo, exec_lo, s12
	s_cbranch_execz .LBB145_290
; %bb.289:
	v_lshrrev_b32_e32 v4, s0, v4
	s_sub_co_i32 s0, s3, s0
	v_lshlrev_b32_e32 v5, 2, v2
	s_wait_alu 0xfffe
	s_min_u32 s0, s0, 8
	s_wait_alu 0xfffe
	v_bfe_u32 v4, v4, 0, s0
	s_delay_alu instid0(VALU_DEP_1)
	v_lshl_or_b32 v4, v4, 4, v5
	v_mov_b32_e32 v5, 1
	ds_add_u32 v4, v5 offset:12288
.LBB145_290:
	s_wait_alu 0xfffe
	s_or_b32 exec_lo, exec_lo, s11
	v_cmp_le_u32_e32 vcc_lo, s10, v3
	v_mov_b32_e32 v3, s9
	s_nor_b32 s1, s1, vcc_lo
	s_wait_alu 0xfffe
	s_and_saveexec_b32 s0, s1
	s_cbranch_execz .LBB145_292
; %bb.291:
	v_lshrrev_b32_e32 v3, s2, v1
	s_sub_co_i32 s1, s3, s2
	v_lshlrev_b32_e32 v4, 2, v2
	s_wait_alu 0xfffe
	s_min_u32 s1, s1, 8
	s_wait_alu 0xfffe
	v_bfe_u32 v3, v3, 0, s1
	s_delay_alu instid0(VALU_DEP_1)
	v_lshl_or_b32 v3, v3, 4, v4
	v_mov_b32_e32 v4, 1
	ds_add_u32 v3, v4
	v_mov_b32_e32 v3, 0
.LBB145_292:
	s_wait_alu 0xfffe
	s_or_b32 exec_lo, exec_lo, s0
	s_mov_b32 s9, -1
	s_mov_b32 s1, exec_lo
	v_cmpx_gt_i32_e32 10, v3
; %bb.293:
	v_cmp_eq_u32_e64 s0, 0, v3
	s_or_not1_b32 s9, s0, exec_lo
; %bb.294:
	s_wait_alu 0xfffe
	s_or_b32 exec_lo, exec_lo, s1
	s_and_saveexec_b32 s1, s9
	s_cbranch_execz .LBB145_307
; %bb.295:
	s_add_co_i32 s9, s2, 8
	s_wait_alu 0xfffe
	s_cmp_le_u32 s3, s9
	s_cselect_b32 s0, -1, 0
	s_wait_alu 0xfffe
	s_and_b32 s10, s0, exec_lo
	s_cselect_b32 s10, 8, 10
	s_wait_alu 0xfffe
	v_mov_b32_e32 v3, s10
	s_nor_b32 s10, s0, vcc_lo
	s_wait_alu 0xfffe
	s_and_saveexec_b32 s0, s10
	s_cbranch_execz .LBB145_297
; %bb.296:
	v_lshrrev_b32_e32 v3, s9, v1
	s_sub_co_i32 s9, s3, s9
	v_lshlrev_b32_e32 v4, 2, v2
	s_wait_alu 0xfffe
	s_min_u32 s9, s9, 8
	s_wait_alu 0xfffe
	v_bfe_u32 v3, v3, 0, s9
	s_delay_alu instid0(VALU_DEP_1)
	v_lshl_or_b32 v3, v3, 4, v4
	v_mov_b32_e32 v4, 1
	ds_add_u32 v3, v4 offset:4096
	v_mov_b32_e32 v3, 0
.LBB145_297:
	s_wait_alu 0xfffe
	s_or_b32 exec_lo, exec_lo, s0
	s_mov_b32 s9, -1
	s_mov_b32 s10, exec_lo
	v_cmpx_gt_i32_e32 10, v3
; %bb.298:
	v_cmp_eq_u32_e64 s0, 0, v3
	s_or_not1_b32 s9, s0, exec_lo
; %bb.299:
	s_wait_alu 0xfffe
	s_or_b32 exec_lo, exec_lo, s10
	s_delay_alu instid0(SALU_CYCLE_1)
	s_and_b32 exec_lo, exec_lo, s9
	s_cbranch_execz .LBB145_307
; %bb.300:
	s_add_co_i32 s9, s2, 16
	s_wait_alu 0xfffe
	s_cmp_le_u32 s3, s9
	s_cselect_b32 s0, -1, 0
	s_wait_alu 0xfffe
	s_and_b32 s10, s0, exec_lo
	s_cselect_b32 s10, 8, 10
	s_wait_alu 0xfffe
	v_mov_b32_e32 v3, s10
	s_nor_b32 s10, s0, vcc_lo
	s_wait_alu 0xfffe
	s_and_saveexec_b32 s0, s10
	s_cbranch_execz .LBB145_302
; %bb.301:
	v_lshrrev_b32_e32 v3, s9, v1
	s_sub_co_i32 s9, s3, s9
	v_lshlrev_b32_e32 v4, 2, v2
	s_wait_alu 0xfffe
	s_min_u32 s9, s9, 8
	s_wait_alu 0xfffe
	v_bfe_u32 v3, v3, 0, s9
	s_delay_alu instid0(VALU_DEP_1)
	v_lshl_or_b32 v3, v3, 4, v4
	v_mov_b32_e32 v4, 1
	ds_add_u32 v3, v4 offset:8192
	v_mov_b32_e32 v3, 0
.LBB145_302:
	s_wait_alu 0xfffe
	s_or_b32 exec_lo, exec_lo, s0
	s_mov_b32 s9, -1
	s_mov_b32 s10, exec_lo
	v_cmpx_gt_i32_e32 10, v3
; %bb.303:
	v_cmp_eq_u32_e64 s0, 0, v3
	s_or_not1_b32 s9, s0, exec_lo
; %bb.304:
	s_wait_alu 0xfffe
	s_or_b32 exec_lo, exec_lo, s10
	s_delay_alu instid0(SALU_CYCLE_1)
	s_and_b32 exec_lo, exec_lo, s9
	s_cbranch_execz .LBB145_307
; %bb.305:
	s_add_co_i32 s0, s2, 24
	s_wait_alu 0xfffe
	s_cmp_gt_u32 s3, s0
	s_cselect_b32 s9, -1, 0
	s_xor_b32 s10, vcc_lo, -1
	s_wait_alu 0xfffe
	s_and_b32 s9, s9, s10
	s_wait_alu 0xfffe
	s_and_b32 exec_lo, exec_lo, s9
	s_cbranch_execz .LBB145_307
; %bb.306:
	v_lshrrev_b32_e32 v1, s0, v1
	s_sub_co_i32 s0, s3, s0
	v_lshlrev_b32_e32 v2, 2, v2
	s_wait_alu 0xfffe
	s_min_u32 s0, s0, 8
	s_wait_alu 0xfffe
	v_bfe_u32 v1, v1, 0, s0
	s_delay_alu instid0(VALU_DEP_1)
	v_lshl_or_b32 v1, v1, 4, v2
	v_mov_b32_e32 v2, 1
	ds_add_u32 v1, v2 offset:12288
.LBB145_307:
	s_wait_alu 0xfffe
	s_or_b32 exec_lo, exec_lo, s1
	s_cmp_lt_u32 s2, s3
	s_wait_loadcnt_dscnt 0x0
	s_barrier_signal -1
	s_barrier_wait -1
	global_inv scope:SCOPE_SE
	s_cbranch_scc0 .LBB145_312
; %bb.308:
	v_dual_mov_b32 v2, 0 :: v_dual_lshlrev_b32 v3, 4, v0
	v_mov_b32_e32 v1, v0
	s_mov_b32 s1, s2
	v_cmp_gt_u32_e32 vcc_lo, 0x100, v0
	s_branch .LBB145_310
.LBB145_309:                            ;   in Loop: Header=BB145_310 Depth=1
	s_wait_alu 0xfffe
	s_or_b32 exec_lo, exec_lo, s9
	v_add_nc_u32_e32 v1, 0x100, v1
	v_add_nc_u32_e32 v3, 0x1000, v3
	s_add_co_i32 s1, s1, 8
	s_wait_alu 0xfffe
	s_cmp_lt_u32 s1, s3
	s_cbranch_scc0 .LBB145_312
.LBB145_310:                            ; =>This Inner Loop Header: Depth=1
	s_and_saveexec_b32 s9, vcc_lo
	s_cbranch_execz .LBB145_309
; %bb.311:                              ;   in Loop: Header=BB145_310 Depth=1
	ds_load_2addr_b32 v[4:5], v3 offset1:1
	ds_load_2addr_b32 v[6:7], v3 offset0:2 offset1:3
	s_wait_dscnt 0x1
	v_add_nc_u32_e32 v8, v5, v4
	v_lshlrev_b64_e32 v[4:5], 2, v[1:2]
	s_wait_dscnt 0x0
	s_delay_alu instid0(VALU_DEP_2) | instskip(NEXT) | instid1(VALU_DEP_2)
	v_add3_u32 v6, v8, v6, v7
	v_add_co_u32 v4, s0, s6, v4
	s_wait_alu 0xf1ff
	s_delay_alu instid0(VALU_DEP_3)
	v_add_co_ci_u32_e64 v5, null, s7, v5, s0
	global_atomic_add_u32 v[4:5], v6, off scope:SCOPE_DEV
	s_branch .LBB145_309
.LBB145_312:
	s_mov_b32 s10, 0
.LBB145_313:
	s_wait_alu 0xfffe
	s_and_b32 vcc_lo, exec_lo, s10
	s_cbranch_vccz .LBB145_425
; %bb.314:
	s_cmp_eq_u32 s2, 0
	s_mov_b32 s9, 0
	s_cselect_b32 s10, -1, 0
	s_cmp_eq_u32 s3, 32
	v_dual_mov_b32 v2, 0 :: v_dual_lshlrev_b32 v1, 2, v0
	s_cselect_b32 s11, -1, 0
	s_wait_alu 0xfffe
	s_lshl_b64 s[0:1], s[8:9], 2
	v_or_b32_e32 v19, 0xfffffc00, v0
	s_wait_alu 0xfffe
	s_add_nc_u64 s[0:1], s[4:5], s[0:1]
	s_clause 0xf
	global_load_b32 v18, v1, s[0:1]
	global_load_b32 v17, v1, s[0:1] offset:4096
	global_load_b32 v16, v1, s[0:1] offset:8192
	;; [unrolled: 1-line block ×15, first 2 shown]
	s_and_b32 s0, s10, s11
	s_wait_alu 0xfffe
	s_and_b32 vcc_lo, exec_lo, s0
	s_mov_b32 s0, -1
	s_cbranch_vccnz .LBB145_420
; %bb.315:
	v_or_b32_e32 v20, 0xfffffc00, v0
.LBB145_316:                            ; =>This Inner Loop Header: Depth=1
	s_delay_alu instid0(VALU_DEP_1)
	v_add_nc_u32_e32 v20, 0x400, v20
	ds_store_b32 v1, v2
	v_add_nc_u32_e32 v1, 0x1000, v1
	v_cmp_lt_u32_e32 vcc_lo, 0xbff, v20
	s_or_b32 s9, vcc_lo, s9
	s_wait_alu 0xfffe
	s_and_not1_b32 exec_lo, exec_lo, s9
	s_cbranch_execnz .LBB145_316
; %bb.317:
	s_or_b32 exec_lo, exec_lo, s9
	s_cmp_lt_u32 s2, s3
	s_wait_storecnt 0x0
	s_wait_loadcnt_dscnt 0x0
	s_cselect_b32 s0, -1, 0
	s_barrier_signal -1
	s_wait_alu 0xfffe
	s_and_b32 vcc_lo, exec_lo, s0
	s_barrier_wait -1
	global_inv scope:SCOPE_SE
	s_cbranch_vccz .LBB145_414
; %bb.318:
	s_sub_co_i32 s1, s3, s2
	v_and_b32_e32 v1, 3, v0
	s_wait_alu 0xfffe
	s_min_u32 s1, s1, 8
	v_lshrrev_b32_e32 v20, s2, v18
	s_wait_alu 0xfffe
	s_lshl_b32 s1, -1, s1
	v_dual_mov_b32 v21, 1 :: v_dual_lshlrev_b32 v2, 2, v1
	s_wait_alu 0xfffe
	s_not_b32 s4, s1
	s_add_co_i32 s1, s2, 8
	v_and_b32_e32 v20, s4, v20
	s_wait_alu 0xfffe
	s_cmp_le_u32 s3, s1
	s_mov_b32 s9, -1
	s_cselect_b32 s5, -1, 0
	v_lshl_or_b32 v20, v20, 4, v2
	s_wait_alu 0xfffe
	s_and_b32 vcc_lo, exec_lo, s5
	ds_add_u32 v20, v21
	v_lshrrev_b32_e32 v20, s2, v17
	s_delay_alu instid0(VALU_DEP_1)
	v_and_b32_e32 v20, s4, v20
	s_cbranch_vccz .LBB145_320
; %bb.319:
	s_delay_alu instid0(VALU_DEP_1)
	v_lshlrev_b32_e32 v21, 4, v20
	s_mov_b32 s8, -1
	s_cbranch_execz .LBB145_321
	s_branch .LBB145_328
.LBB145_320:
	s_mov_b32 s8, 0
                                        ; implicit-def: $vgpr21
	s_and_not1_b32 vcc_lo, exec_lo, s9
	s_cbranch_vccnz .LBB145_328
.LBB145_321:
	s_sub_co_i32 s9, s3, s1
	v_lshrrev_b32_e32 v21, s1, v18
	s_wait_alu 0xfffe
	s_min_u32 s9, s9, 8
	s_wait_alu 0xfffe
	s_lshl_b32 s9, -1, s9
	s_wait_alu 0xfffe
	s_not_b32 s10, s9
	s_add_co_i32 s9, s2, 16
	s_wait_alu 0xfffe
	v_and_b32_e32 v21, s10, v21
	s_cmp_gt_u32 s3, s9
	s_cselect_b32 s11, -1, 0
	s_cmp_le_u32 s3, s9
	s_delay_alu instid0(VALU_DEP_1)
	v_lshl_or_b32 v22, v21, 4, v2
	v_mov_b32_e32 v21, 1
	ds_add_u32 v22, v21 offset:4096
	s_cbranch_scc1 .LBB145_324
; %bb.322:
	v_lshrrev_b32_e32 v22, s9, v18
	s_sub_co_i32 s12, s3, s9
	s_wait_alu 0xfffe
	s_min_u32 s12, s12, 8
	s_wait_alu 0xfffe
	v_bfe_u32 v22, v22, 0, s12
	s_add_co_i32 s12, s2, 24
	s_wait_alu 0xfffe
	s_cmp_le_u32 s3, s12
	s_delay_alu instid0(VALU_DEP_1)
	v_lshl_or_b32 v22, v22, 4, v2
	ds_add_u32 v22, v21 offset:8192
	s_cbranch_scc1 .LBB145_324
; %bb.323:
	v_lshrrev_b32_e32 v22, s12, v18
	s_sub_co_i32 s12, s3, s12
	v_mov_b32_e32 v23, 1
	s_wait_alu 0xfffe
	s_min_u32 s12, s12, 8
	s_wait_alu 0xfffe
	v_bfe_u32 v22, v22, 0, s12
	s_delay_alu instid0(VALU_DEP_1)
	v_lshl_or_b32 v22, v22, 4, v2
	ds_add_u32 v22, v23 offset:12288
.LBB145_324:
	v_lshrrev_b32_e32 v22, s1, v17
	v_lshl_or_b32 v20, v20, 4, v2
	s_wait_alu 0xfffe
	s_and_not1_b32 vcc_lo, exec_lo, s11
	s_delay_alu instid0(VALU_DEP_2) | instskip(NEXT) | instid1(VALU_DEP_1)
	v_and_b32_e32 v22, s10, v22
	v_lshl_or_b32 v22, v22, 4, v2
	ds_add_u32 v20, v21
	ds_add_u32 v22, v21 offset:4096
	s_cbranch_vccnz .LBB145_327
; %bb.325:
	v_lshrrev_b32_e32 v20, s9, v17
	s_sub_co_i32 s9, s3, s9
	v_mov_b32_e32 v21, 1
	s_wait_alu 0xfffe
	s_min_u32 s9, s9, 8
	s_wait_alu 0xfffe
	v_bfe_u32 v20, v20, 0, s9
	s_add_co_i32 s9, s2, 24
	s_wait_alu 0xfffe
	s_cmp_gt_u32 s3, s9
	s_delay_alu instid0(VALU_DEP_1)
	v_lshl_or_b32 v20, v20, 4, v2
	ds_add_u32 v20, v21 offset:8192
                                        ; implicit-def: $vgpr21
	s_cbranch_scc0 .LBB145_328
; %bb.326:
	v_lshrrev_b32_e32 v20, s9, v17
	s_sub_co_i32 s8, s3, s9
	s_wait_alu 0xfffe
	s_min_u32 s8, s8, 8
	s_wait_alu 0xfffe
	v_bfe_u32 v20, v20, 0, s8
	s_mov_b32 s8, -1
	s_delay_alu instid0(VALU_DEP_1)
	v_lshl_add_u32 v21, v20, 4, 0x3000
	s_branch .LBB145_328
.LBB145_327:
                                        ; implicit-def: $vgpr21
.LBB145_328:
	s_wait_alu 0xfffe
	s_and_b32 vcc_lo, exec_lo, s8
	s_cbranch_vccz .LBB145_330
; %bb.329:
	v_lshl_add_u32 v20, v1, 2, v21
	v_mov_b32_e32 v21, 1
	ds_add_u32 v20, v21
.LBB145_330:
	v_lshrrev_b32_e32 v20, s2, v16
	s_and_b32 vcc_lo, exec_lo, s5
	s_delay_alu instid0(VALU_DEP_1) | instskip(NEXT) | instid1(VALU_DEP_1)
	v_dual_mov_b32 v21, 1 :: v_dual_and_b32 v20, s4, v20
	v_lshl_or_b32 v20, v20, 4, v2
	ds_add_u32 v20, v21
	v_lshrrev_b32_e32 v20, s2, v15
	s_delay_alu instid0(VALU_DEP_1)
	v_and_b32_e32 v20, s4, v20
	s_cbranch_vccz .LBB145_332
; %bb.331:
	s_delay_alu instid0(VALU_DEP_1)
	v_lshlrev_b32_e32 v21, 4, v20
	s_mov_b32 s8, -1
	s_cbranch_execz .LBB145_333
	s_branch .LBB145_340
.LBB145_332:
	s_mov_b32 s8, 0
                                        ; implicit-def: $vgpr21
.LBB145_333:
	s_sub_co_i32 s9, s3, s1
	v_lshrrev_b32_e32 v21, s1, v16
	s_wait_alu 0xfffe
	s_min_u32 s9, s9, 8
	s_wait_alu 0xfffe
	s_lshl_b32 s9, -1, s9
	s_wait_alu 0xfffe
	s_not_b32 s10, s9
	s_add_co_i32 s9, s2, 16
	s_wait_alu 0xfffe
	v_and_b32_e32 v21, s10, v21
	s_cmp_gt_u32 s3, s9
	s_cselect_b32 s11, -1, 0
	s_cmp_le_u32 s3, s9
	s_delay_alu instid0(VALU_DEP_1)
	v_lshl_or_b32 v22, v21, 4, v2
	v_mov_b32_e32 v21, 1
	ds_add_u32 v22, v21 offset:4096
	s_cbranch_scc1 .LBB145_336
; %bb.334:
	v_lshrrev_b32_e32 v22, s9, v16
	s_sub_co_i32 s12, s3, s9
	s_wait_alu 0xfffe
	s_min_u32 s12, s12, 8
	s_wait_alu 0xfffe
	v_bfe_u32 v22, v22, 0, s12
	s_add_co_i32 s12, s2, 24
	s_wait_alu 0xfffe
	s_cmp_le_u32 s3, s12
	s_delay_alu instid0(VALU_DEP_1)
	v_lshl_or_b32 v22, v22, 4, v2
	ds_add_u32 v22, v21 offset:8192
	s_cbranch_scc1 .LBB145_336
; %bb.335:
	v_lshrrev_b32_e32 v22, s12, v16
	s_sub_co_i32 s12, s3, s12
	v_mov_b32_e32 v23, 1
	s_wait_alu 0xfffe
	s_min_u32 s12, s12, 8
	s_wait_alu 0xfffe
	v_bfe_u32 v22, v22, 0, s12
	s_delay_alu instid0(VALU_DEP_1)
	v_lshl_or_b32 v22, v22, 4, v2
	ds_add_u32 v22, v23 offset:12288
.LBB145_336:
	v_lshrrev_b32_e32 v22, s1, v15
	v_lshl_or_b32 v20, v20, 4, v2
	s_wait_alu 0xfffe
	s_and_not1_b32 vcc_lo, exec_lo, s11
	s_delay_alu instid0(VALU_DEP_2) | instskip(NEXT) | instid1(VALU_DEP_1)
	v_and_b32_e32 v22, s10, v22
	v_lshl_or_b32 v22, v22, 4, v2
	ds_add_u32 v20, v21
	ds_add_u32 v22, v21 offset:4096
	s_cbranch_vccnz .LBB145_339
; %bb.337:
	v_lshrrev_b32_e32 v20, s9, v15
	s_sub_co_i32 s9, s3, s9
	v_mov_b32_e32 v21, 1
	s_wait_alu 0xfffe
	s_min_u32 s9, s9, 8
	s_wait_alu 0xfffe
	v_bfe_u32 v20, v20, 0, s9
	s_add_co_i32 s9, s2, 24
	s_wait_alu 0xfffe
	s_cmp_gt_u32 s3, s9
	s_delay_alu instid0(VALU_DEP_1)
	v_lshl_or_b32 v20, v20, 4, v2
	ds_add_u32 v20, v21 offset:8192
                                        ; implicit-def: $vgpr21
	s_cbranch_scc0 .LBB145_340
; %bb.338:
	v_lshrrev_b32_e32 v20, s9, v15
	s_sub_co_i32 s8, s3, s9
	s_wait_alu 0xfffe
	s_min_u32 s8, s8, 8
	s_wait_alu 0xfffe
	v_bfe_u32 v20, v20, 0, s8
	s_mov_b32 s8, -1
	s_delay_alu instid0(VALU_DEP_1)
	v_lshl_add_u32 v21, v20, 4, 0x3000
	s_branch .LBB145_340
.LBB145_339:
                                        ; implicit-def: $vgpr21
.LBB145_340:
	s_wait_alu 0xfffe
	s_and_b32 vcc_lo, exec_lo, s8
	s_cbranch_vccz .LBB145_342
; %bb.341:
	v_lshl_add_u32 v20, v1, 2, v21
	v_mov_b32_e32 v21, 1
	ds_add_u32 v20, v21
.LBB145_342:
	v_lshrrev_b32_e32 v20, s2, v14
	s_and_b32 vcc_lo, exec_lo, s5
	s_delay_alu instid0(VALU_DEP_1) | instskip(NEXT) | instid1(VALU_DEP_1)
	v_dual_mov_b32 v21, 1 :: v_dual_and_b32 v20, s4, v20
	v_lshl_or_b32 v20, v20, 4, v2
	ds_add_u32 v20, v21
	v_lshrrev_b32_e32 v20, s2, v13
	s_delay_alu instid0(VALU_DEP_1)
	v_and_b32_e32 v20, s4, v20
	s_cbranch_vccz .LBB145_344
; %bb.343:
	s_delay_alu instid0(VALU_DEP_1)
	v_lshlrev_b32_e32 v21, 4, v20
	s_mov_b32 s8, -1
	s_cbranch_execz .LBB145_345
	s_branch .LBB145_352
.LBB145_344:
	s_mov_b32 s8, 0
                                        ; implicit-def: $vgpr21
.LBB145_345:
	s_sub_co_i32 s9, s3, s1
	v_lshrrev_b32_e32 v21, s1, v14
	s_wait_alu 0xfffe
	s_min_u32 s9, s9, 8
	s_wait_alu 0xfffe
	s_lshl_b32 s9, -1, s9
	s_wait_alu 0xfffe
	s_not_b32 s10, s9
	s_add_co_i32 s9, s2, 16
	s_wait_alu 0xfffe
	v_and_b32_e32 v21, s10, v21
	s_cmp_gt_u32 s3, s9
	s_cselect_b32 s11, -1, 0
	s_cmp_le_u32 s3, s9
	s_delay_alu instid0(VALU_DEP_1)
	v_lshl_or_b32 v22, v21, 4, v2
	v_mov_b32_e32 v21, 1
	ds_add_u32 v22, v21 offset:4096
	s_cbranch_scc1 .LBB145_348
; %bb.346:
	v_lshrrev_b32_e32 v22, s9, v14
	s_sub_co_i32 s12, s3, s9
	s_wait_alu 0xfffe
	s_min_u32 s12, s12, 8
	s_wait_alu 0xfffe
	v_bfe_u32 v22, v22, 0, s12
	s_add_co_i32 s12, s2, 24
	s_wait_alu 0xfffe
	s_cmp_le_u32 s3, s12
	s_delay_alu instid0(VALU_DEP_1)
	v_lshl_or_b32 v22, v22, 4, v2
	ds_add_u32 v22, v21 offset:8192
	s_cbranch_scc1 .LBB145_348
; %bb.347:
	v_lshrrev_b32_e32 v22, s12, v14
	s_sub_co_i32 s12, s3, s12
	v_mov_b32_e32 v23, 1
	s_wait_alu 0xfffe
	s_min_u32 s12, s12, 8
	s_wait_alu 0xfffe
	v_bfe_u32 v22, v22, 0, s12
	s_delay_alu instid0(VALU_DEP_1)
	v_lshl_or_b32 v22, v22, 4, v2
	ds_add_u32 v22, v23 offset:12288
.LBB145_348:
	v_lshrrev_b32_e32 v22, s1, v13
	v_lshl_or_b32 v20, v20, 4, v2
	s_wait_alu 0xfffe
	s_and_not1_b32 vcc_lo, exec_lo, s11
	s_delay_alu instid0(VALU_DEP_2) | instskip(NEXT) | instid1(VALU_DEP_1)
	v_and_b32_e32 v22, s10, v22
	v_lshl_or_b32 v22, v22, 4, v2
	ds_add_u32 v20, v21
	ds_add_u32 v22, v21 offset:4096
	s_cbranch_vccnz .LBB145_351
; %bb.349:
	v_lshrrev_b32_e32 v20, s9, v13
	s_sub_co_i32 s9, s3, s9
	v_mov_b32_e32 v21, 1
	s_wait_alu 0xfffe
	s_min_u32 s9, s9, 8
	s_wait_alu 0xfffe
	v_bfe_u32 v20, v20, 0, s9
	s_add_co_i32 s9, s2, 24
	s_wait_alu 0xfffe
	s_cmp_gt_u32 s3, s9
	s_delay_alu instid0(VALU_DEP_1)
	v_lshl_or_b32 v20, v20, 4, v2
	ds_add_u32 v20, v21 offset:8192
                                        ; implicit-def: $vgpr21
	s_cbranch_scc0 .LBB145_352
; %bb.350:
	v_lshrrev_b32_e32 v20, s9, v13
	s_sub_co_i32 s8, s3, s9
	s_wait_alu 0xfffe
	s_min_u32 s8, s8, 8
	s_wait_alu 0xfffe
	v_bfe_u32 v20, v20, 0, s8
	s_mov_b32 s8, -1
	s_delay_alu instid0(VALU_DEP_1)
	v_lshl_add_u32 v21, v20, 4, 0x3000
	s_branch .LBB145_352
.LBB145_351:
                                        ; implicit-def: $vgpr21
.LBB145_352:
	s_wait_alu 0xfffe
	s_and_b32 vcc_lo, exec_lo, s8
	s_cbranch_vccz .LBB145_354
; %bb.353:
	v_lshl_add_u32 v20, v1, 2, v21
	v_mov_b32_e32 v21, 1
	ds_add_u32 v20, v21
.LBB145_354:
	v_lshrrev_b32_e32 v20, s2, v12
	s_and_b32 vcc_lo, exec_lo, s5
	s_delay_alu instid0(VALU_DEP_1) | instskip(NEXT) | instid1(VALU_DEP_1)
	v_dual_mov_b32 v21, 1 :: v_dual_and_b32 v20, s4, v20
	v_lshl_or_b32 v20, v20, 4, v2
	ds_add_u32 v20, v21
	v_lshrrev_b32_e32 v20, s2, v11
	s_delay_alu instid0(VALU_DEP_1)
	v_and_b32_e32 v20, s4, v20
	s_cbranch_vccz .LBB145_356
; %bb.355:
	s_delay_alu instid0(VALU_DEP_1)
	v_lshlrev_b32_e32 v21, 4, v20
	s_mov_b32 s8, -1
	s_cbranch_execz .LBB145_357
	s_branch .LBB145_364
.LBB145_356:
	s_mov_b32 s8, 0
                                        ; implicit-def: $vgpr21
.LBB145_357:
	s_sub_co_i32 s9, s3, s1
	v_lshrrev_b32_e32 v21, s1, v12
	s_wait_alu 0xfffe
	s_min_u32 s9, s9, 8
	s_wait_alu 0xfffe
	s_lshl_b32 s9, -1, s9
	s_wait_alu 0xfffe
	s_not_b32 s10, s9
	s_add_co_i32 s9, s2, 16
	s_wait_alu 0xfffe
	v_and_b32_e32 v21, s10, v21
	s_cmp_gt_u32 s3, s9
	s_cselect_b32 s11, -1, 0
	s_cmp_le_u32 s3, s9
	s_delay_alu instid0(VALU_DEP_1)
	v_lshl_or_b32 v22, v21, 4, v2
	v_mov_b32_e32 v21, 1
	ds_add_u32 v22, v21 offset:4096
	s_cbranch_scc1 .LBB145_360
; %bb.358:
	v_lshrrev_b32_e32 v22, s9, v12
	s_sub_co_i32 s12, s3, s9
	s_wait_alu 0xfffe
	s_min_u32 s12, s12, 8
	s_wait_alu 0xfffe
	v_bfe_u32 v22, v22, 0, s12
	s_add_co_i32 s12, s2, 24
	s_wait_alu 0xfffe
	s_cmp_le_u32 s3, s12
	s_delay_alu instid0(VALU_DEP_1)
	v_lshl_or_b32 v22, v22, 4, v2
	ds_add_u32 v22, v21 offset:8192
	s_cbranch_scc1 .LBB145_360
; %bb.359:
	v_lshrrev_b32_e32 v22, s12, v12
	s_sub_co_i32 s12, s3, s12
	v_mov_b32_e32 v23, 1
	s_wait_alu 0xfffe
	s_min_u32 s12, s12, 8
	s_wait_alu 0xfffe
	v_bfe_u32 v22, v22, 0, s12
	s_delay_alu instid0(VALU_DEP_1)
	v_lshl_or_b32 v22, v22, 4, v2
	ds_add_u32 v22, v23 offset:12288
.LBB145_360:
	v_lshrrev_b32_e32 v22, s1, v11
	v_lshl_or_b32 v20, v20, 4, v2
	s_wait_alu 0xfffe
	s_and_not1_b32 vcc_lo, exec_lo, s11
	s_delay_alu instid0(VALU_DEP_2) | instskip(NEXT) | instid1(VALU_DEP_1)
	v_and_b32_e32 v22, s10, v22
	v_lshl_or_b32 v22, v22, 4, v2
	ds_add_u32 v20, v21
	ds_add_u32 v22, v21 offset:4096
	s_cbranch_vccnz .LBB145_363
; %bb.361:
	v_lshrrev_b32_e32 v20, s9, v11
	s_sub_co_i32 s9, s3, s9
	v_mov_b32_e32 v21, 1
	s_wait_alu 0xfffe
	s_min_u32 s9, s9, 8
	s_wait_alu 0xfffe
	v_bfe_u32 v20, v20, 0, s9
	s_add_co_i32 s9, s2, 24
	s_wait_alu 0xfffe
	s_cmp_gt_u32 s3, s9
	s_delay_alu instid0(VALU_DEP_1)
	v_lshl_or_b32 v20, v20, 4, v2
	ds_add_u32 v20, v21 offset:8192
                                        ; implicit-def: $vgpr21
	s_cbranch_scc0 .LBB145_364
; %bb.362:
	v_lshrrev_b32_e32 v20, s9, v11
	s_sub_co_i32 s8, s3, s9
	s_wait_alu 0xfffe
	s_min_u32 s8, s8, 8
	s_wait_alu 0xfffe
	v_bfe_u32 v20, v20, 0, s8
	s_mov_b32 s8, -1
	s_delay_alu instid0(VALU_DEP_1)
	v_lshl_add_u32 v21, v20, 4, 0x3000
	s_branch .LBB145_364
.LBB145_363:
                                        ; implicit-def: $vgpr21
.LBB145_364:
	s_wait_alu 0xfffe
	s_and_b32 vcc_lo, exec_lo, s8
	s_cbranch_vccz .LBB145_366
; %bb.365:
	v_lshl_add_u32 v20, v1, 2, v21
	v_mov_b32_e32 v21, 1
	ds_add_u32 v20, v21
.LBB145_366:
	v_lshrrev_b32_e32 v20, s2, v10
	s_and_b32 vcc_lo, exec_lo, s5
	s_delay_alu instid0(VALU_DEP_1) | instskip(NEXT) | instid1(VALU_DEP_1)
	v_dual_mov_b32 v21, 1 :: v_dual_and_b32 v20, s4, v20
	v_lshl_or_b32 v20, v20, 4, v2
	ds_add_u32 v20, v21
	v_lshrrev_b32_e32 v20, s2, v9
	s_delay_alu instid0(VALU_DEP_1)
	v_and_b32_e32 v20, s4, v20
	s_cbranch_vccz .LBB145_368
; %bb.367:
	s_delay_alu instid0(VALU_DEP_1)
	v_lshlrev_b32_e32 v21, 4, v20
	s_mov_b32 s8, -1
	s_cbranch_execz .LBB145_369
	s_branch .LBB145_376
.LBB145_368:
	s_mov_b32 s8, 0
                                        ; implicit-def: $vgpr21
.LBB145_369:
	s_sub_co_i32 s9, s3, s1
	v_lshrrev_b32_e32 v21, s1, v10
	s_wait_alu 0xfffe
	s_min_u32 s9, s9, 8
	s_wait_alu 0xfffe
	s_lshl_b32 s9, -1, s9
	s_wait_alu 0xfffe
	s_not_b32 s10, s9
	s_add_co_i32 s9, s2, 16
	s_wait_alu 0xfffe
	v_and_b32_e32 v21, s10, v21
	s_cmp_gt_u32 s3, s9
	s_cselect_b32 s11, -1, 0
	s_cmp_le_u32 s3, s9
	s_delay_alu instid0(VALU_DEP_1)
	v_lshl_or_b32 v22, v21, 4, v2
	v_mov_b32_e32 v21, 1
	ds_add_u32 v22, v21 offset:4096
	s_cbranch_scc1 .LBB145_372
; %bb.370:
	v_lshrrev_b32_e32 v22, s9, v10
	s_sub_co_i32 s12, s3, s9
	s_wait_alu 0xfffe
	s_min_u32 s12, s12, 8
	s_wait_alu 0xfffe
	v_bfe_u32 v22, v22, 0, s12
	s_add_co_i32 s12, s2, 24
	s_wait_alu 0xfffe
	s_cmp_le_u32 s3, s12
	s_delay_alu instid0(VALU_DEP_1)
	v_lshl_or_b32 v22, v22, 4, v2
	ds_add_u32 v22, v21 offset:8192
	s_cbranch_scc1 .LBB145_372
; %bb.371:
	v_lshrrev_b32_e32 v22, s12, v10
	s_sub_co_i32 s12, s3, s12
	v_mov_b32_e32 v23, 1
	s_wait_alu 0xfffe
	s_min_u32 s12, s12, 8
	s_wait_alu 0xfffe
	v_bfe_u32 v22, v22, 0, s12
	s_delay_alu instid0(VALU_DEP_1)
	v_lshl_or_b32 v22, v22, 4, v2
	ds_add_u32 v22, v23 offset:12288
.LBB145_372:
	v_lshrrev_b32_e32 v22, s1, v9
	v_lshl_or_b32 v20, v20, 4, v2
	s_wait_alu 0xfffe
	s_and_not1_b32 vcc_lo, exec_lo, s11
	s_delay_alu instid0(VALU_DEP_2) | instskip(NEXT) | instid1(VALU_DEP_1)
	v_and_b32_e32 v22, s10, v22
	v_lshl_or_b32 v22, v22, 4, v2
	ds_add_u32 v20, v21
	ds_add_u32 v22, v21 offset:4096
	s_cbranch_vccnz .LBB145_375
; %bb.373:
	v_lshrrev_b32_e32 v20, s9, v9
	s_sub_co_i32 s9, s3, s9
	v_mov_b32_e32 v21, 1
	s_wait_alu 0xfffe
	s_min_u32 s9, s9, 8
	s_wait_alu 0xfffe
	v_bfe_u32 v20, v20, 0, s9
	s_add_co_i32 s9, s2, 24
	s_wait_alu 0xfffe
	s_cmp_gt_u32 s3, s9
	s_delay_alu instid0(VALU_DEP_1)
	v_lshl_or_b32 v20, v20, 4, v2
	ds_add_u32 v20, v21 offset:8192
                                        ; implicit-def: $vgpr21
	s_cbranch_scc0 .LBB145_376
; %bb.374:
	v_lshrrev_b32_e32 v20, s9, v9
	s_sub_co_i32 s8, s3, s9
	s_wait_alu 0xfffe
	s_min_u32 s8, s8, 8
	s_wait_alu 0xfffe
	v_bfe_u32 v20, v20, 0, s8
	s_mov_b32 s8, -1
	s_delay_alu instid0(VALU_DEP_1)
	v_lshl_add_u32 v21, v20, 4, 0x3000
	s_branch .LBB145_376
.LBB145_375:
                                        ; implicit-def: $vgpr21
.LBB145_376:
	s_wait_alu 0xfffe
	s_and_b32 vcc_lo, exec_lo, s8
	s_cbranch_vccz .LBB145_378
; %bb.377:
	v_lshl_add_u32 v20, v1, 2, v21
	v_mov_b32_e32 v21, 1
	ds_add_u32 v20, v21
.LBB145_378:
	v_lshrrev_b32_e32 v20, s2, v8
	s_and_b32 vcc_lo, exec_lo, s5
	s_delay_alu instid0(VALU_DEP_1) | instskip(NEXT) | instid1(VALU_DEP_1)
	v_dual_mov_b32 v21, 1 :: v_dual_and_b32 v20, s4, v20
	v_lshl_or_b32 v20, v20, 4, v2
	ds_add_u32 v20, v21
	v_lshrrev_b32_e32 v20, s2, v7
	s_delay_alu instid0(VALU_DEP_1)
	v_and_b32_e32 v20, s4, v20
	s_cbranch_vccz .LBB145_380
; %bb.379:
	s_delay_alu instid0(VALU_DEP_1)
	v_lshlrev_b32_e32 v21, 4, v20
	s_mov_b32 s8, -1
	s_cbranch_execz .LBB145_381
	s_branch .LBB145_388
.LBB145_380:
	s_mov_b32 s8, 0
                                        ; implicit-def: $vgpr21
.LBB145_381:
	s_sub_co_i32 s9, s3, s1
	v_lshrrev_b32_e32 v21, s1, v8
	s_wait_alu 0xfffe
	s_min_u32 s9, s9, 8
	s_wait_alu 0xfffe
	s_lshl_b32 s9, -1, s9
	s_wait_alu 0xfffe
	s_not_b32 s10, s9
	s_add_co_i32 s9, s2, 16
	s_wait_alu 0xfffe
	v_and_b32_e32 v21, s10, v21
	s_cmp_gt_u32 s3, s9
	s_cselect_b32 s11, -1, 0
	s_cmp_le_u32 s3, s9
	s_delay_alu instid0(VALU_DEP_1)
	v_lshl_or_b32 v22, v21, 4, v2
	v_mov_b32_e32 v21, 1
	ds_add_u32 v22, v21 offset:4096
	s_cbranch_scc1 .LBB145_384
; %bb.382:
	v_lshrrev_b32_e32 v22, s9, v8
	s_sub_co_i32 s12, s3, s9
	s_wait_alu 0xfffe
	s_min_u32 s12, s12, 8
	s_wait_alu 0xfffe
	v_bfe_u32 v22, v22, 0, s12
	s_add_co_i32 s12, s2, 24
	s_wait_alu 0xfffe
	s_cmp_le_u32 s3, s12
	s_delay_alu instid0(VALU_DEP_1)
	v_lshl_or_b32 v22, v22, 4, v2
	ds_add_u32 v22, v21 offset:8192
	s_cbranch_scc1 .LBB145_384
; %bb.383:
	v_lshrrev_b32_e32 v22, s12, v8
	s_sub_co_i32 s12, s3, s12
	v_mov_b32_e32 v23, 1
	s_wait_alu 0xfffe
	s_min_u32 s12, s12, 8
	s_wait_alu 0xfffe
	v_bfe_u32 v22, v22, 0, s12
	s_delay_alu instid0(VALU_DEP_1)
	v_lshl_or_b32 v22, v22, 4, v2
	ds_add_u32 v22, v23 offset:12288
.LBB145_384:
	v_lshrrev_b32_e32 v22, s1, v7
	v_lshl_or_b32 v20, v20, 4, v2
	s_wait_alu 0xfffe
	s_and_not1_b32 vcc_lo, exec_lo, s11
	s_delay_alu instid0(VALU_DEP_2) | instskip(NEXT) | instid1(VALU_DEP_1)
	v_and_b32_e32 v22, s10, v22
	v_lshl_or_b32 v22, v22, 4, v2
	ds_add_u32 v20, v21
	ds_add_u32 v22, v21 offset:4096
	s_cbranch_vccnz .LBB145_387
; %bb.385:
	v_lshrrev_b32_e32 v20, s9, v7
	s_sub_co_i32 s9, s3, s9
	v_mov_b32_e32 v21, 1
	s_wait_alu 0xfffe
	s_min_u32 s9, s9, 8
	s_wait_alu 0xfffe
	v_bfe_u32 v20, v20, 0, s9
	s_add_co_i32 s9, s2, 24
	s_wait_alu 0xfffe
	s_cmp_gt_u32 s3, s9
	s_delay_alu instid0(VALU_DEP_1)
	v_lshl_or_b32 v20, v20, 4, v2
	ds_add_u32 v20, v21 offset:8192
                                        ; implicit-def: $vgpr21
	s_cbranch_scc0 .LBB145_388
; %bb.386:
	v_lshrrev_b32_e32 v20, s9, v7
	s_sub_co_i32 s8, s3, s9
	s_wait_alu 0xfffe
	s_min_u32 s8, s8, 8
	s_wait_alu 0xfffe
	v_bfe_u32 v20, v20, 0, s8
	s_mov_b32 s8, -1
	s_delay_alu instid0(VALU_DEP_1)
	v_lshl_add_u32 v21, v20, 4, 0x3000
	s_branch .LBB145_388
.LBB145_387:
                                        ; implicit-def: $vgpr21
.LBB145_388:
	s_wait_alu 0xfffe
	s_and_b32 vcc_lo, exec_lo, s8
	s_cbranch_vccz .LBB145_390
; %bb.389:
	v_lshl_add_u32 v20, v1, 2, v21
	v_mov_b32_e32 v21, 1
	ds_add_u32 v20, v21
.LBB145_390:
	v_lshrrev_b32_e32 v20, s2, v6
	s_and_b32 vcc_lo, exec_lo, s5
	s_delay_alu instid0(VALU_DEP_1) | instskip(NEXT) | instid1(VALU_DEP_1)
	v_dual_mov_b32 v21, 1 :: v_dual_and_b32 v20, s4, v20
	v_lshl_or_b32 v20, v20, 4, v2
	ds_add_u32 v20, v21
	v_lshrrev_b32_e32 v20, s2, v5
	s_delay_alu instid0(VALU_DEP_1)
	v_and_b32_e32 v20, s4, v20
	s_cbranch_vccz .LBB145_392
; %bb.391:
	s_delay_alu instid0(VALU_DEP_1)
	v_lshlrev_b32_e32 v21, 4, v20
	s_mov_b32 s8, -1
	s_cbranch_execz .LBB145_393
	s_branch .LBB145_400
.LBB145_392:
	s_mov_b32 s8, 0
                                        ; implicit-def: $vgpr21
.LBB145_393:
	s_sub_co_i32 s9, s3, s1
	v_lshrrev_b32_e32 v21, s1, v6
	s_wait_alu 0xfffe
	s_min_u32 s9, s9, 8
	s_wait_alu 0xfffe
	s_lshl_b32 s9, -1, s9
	s_wait_alu 0xfffe
	s_not_b32 s10, s9
	s_add_co_i32 s9, s2, 16
	s_wait_alu 0xfffe
	v_and_b32_e32 v21, s10, v21
	s_cmp_gt_u32 s3, s9
	s_cselect_b32 s11, -1, 0
	s_cmp_le_u32 s3, s9
	s_delay_alu instid0(VALU_DEP_1)
	v_lshl_or_b32 v22, v21, 4, v2
	v_mov_b32_e32 v21, 1
	ds_add_u32 v22, v21 offset:4096
	s_cbranch_scc1 .LBB145_396
; %bb.394:
	v_lshrrev_b32_e32 v22, s9, v6
	s_sub_co_i32 s12, s3, s9
	s_wait_alu 0xfffe
	s_min_u32 s12, s12, 8
	s_wait_alu 0xfffe
	v_bfe_u32 v22, v22, 0, s12
	s_add_co_i32 s12, s2, 24
	s_wait_alu 0xfffe
	s_cmp_le_u32 s3, s12
	s_delay_alu instid0(VALU_DEP_1)
	v_lshl_or_b32 v22, v22, 4, v2
	ds_add_u32 v22, v21 offset:8192
	s_cbranch_scc1 .LBB145_396
; %bb.395:
	v_lshrrev_b32_e32 v22, s12, v6
	s_sub_co_i32 s12, s3, s12
	v_mov_b32_e32 v23, 1
	s_wait_alu 0xfffe
	s_min_u32 s12, s12, 8
	s_wait_alu 0xfffe
	v_bfe_u32 v22, v22, 0, s12
	s_delay_alu instid0(VALU_DEP_1)
	v_lshl_or_b32 v22, v22, 4, v2
	ds_add_u32 v22, v23 offset:12288
.LBB145_396:
	v_lshrrev_b32_e32 v22, s1, v5
	v_lshl_or_b32 v20, v20, 4, v2
	s_wait_alu 0xfffe
	s_and_not1_b32 vcc_lo, exec_lo, s11
	s_delay_alu instid0(VALU_DEP_2) | instskip(NEXT) | instid1(VALU_DEP_1)
	v_and_b32_e32 v22, s10, v22
	v_lshl_or_b32 v22, v22, 4, v2
	ds_add_u32 v20, v21
	ds_add_u32 v22, v21 offset:4096
	s_cbranch_vccnz .LBB145_399
; %bb.397:
	v_lshrrev_b32_e32 v20, s9, v5
	s_sub_co_i32 s9, s3, s9
	v_mov_b32_e32 v21, 1
	s_wait_alu 0xfffe
	s_min_u32 s9, s9, 8
	s_wait_alu 0xfffe
	v_bfe_u32 v20, v20, 0, s9
	s_add_co_i32 s9, s2, 24
	s_wait_alu 0xfffe
	s_cmp_gt_u32 s3, s9
	s_delay_alu instid0(VALU_DEP_1)
	v_lshl_or_b32 v20, v20, 4, v2
	ds_add_u32 v20, v21 offset:8192
                                        ; implicit-def: $vgpr21
	s_cbranch_scc0 .LBB145_400
; %bb.398:
	v_lshrrev_b32_e32 v20, s9, v5
	s_sub_co_i32 s8, s3, s9
	s_wait_alu 0xfffe
	s_min_u32 s8, s8, 8
	s_wait_alu 0xfffe
	v_bfe_u32 v20, v20, 0, s8
	s_mov_b32 s8, -1
	s_delay_alu instid0(VALU_DEP_1)
	v_lshl_add_u32 v21, v20, 4, 0x3000
	s_branch .LBB145_400
.LBB145_399:
                                        ; implicit-def: $vgpr21
.LBB145_400:
	s_wait_alu 0xfffe
	s_and_b32 vcc_lo, exec_lo, s8
	s_cbranch_vccz .LBB145_402
; %bb.401:
	v_lshl_add_u32 v20, v1, 2, v21
	v_mov_b32_e32 v21, 1
	ds_add_u32 v20, v21
.LBB145_402:
	v_lshrrev_b32_e32 v20, s2, v4
	s_and_b32 vcc_lo, exec_lo, s5
	s_delay_alu instid0(VALU_DEP_1) | instskip(NEXT) | instid1(VALU_DEP_1)
	v_dual_mov_b32 v21, 1 :: v_dual_and_b32 v20, s4, v20
	v_lshl_or_b32 v20, v20, 4, v2
	ds_add_u32 v20, v21
	v_lshrrev_b32_e32 v20, s2, v3
	s_delay_alu instid0(VALU_DEP_1)
	v_and_b32_e32 v20, s4, v20
	s_cbranch_vccz .LBB145_404
; %bb.403:
	s_delay_alu instid0(VALU_DEP_1)
	v_lshlrev_b32_e32 v21, 4, v20
	s_mov_b32 s4, -1
	s_cbranch_execz .LBB145_405
	s_branch .LBB145_412
.LBB145_404:
	s_mov_b32 s4, 0
                                        ; implicit-def: $vgpr21
.LBB145_405:
	s_sub_co_i32 s5, s3, s1
	v_lshrrev_b32_e32 v21, s1, v4
	s_wait_alu 0xfffe
	s_min_u32 s5, s5, 8
	s_wait_alu 0xfffe
	s_lshl_b32 s5, -1, s5
	s_wait_alu 0xfffe
	s_not_b32 s8, s5
	s_add_co_i32 s5, s2, 16
	s_wait_alu 0xfffe
	v_and_b32_e32 v21, s8, v21
	s_cmp_gt_u32 s3, s5
	s_cselect_b32 s9, -1, 0
	s_cmp_le_u32 s3, s5
	s_delay_alu instid0(VALU_DEP_1)
	v_lshl_or_b32 v22, v21, 4, v2
	v_mov_b32_e32 v21, 1
	ds_add_u32 v22, v21 offset:4096
	s_cbranch_scc1 .LBB145_408
; %bb.406:
	v_lshrrev_b32_e32 v22, s5, v4
	s_sub_co_i32 s10, s3, s5
	s_wait_alu 0xfffe
	s_min_u32 s10, s10, 8
	s_wait_alu 0xfffe
	v_bfe_u32 v22, v22, 0, s10
	s_add_co_i32 s10, s2, 24
	s_wait_alu 0xfffe
	s_cmp_le_u32 s3, s10
	s_delay_alu instid0(VALU_DEP_1)
	v_lshl_or_b32 v22, v22, 4, v2
	ds_add_u32 v22, v21 offset:8192
	s_cbranch_scc1 .LBB145_408
; %bb.407:
	v_lshrrev_b32_e32 v22, s10, v4
	s_sub_co_i32 s10, s3, s10
	v_mov_b32_e32 v23, 1
	s_wait_alu 0xfffe
	s_min_u32 s10, s10, 8
	s_wait_alu 0xfffe
	v_bfe_u32 v22, v22, 0, s10
	s_delay_alu instid0(VALU_DEP_1)
	v_lshl_or_b32 v22, v22, 4, v2
	ds_add_u32 v22, v23 offset:12288
.LBB145_408:
	v_lshrrev_b32_e32 v22, s1, v3
	v_lshl_or_b32 v20, v20, 4, v2
	s_wait_alu 0xfffe
	s_and_not1_b32 vcc_lo, exec_lo, s9
	s_delay_alu instid0(VALU_DEP_2) | instskip(NEXT) | instid1(VALU_DEP_1)
	v_and_b32_e32 v22, s8, v22
	v_lshl_or_b32 v22, v22, 4, v2
	ds_add_u32 v20, v21
	ds_add_u32 v22, v21 offset:4096
	s_cbranch_vccnz .LBB145_411
; %bb.409:
	v_lshrrev_b32_e32 v20, s5, v3
	s_sub_co_i32 s1, s3, s5
                                        ; implicit-def: $vgpr21
	s_wait_alu 0xfffe
	s_min_u32 s1, s1, 8
	s_wait_alu 0xfffe
	v_bfe_u32 v20, v20, 0, s1
	s_add_co_i32 s1, s2, 24
	s_wait_alu 0xfffe
	s_cmp_gt_u32 s3, s1
	s_delay_alu instid0(VALU_DEP_1)
	v_lshl_or_b32 v2, v20, 4, v2
	v_mov_b32_e32 v20, 1
	ds_add_u32 v2, v20 offset:8192
	s_cbranch_scc0 .LBB145_412
; %bb.410:
	v_lshrrev_b32_e32 v2, s1, v3
	s_sub_co_i32 s1, s3, s1
	s_mov_b32 s4, -1
	s_wait_alu 0xfffe
	s_min_u32 s1, s1, 8
	s_wait_alu 0xfffe
	v_bfe_u32 v2, v2, 0, s1
	s_delay_alu instid0(VALU_DEP_1)
	v_lshl_add_u32 v21, v2, 4, 0x3000
	s_branch .LBB145_412
.LBB145_411:
                                        ; implicit-def: $vgpr21
.LBB145_412:
	s_wait_alu 0xfffe
	s_and_b32 vcc_lo, exec_lo, s4
	s_cbranch_vccz .LBB145_414
; %bb.413:
	v_lshl_add_u32 v1, v1, 2, v21
	v_mov_b32_e32 v2, 1
	ds_add_u32 v1, v2
.LBB145_414:
	s_and_b32 vcc_lo, exec_lo, s0
	s_wait_loadcnt_dscnt 0x0
	s_barrier_signal -1
	s_barrier_wait -1
	global_inv scope:SCOPE_SE
	s_cbranch_vccz .LBB145_419
; %bb.415:
	v_dual_mov_b32 v1, v0 :: v_dual_lshlrev_b32 v20, 4, v0
	v_mov_b32_e32 v2, 0
	v_cmp_gt_u32_e32 vcc_lo, 0x100, v0
	s_branch .LBB145_417
.LBB145_416:                            ;   in Loop: Header=BB145_417 Depth=1
	s_wait_alu 0xfffe
	s_or_b32 exec_lo, exec_lo, s1
	v_add_nc_u32_e32 v1, 0x100, v1
	v_add_nc_u32_e32 v20, 0x1000, v20
	s_add_co_i32 s2, s2, 8
	s_wait_alu 0xfffe
	s_cmp_ge_u32 s2, s3
	s_cbranch_scc1 .LBB145_419
.LBB145_417:                            ; =>This Inner Loop Header: Depth=1
	s_and_saveexec_b32 s1, vcc_lo
	s_cbranch_execz .LBB145_416
; %bb.418:                              ;   in Loop: Header=BB145_417 Depth=1
	ds_load_2addr_b32 v[21:22], v20 offset1:1
	ds_load_2addr_b32 v[23:24], v20 offset0:2 offset1:3
	s_wait_dscnt 0x1
	v_add_nc_u32_e32 v25, v22, v21
	v_lshlrev_b64_e32 v[21:22], 2, v[1:2]
	s_wait_dscnt 0x0
	s_delay_alu instid0(VALU_DEP_2) | instskip(NEXT) | instid1(VALU_DEP_2)
	v_add3_u32 v23, v25, v23, v24
	v_add_co_u32 v21, s0, s6, v21
	s_wait_alu 0xf1ff
	s_delay_alu instid0(VALU_DEP_3)
	v_add_co_ci_u32_e64 v22, null, s7, v22, s0
	global_atomic_add_u32 v[21:22], v23, off scope:SCOPE_DEV
	s_branch .LBB145_416
.LBB145_419:
	s_mov_b32 s0, 0
.LBB145_420:
	s_wait_alu 0xfffe
	s_and_b32 vcc_lo, exec_lo, s0
	s_cbranch_vccz .LBB145_425
; %bb.421:
	v_dual_mov_b32 v2, 0 :: v_dual_lshlrev_b32 v1, 2, v0
	s_mov_b32 s0, 0
.LBB145_422:                            ; =>This Inner Loop Header: Depth=1
	v_add_nc_u32_e32 v19, 0x400, v19
	ds_store_b32 v1, v2
	v_add_nc_u32_e32 v1, 0x1000, v1
	v_cmp_lt_u32_e32 vcc_lo, 0xbff, v19
	s_wait_alu 0xfffe
	s_or_b32 s0, vcc_lo, s0
	s_wait_alu 0xfffe
	s_and_not1_b32 exec_lo, exec_lo, s0
	s_cbranch_execnz .LBB145_422
; %bb.423:
	s_or_b32 exec_lo, exec_lo, s0
	v_and_b32_e32 v1, 3, v0
	s_wait_loadcnt 0xf
	v_dual_mov_b32 v21, 1 :: v_dual_lshlrev_b32 v2, 4, v18
	v_lshrrev_b32_e32 v19, 4, v18
	v_lshrrev_b32_e32 v20, 12, v18
	v_lshlrev_b32_e32 v1, 2, v1
	v_lshrrev_b32_e32 v18, 20, v18
	s_wait_storecnt 0x0
	s_wait_loadcnt_dscnt 0x0
	s_barrier_signal -1
	s_barrier_wait -1
	v_and_or_b32 v2, 0xff0, v2, v1
	v_and_or_b32 v19, 0xff0, v19, v1
	;; [unrolled: 1-line block ×4, first 2 shown]
	global_inv scope:SCOPE_SE
	ds_add_u32 v2, v21
	ds_add_u32 v19, v21 offset:4096
	ds_add_u32 v20, v21 offset:8192
	ds_add_u32 v18, v21 offset:12288
	v_lshlrev_b32_e32 v2, 4, v17
	v_lshrrev_b32_e32 v18, 4, v17
	v_lshrrev_b32_e32 v19, 12, v17
	v_lshrrev_b32_e32 v17, 20, v17
	v_lshlrev_b32_e32 v20, 4, v16
	v_and_or_b32 v2, 0xff0, v2, v1
	v_and_or_b32 v18, 0xff0, v18, v1
	v_and_or_b32 v19, 0xff0, v19, v1
	v_and_or_b32 v17, 0xff0, v17, v1
	v_and_or_b32 v20, 0xff0, v20, v1
	ds_add_u32 v2, v21
	ds_add_u32 v18, v21 offset:4096
	ds_add_u32 v19, v21 offset:8192
	ds_add_u32 v17, v21 offset:12288
	ds_add_u32 v20, v21
	v_lshrrev_b32_e32 v2, 4, v16
	v_lshrrev_b32_e32 v17, 12, v16
	v_lshrrev_b32_e32 v16, 20, v16
	v_lshlrev_b32_e32 v18, 4, v15
	v_lshrrev_b32_e32 v19, 4, v15
	v_and_or_b32 v2, 0xff0, v2, v1
	v_and_or_b32 v17, 0xff0, v17, v1
	v_and_or_b32 v16, 0xff0, v16, v1
	v_and_or_b32 v18, 0xff0, v18, v1
	v_and_or_b32 v19, 0xff0, v19, v1
	ds_add_u32 v2, v21 offset:4096
	ds_add_u32 v17, v21 offset:8192
	ds_add_u32 v16, v21 offset:12288
	ds_add_u32 v18, v21
	ds_add_u32 v19, v21 offset:4096
	v_lshrrev_b32_e32 v2, 12, v15
	v_lshrrev_b32_e32 v15, 20, v15
	v_lshlrev_b32_e32 v16, 4, v14
	v_lshrrev_b32_e32 v17, 4, v14
	v_lshrrev_b32_e32 v18, 12, v14
	v_and_or_b32 v2, 0xff0, v2, v1
	v_and_or_b32 v15, 0xff0, v15, v1
	v_and_or_b32 v16, 0xff0, v16, v1
	v_and_or_b32 v17, 0xff0, v17, v1
	v_and_or_b32 v18, 0xff0, v18, v1
	ds_add_u32 v2, v21 offset:8192
	ds_add_u32 v15, v21 offset:12288
	ds_add_u32 v16, v21
	ds_add_u32 v17, v21 offset:4096
	ds_add_u32 v18, v21 offset:8192
	v_lshrrev_b32_e32 v2, 20, v14
	v_lshlrev_b32_e32 v14, 4, v13
	v_lshrrev_b32_e32 v15, 4, v13
	v_lshrrev_b32_e32 v16, 12, v13
	v_lshrrev_b32_e32 v13, 20, v13
	v_and_or_b32 v2, 0xff0, v2, v1
	v_and_or_b32 v14, 0xff0, v14, v1
	v_and_or_b32 v15, 0xff0, v15, v1
	v_and_or_b32 v16, 0xff0, v16, v1
	v_and_or_b32 v13, 0xff0, v13, v1
	ds_add_u32 v2, v21 offset:12288
	ds_add_u32 v14, v21
	ds_add_u32 v15, v21 offset:4096
	ds_add_u32 v16, v21 offset:8192
	ds_add_u32 v13, v21 offset:12288
	v_lshlrev_b32_e32 v2, 4, v12
	v_lshrrev_b32_e32 v13, 4, v12
	v_lshrrev_b32_e32 v14, 12, v12
	v_lshrrev_b32_e32 v12, 20, v12
	v_lshlrev_b32_e32 v15, 4, v11
	v_and_or_b32 v2, 0xff0, v2, v1
	v_and_or_b32 v13, 0xff0, v13, v1
	v_and_or_b32 v14, 0xff0, v14, v1
	v_and_or_b32 v12, 0xff0, v12, v1
	v_and_or_b32 v15, 0xff0, v15, v1
	ds_add_u32 v2, v21
	ds_add_u32 v13, v21 offset:4096
	ds_add_u32 v14, v21 offset:8192
	ds_add_u32 v12, v21 offset:12288
	ds_add_u32 v15, v21
	v_lshrrev_b32_e32 v2, 4, v11
	v_lshrrev_b32_e32 v12, 12, v11
	v_lshrrev_b32_e32 v11, 20, v11
	v_lshlrev_b32_e32 v13, 4, v10
	v_lshrrev_b32_e32 v14, 4, v10
	v_and_or_b32 v2, 0xff0, v2, v1
	v_and_or_b32 v12, 0xff0, v12, v1
	v_and_or_b32 v11, 0xff0, v11, v1
	v_and_or_b32 v13, 0xff0, v13, v1
	v_and_or_b32 v14, 0xff0, v14, v1
	ds_add_u32 v2, v21 offset:4096
	ds_add_u32 v12, v21 offset:8192
	ds_add_u32 v11, v21 offset:12288
	ds_add_u32 v13, v21
	ds_add_u32 v14, v21 offset:4096
	v_lshrrev_b32_e32 v2, 12, v10
	v_lshrrev_b32_e32 v10, 20, v10
	v_lshlrev_b32_e32 v11, 4, v9
	v_lshrrev_b32_e32 v12, 4, v9
	v_lshrrev_b32_e32 v13, 12, v9
	v_and_or_b32 v2, 0xff0, v2, v1
	v_and_or_b32 v10, 0xff0, v10, v1
	v_and_or_b32 v11, 0xff0, v11, v1
	v_and_or_b32 v12, 0xff0, v12, v1
	v_and_or_b32 v13, 0xff0, v13, v1
	ds_add_u32 v2, v21 offset:8192
	ds_add_u32 v10, v21 offset:12288
	ds_add_u32 v11, v21
	ds_add_u32 v12, v21 offset:4096
	ds_add_u32 v13, v21 offset:8192
	v_lshrrev_b32_e32 v2, 20, v9
	v_lshlrev_b32_e32 v9, 4, v8
	v_lshrrev_b32_e32 v10, 4, v8
	v_lshrrev_b32_e32 v11, 12, v8
	v_lshrrev_b32_e32 v8, 20, v8
	v_and_or_b32 v2, 0xff0, v2, v1
	v_and_or_b32 v9, 0xff0, v9, v1
	v_and_or_b32 v10, 0xff0, v10, v1
	v_and_or_b32 v11, 0xff0, v11, v1
	v_and_or_b32 v8, 0xff0, v8, v1
	ds_add_u32 v2, v21 offset:12288
	;; [unrolled: 60-line block ×3, first 2 shown]
	ds_add_u32 v4, v21
	ds_add_u32 v5, v21 offset:4096
	ds_add_u32 v6, v21 offset:8192
	;; [unrolled: 1-line block ×3, first 2 shown]
	s_wait_loadcnt_dscnt 0x0
	s_barrier_signal -1
	s_barrier_wait -1
	global_inv scope:SCOPE_SE
	s_mov_b32 s0, exec_lo
	v_cmpx_gt_u32_e32 0x100, v0
	s_cbranch_execz .LBB145_425
; %bb.424:
	v_lshlrev_b32_e32 v5, 4, v0
	v_lshlrev_b32_e32 v6, 2, v0
	ds_load_2addr_b32 v[1:2], v5 offset1:1
	ds_load_2addr_b32 v[3:4], v5 offset0:2 offset1:3
	s_wait_dscnt 0x1
	v_add_nc_u32_e32 v1, v2, v1
	v_add_nc_u32_e32 v2, 0x1008, v5
	s_wait_dscnt 0x0
	s_delay_alu instid0(VALU_DEP_2)
	v_add3_u32 v0, v1, v3, v4
	v_add_nc_u32_e32 v1, 0x1000, v5
	global_atomic_add_u32 v6, v0, s[6:7] scope:SCOPE_DEV
	ds_load_2addr_b32 v[0:1], v1 offset1:1
	ds_load_2addr_b32 v[2:3], v2 offset1:1
	s_wait_dscnt 0x1
	v_add_nc_u32_e32 v0, v1, v0
	v_add_nc_u32_e32 v1, 0x2000, v5
	s_wait_dscnt 0x0
	s_delay_alu instid0(VALU_DEP_2)
	v_add3_u32 v0, v0, v2, v3
	v_add_nc_u32_e32 v2, 0x2008, v5
	global_atomic_add_u32 v6, v0, s[6:7] offset:1024 scope:SCOPE_DEV
	ds_load_2addr_b32 v[0:1], v1 offset1:1
	ds_load_2addr_b32 v[2:3], v2 offset1:1
	s_wait_dscnt 0x1
	v_add_nc_u32_e32 v0, v1, v0
	v_add_nc_u32_e32 v1, 0x3000, v5
	s_wait_dscnt 0x0
	s_delay_alu instid0(VALU_DEP_2)
	v_add3_u32 v0, v0, v2, v3
	v_add_nc_u32_e32 v2, 0x3008, v5
	global_atomic_add_u32 v6, v0, s[6:7] offset:2048 scope:SCOPE_DEV
	ds_load_2addr_b32 v[0:1], v1 offset1:1
	ds_load_2addr_b32 v[2:3], v2 offset1:1
	s_wait_dscnt 0x1
	v_add_nc_u32_e32 v0, v1, v0
	s_wait_dscnt 0x0
	s_delay_alu instid0(VALU_DEP_1)
	v_add3_u32 v0, v0, v2, v3
	global_atomic_add_u32 v6, v0, s[6:7] offset:3072 scope:SCOPE_DEV
.LBB145_425:
	s_endpgm
	.section	.rodata,"a",@progbits
	.p2align	6, 0x0
	.amdhsa_kernel _ZN7rocprim17ROCPRIM_400000_NS6detail17trampoline_kernelINS0_14default_configENS1_35radix_sort_onesweep_config_selectorIjN6thrust23THRUST_200600_302600_NS5tupleIffNS6_9null_typeES8_S8_S8_S8_S8_S8_S8_EEEEZNS1_34radix_sort_onesweep_global_offsetsIS3_Lb0ENS6_6detail15normal_iteratorINS6_10device_ptrIjEEEENSD_INSE_IS9_EEEEjNS0_19identity_decomposerEEE10hipError_tT1_T2_PT3_SN_jT4_jjP12ihipStream_tbEUlT_E_NS1_11comp_targetILNS1_3genE10ELNS1_11target_archE1201ELNS1_3gpuE5ELNS1_3repE0EEENS1_52radix_sort_onesweep_histogram_config_static_selectorELNS0_4arch9wavefront6targetE0EEEvSL_
		.amdhsa_group_segment_fixed_size 16384
		.amdhsa_private_segment_fixed_size 0
		.amdhsa_kernarg_size 40
		.amdhsa_user_sgpr_count 2
		.amdhsa_user_sgpr_dispatch_ptr 0
		.amdhsa_user_sgpr_queue_ptr 0
		.amdhsa_user_sgpr_kernarg_segment_ptr 1
		.amdhsa_user_sgpr_dispatch_id 0
		.amdhsa_user_sgpr_private_segment_size 0
		.amdhsa_wavefront_size32 1
		.amdhsa_uses_dynamic_stack 0
		.amdhsa_enable_private_segment 0
		.amdhsa_system_sgpr_workgroup_id_x 1
		.amdhsa_system_sgpr_workgroup_id_y 0
		.amdhsa_system_sgpr_workgroup_id_z 0
		.amdhsa_system_sgpr_workgroup_info 0
		.amdhsa_system_vgpr_workitem_id 0
		.amdhsa_next_free_vgpr 35
		.amdhsa_next_free_sgpr 14
		.amdhsa_reserve_vcc 1
		.amdhsa_float_round_mode_32 0
		.amdhsa_float_round_mode_16_64 0
		.amdhsa_float_denorm_mode_32 3
		.amdhsa_float_denorm_mode_16_64 3
		.amdhsa_fp16_overflow 0
		.amdhsa_workgroup_processor_mode 1
		.amdhsa_memory_ordered 1
		.amdhsa_forward_progress 1
		.amdhsa_inst_pref_size 131
		.amdhsa_round_robin_scheduling 0
		.amdhsa_exception_fp_ieee_invalid_op 0
		.amdhsa_exception_fp_denorm_src 0
		.amdhsa_exception_fp_ieee_div_zero 0
		.amdhsa_exception_fp_ieee_overflow 0
		.amdhsa_exception_fp_ieee_underflow 0
		.amdhsa_exception_fp_ieee_inexact 0
		.amdhsa_exception_int_div_zero 0
	.end_amdhsa_kernel
	.section	.text._ZN7rocprim17ROCPRIM_400000_NS6detail17trampoline_kernelINS0_14default_configENS1_35radix_sort_onesweep_config_selectorIjN6thrust23THRUST_200600_302600_NS5tupleIffNS6_9null_typeES8_S8_S8_S8_S8_S8_S8_EEEEZNS1_34radix_sort_onesweep_global_offsetsIS3_Lb0ENS6_6detail15normal_iteratorINS6_10device_ptrIjEEEENSD_INSE_IS9_EEEEjNS0_19identity_decomposerEEE10hipError_tT1_T2_PT3_SN_jT4_jjP12ihipStream_tbEUlT_E_NS1_11comp_targetILNS1_3genE10ELNS1_11target_archE1201ELNS1_3gpuE5ELNS1_3repE0EEENS1_52radix_sort_onesweep_histogram_config_static_selectorELNS0_4arch9wavefront6targetE0EEEvSL_,"axG",@progbits,_ZN7rocprim17ROCPRIM_400000_NS6detail17trampoline_kernelINS0_14default_configENS1_35radix_sort_onesweep_config_selectorIjN6thrust23THRUST_200600_302600_NS5tupleIffNS6_9null_typeES8_S8_S8_S8_S8_S8_S8_EEEEZNS1_34radix_sort_onesweep_global_offsetsIS3_Lb0ENS6_6detail15normal_iteratorINS6_10device_ptrIjEEEENSD_INSE_IS9_EEEEjNS0_19identity_decomposerEEE10hipError_tT1_T2_PT3_SN_jT4_jjP12ihipStream_tbEUlT_E_NS1_11comp_targetILNS1_3genE10ELNS1_11target_archE1201ELNS1_3gpuE5ELNS1_3repE0EEENS1_52radix_sort_onesweep_histogram_config_static_selectorELNS0_4arch9wavefront6targetE0EEEvSL_,comdat
.Lfunc_end145:
	.size	_ZN7rocprim17ROCPRIM_400000_NS6detail17trampoline_kernelINS0_14default_configENS1_35radix_sort_onesweep_config_selectorIjN6thrust23THRUST_200600_302600_NS5tupleIffNS6_9null_typeES8_S8_S8_S8_S8_S8_S8_EEEEZNS1_34radix_sort_onesweep_global_offsetsIS3_Lb0ENS6_6detail15normal_iteratorINS6_10device_ptrIjEEEENSD_INSE_IS9_EEEEjNS0_19identity_decomposerEEE10hipError_tT1_T2_PT3_SN_jT4_jjP12ihipStream_tbEUlT_E_NS1_11comp_targetILNS1_3genE10ELNS1_11target_archE1201ELNS1_3gpuE5ELNS1_3repE0EEENS1_52radix_sort_onesweep_histogram_config_static_selectorELNS0_4arch9wavefront6targetE0EEEvSL_, .Lfunc_end145-_ZN7rocprim17ROCPRIM_400000_NS6detail17trampoline_kernelINS0_14default_configENS1_35radix_sort_onesweep_config_selectorIjN6thrust23THRUST_200600_302600_NS5tupleIffNS6_9null_typeES8_S8_S8_S8_S8_S8_S8_EEEEZNS1_34radix_sort_onesweep_global_offsetsIS3_Lb0ENS6_6detail15normal_iteratorINS6_10device_ptrIjEEEENSD_INSE_IS9_EEEEjNS0_19identity_decomposerEEE10hipError_tT1_T2_PT3_SN_jT4_jjP12ihipStream_tbEUlT_E_NS1_11comp_targetILNS1_3genE10ELNS1_11target_archE1201ELNS1_3gpuE5ELNS1_3repE0EEENS1_52radix_sort_onesweep_histogram_config_static_selectorELNS0_4arch9wavefront6targetE0EEEvSL_
                                        ; -- End function
	.set _ZN7rocprim17ROCPRIM_400000_NS6detail17trampoline_kernelINS0_14default_configENS1_35radix_sort_onesweep_config_selectorIjN6thrust23THRUST_200600_302600_NS5tupleIffNS6_9null_typeES8_S8_S8_S8_S8_S8_S8_EEEEZNS1_34radix_sort_onesweep_global_offsetsIS3_Lb0ENS6_6detail15normal_iteratorINS6_10device_ptrIjEEEENSD_INSE_IS9_EEEEjNS0_19identity_decomposerEEE10hipError_tT1_T2_PT3_SN_jT4_jjP12ihipStream_tbEUlT_E_NS1_11comp_targetILNS1_3genE10ELNS1_11target_archE1201ELNS1_3gpuE5ELNS1_3repE0EEENS1_52radix_sort_onesweep_histogram_config_static_selectorELNS0_4arch9wavefront6targetE0EEEvSL_.num_vgpr, 35
	.set _ZN7rocprim17ROCPRIM_400000_NS6detail17trampoline_kernelINS0_14default_configENS1_35radix_sort_onesweep_config_selectorIjN6thrust23THRUST_200600_302600_NS5tupleIffNS6_9null_typeES8_S8_S8_S8_S8_S8_S8_EEEEZNS1_34radix_sort_onesweep_global_offsetsIS3_Lb0ENS6_6detail15normal_iteratorINS6_10device_ptrIjEEEENSD_INSE_IS9_EEEEjNS0_19identity_decomposerEEE10hipError_tT1_T2_PT3_SN_jT4_jjP12ihipStream_tbEUlT_E_NS1_11comp_targetILNS1_3genE10ELNS1_11target_archE1201ELNS1_3gpuE5ELNS1_3repE0EEENS1_52radix_sort_onesweep_histogram_config_static_selectorELNS0_4arch9wavefront6targetE0EEEvSL_.num_agpr, 0
	.set _ZN7rocprim17ROCPRIM_400000_NS6detail17trampoline_kernelINS0_14default_configENS1_35radix_sort_onesweep_config_selectorIjN6thrust23THRUST_200600_302600_NS5tupleIffNS6_9null_typeES8_S8_S8_S8_S8_S8_S8_EEEEZNS1_34radix_sort_onesweep_global_offsetsIS3_Lb0ENS6_6detail15normal_iteratorINS6_10device_ptrIjEEEENSD_INSE_IS9_EEEEjNS0_19identity_decomposerEEE10hipError_tT1_T2_PT3_SN_jT4_jjP12ihipStream_tbEUlT_E_NS1_11comp_targetILNS1_3genE10ELNS1_11target_archE1201ELNS1_3gpuE5ELNS1_3repE0EEENS1_52radix_sort_onesweep_histogram_config_static_selectorELNS0_4arch9wavefront6targetE0EEEvSL_.numbered_sgpr, 14
	.set _ZN7rocprim17ROCPRIM_400000_NS6detail17trampoline_kernelINS0_14default_configENS1_35radix_sort_onesweep_config_selectorIjN6thrust23THRUST_200600_302600_NS5tupleIffNS6_9null_typeES8_S8_S8_S8_S8_S8_S8_EEEEZNS1_34radix_sort_onesweep_global_offsetsIS3_Lb0ENS6_6detail15normal_iteratorINS6_10device_ptrIjEEEENSD_INSE_IS9_EEEEjNS0_19identity_decomposerEEE10hipError_tT1_T2_PT3_SN_jT4_jjP12ihipStream_tbEUlT_E_NS1_11comp_targetILNS1_3genE10ELNS1_11target_archE1201ELNS1_3gpuE5ELNS1_3repE0EEENS1_52radix_sort_onesweep_histogram_config_static_selectorELNS0_4arch9wavefront6targetE0EEEvSL_.num_named_barrier, 0
	.set _ZN7rocprim17ROCPRIM_400000_NS6detail17trampoline_kernelINS0_14default_configENS1_35radix_sort_onesweep_config_selectorIjN6thrust23THRUST_200600_302600_NS5tupleIffNS6_9null_typeES8_S8_S8_S8_S8_S8_S8_EEEEZNS1_34radix_sort_onesweep_global_offsetsIS3_Lb0ENS6_6detail15normal_iteratorINS6_10device_ptrIjEEEENSD_INSE_IS9_EEEEjNS0_19identity_decomposerEEE10hipError_tT1_T2_PT3_SN_jT4_jjP12ihipStream_tbEUlT_E_NS1_11comp_targetILNS1_3genE10ELNS1_11target_archE1201ELNS1_3gpuE5ELNS1_3repE0EEENS1_52radix_sort_onesweep_histogram_config_static_selectorELNS0_4arch9wavefront6targetE0EEEvSL_.private_seg_size, 0
	.set _ZN7rocprim17ROCPRIM_400000_NS6detail17trampoline_kernelINS0_14default_configENS1_35radix_sort_onesweep_config_selectorIjN6thrust23THRUST_200600_302600_NS5tupleIffNS6_9null_typeES8_S8_S8_S8_S8_S8_S8_EEEEZNS1_34radix_sort_onesweep_global_offsetsIS3_Lb0ENS6_6detail15normal_iteratorINS6_10device_ptrIjEEEENSD_INSE_IS9_EEEEjNS0_19identity_decomposerEEE10hipError_tT1_T2_PT3_SN_jT4_jjP12ihipStream_tbEUlT_E_NS1_11comp_targetILNS1_3genE10ELNS1_11target_archE1201ELNS1_3gpuE5ELNS1_3repE0EEENS1_52radix_sort_onesweep_histogram_config_static_selectorELNS0_4arch9wavefront6targetE0EEEvSL_.uses_vcc, 1
	.set _ZN7rocprim17ROCPRIM_400000_NS6detail17trampoline_kernelINS0_14default_configENS1_35radix_sort_onesweep_config_selectorIjN6thrust23THRUST_200600_302600_NS5tupleIffNS6_9null_typeES8_S8_S8_S8_S8_S8_S8_EEEEZNS1_34radix_sort_onesweep_global_offsetsIS3_Lb0ENS6_6detail15normal_iteratorINS6_10device_ptrIjEEEENSD_INSE_IS9_EEEEjNS0_19identity_decomposerEEE10hipError_tT1_T2_PT3_SN_jT4_jjP12ihipStream_tbEUlT_E_NS1_11comp_targetILNS1_3genE10ELNS1_11target_archE1201ELNS1_3gpuE5ELNS1_3repE0EEENS1_52radix_sort_onesweep_histogram_config_static_selectorELNS0_4arch9wavefront6targetE0EEEvSL_.uses_flat_scratch, 0
	.set _ZN7rocprim17ROCPRIM_400000_NS6detail17trampoline_kernelINS0_14default_configENS1_35radix_sort_onesweep_config_selectorIjN6thrust23THRUST_200600_302600_NS5tupleIffNS6_9null_typeES8_S8_S8_S8_S8_S8_S8_EEEEZNS1_34radix_sort_onesweep_global_offsetsIS3_Lb0ENS6_6detail15normal_iteratorINS6_10device_ptrIjEEEENSD_INSE_IS9_EEEEjNS0_19identity_decomposerEEE10hipError_tT1_T2_PT3_SN_jT4_jjP12ihipStream_tbEUlT_E_NS1_11comp_targetILNS1_3genE10ELNS1_11target_archE1201ELNS1_3gpuE5ELNS1_3repE0EEENS1_52radix_sort_onesweep_histogram_config_static_selectorELNS0_4arch9wavefront6targetE0EEEvSL_.has_dyn_sized_stack, 0
	.set _ZN7rocprim17ROCPRIM_400000_NS6detail17trampoline_kernelINS0_14default_configENS1_35radix_sort_onesweep_config_selectorIjN6thrust23THRUST_200600_302600_NS5tupleIffNS6_9null_typeES8_S8_S8_S8_S8_S8_S8_EEEEZNS1_34radix_sort_onesweep_global_offsetsIS3_Lb0ENS6_6detail15normal_iteratorINS6_10device_ptrIjEEEENSD_INSE_IS9_EEEEjNS0_19identity_decomposerEEE10hipError_tT1_T2_PT3_SN_jT4_jjP12ihipStream_tbEUlT_E_NS1_11comp_targetILNS1_3genE10ELNS1_11target_archE1201ELNS1_3gpuE5ELNS1_3repE0EEENS1_52radix_sort_onesweep_histogram_config_static_selectorELNS0_4arch9wavefront6targetE0EEEvSL_.has_recursion, 0
	.set _ZN7rocprim17ROCPRIM_400000_NS6detail17trampoline_kernelINS0_14default_configENS1_35radix_sort_onesweep_config_selectorIjN6thrust23THRUST_200600_302600_NS5tupleIffNS6_9null_typeES8_S8_S8_S8_S8_S8_S8_EEEEZNS1_34radix_sort_onesweep_global_offsetsIS3_Lb0ENS6_6detail15normal_iteratorINS6_10device_ptrIjEEEENSD_INSE_IS9_EEEEjNS0_19identity_decomposerEEE10hipError_tT1_T2_PT3_SN_jT4_jjP12ihipStream_tbEUlT_E_NS1_11comp_targetILNS1_3genE10ELNS1_11target_archE1201ELNS1_3gpuE5ELNS1_3repE0EEENS1_52radix_sort_onesweep_histogram_config_static_selectorELNS0_4arch9wavefront6targetE0EEEvSL_.has_indirect_call, 0
	.section	.AMDGPU.csdata,"",@progbits
; Kernel info:
; codeLenInByte = 16660
; TotalNumSgprs: 16
; NumVgprs: 35
; ScratchSize: 0
; MemoryBound: 0
; FloatMode: 240
; IeeeMode: 1
; LDSByteSize: 16384 bytes/workgroup (compile time only)
; SGPRBlocks: 0
; VGPRBlocks: 4
; NumSGPRsForWavesPerEU: 16
; NumVGPRsForWavesPerEU: 35
; Occupancy: 16
; WaveLimiterHint : 1
; COMPUTE_PGM_RSRC2:SCRATCH_EN: 0
; COMPUTE_PGM_RSRC2:USER_SGPR: 2
; COMPUTE_PGM_RSRC2:TRAP_HANDLER: 0
; COMPUTE_PGM_RSRC2:TGID_X_EN: 1
; COMPUTE_PGM_RSRC2:TGID_Y_EN: 0
; COMPUTE_PGM_RSRC2:TGID_Z_EN: 0
; COMPUTE_PGM_RSRC2:TIDIG_COMP_CNT: 0
	.section	.text._ZN7rocprim17ROCPRIM_400000_NS6detail17trampoline_kernelINS0_14default_configENS1_35radix_sort_onesweep_config_selectorIjN6thrust23THRUST_200600_302600_NS5tupleIffNS6_9null_typeES8_S8_S8_S8_S8_S8_S8_EEEEZNS1_34radix_sort_onesweep_global_offsetsIS3_Lb0ENS6_6detail15normal_iteratorINS6_10device_ptrIjEEEENSD_INSE_IS9_EEEEjNS0_19identity_decomposerEEE10hipError_tT1_T2_PT3_SN_jT4_jjP12ihipStream_tbEUlT_E_NS1_11comp_targetILNS1_3genE9ELNS1_11target_archE1100ELNS1_3gpuE3ELNS1_3repE0EEENS1_52radix_sort_onesweep_histogram_config_static_selectorELNS0_4arch9wavefront6targetE0EEEvSL_,"axG",@progbits,_ZN7rocprim17ROCPRIM_400000_NS6detail17trampoline_kernelINS0_14default_configENS1_35radix_sort_onesweep_config_selectorIjN6thrust23THRUST_200600_302600_NS5tupleIffNS6_9null_typeES8_S8_S8_S8_S8_S8_S8_EEEEZNS1_34radix_sort_onesweep_global_offsetsIS3_Lb0ENS6_6detail15normal_iteratorINS6_10device_ptrIjEEEENSD_INSE_IS9_EEEEjNS0_19identity_decomposerEEE10hipError_tT1_T2_PT3_SN_jT4_jjP12ihipStream_tbEUlT_E_NS1_11comp_targetILNS1_3genE9ELNS1_11target_archE1100ELNS1_3gpuE3ELNS1_3repE0EEENS1_52radix_sort_onesweep_histogram_config_static_selectorELNS0_4arch9wavefront6targetE0EEEvSL_,comdat
	.protected	_ZN7rocprim17ROCPRIM_400000_NS6detail17trampoline_kernelINS0_14default_configENS1_35radix_sort_onesweep_config_selectorIjN6thrust23THRUST_200600_302600_NS5tupleIffNS6_9null_typeES8_S8_S8_S8_S8_S8_S8_EEEEZNS1_34radix_sort_onesweep_global_offsetsIS3_Lb0ENS6_6detail15normal_iteratorINS6_10device_ptrIjEEEENSD_INSE_IS9_EEEEjNS0_19identity_decomposerEEE10hipError_tT1_T2_PT3_SN_jT4_jjP12ihipStream_tbEUlT_E_NS1_11comp_targetILNS1_3genE9ELNS1_11target_archE1100ELNS1_3gpuE3ELNS1_3repE0EEENS1_52radix_sort_onesweep_histogram_config_static_selectorELNS0_4arch9wavefront6targetE0EEEvSL_ ; -- Begin function _ZN7rocprim17ROCPRIM_400000_NS6detail17trampoline_kernelINS0_14default_configENS1_35radix_sort_onesweep_config_selectorIjN6thrust23THRUST_200600_302600_NS5tupleIffNS6_9null_typeES8_S8_S8_S8_S8_S8_S8_EEEEZNS1_34radix_sort_onesweep_global_offsetsIS3_Lb0ENS6_6detail15normal_iteratorINS6_10device_ptrIjEEEENSD_INSE_IS9_EEEEjNS0_19identity_decomposerEEE10hipError_tT1_T2_PT3_SN_jT4_jjP12ihipStream_tbEUlT_E_NS1_11comp_targetILNS1_3genE9ELNS1_11target_archE1100ELNS1_3gpuE3ELNS1_3repE0EEENS1_52radix_sort_onesweep_histogram_config_static_selectorELNS0_4arch9wavefront6targetE0EEEvSL_
	.globl	_ZN7rocprim17ROCPRIM_400000_NS6detail17trampoline_kernelINS0_14default_configENS1_35radix_sort_onesweep_config_selectorIjN6thrust23THRUST_200600_302600_NS5tupleIffNS6_9null_typeES8_S8_S8_S8_S8_S8_S8_EEEEZNS1_34radix_sort_onesweep_global_offsetsIS3_Lb0ENS6_6detail15normal_iteratorINS6_10device_ptrIjEEEENSD_INSE_IS9_EEEEjNS0_19identity_decomposerEEE10hipError_tT1_T2_PT3_SN_jT4_jjP12ihipStream_tbEUlT_E_NS1_11comp_targetILNS1_3genE9ELNS1_11target_archE1100ELNS1_3gpuE3ELNS1_3repE0EEENS1_52radix_sort_onesweep_histogram_config_static_selectorELNS0_4arch9wavefront6targetE0EEEvSL_
	.p2align	8
	.type	_ZN7rocprim17ROCPRIM_400000_NS6detail17trampoline_kernelINS0_14default_configENS1_35radix_sort_onesweep_config_selectorIjN6thrust23THRUST_200600_302600_NS5tupleIffNS6_9null_typeES8_S8_S8_S8_S8_S8_S8_EEEEZNS1_34radix_sort_onesweep_global_offsetsIS3_Lb0ENS6_6detail15normal_iteratorINS6_10device_ptrIjEEEENSD_INSE_IS9_EEEEjNS0_19identity_decomposerEEE10hipError_tT1_T2_PT3_SN_jT4_jjP12ihipStream_tbEUlT_E_NS1_11comp_targetILNS1_3genE9ELNS1_11target_archE1100ELNS1_3gpuE3ELNS1_3repE0EEENS1_52radix_sort_onesweep_histogram_config_static_selectorELNS0_4arch9wavefront6targetE0EEEvSL_,@function
_ZN7rocprim17ROCPRIM_400000_NS6detail17trampoline_kernelINS0_14default_configENS1_35radix_sort_onesweep_config_selectorIjN6thrust23THRUST_200600_302600_NS5tupleIffNS6_9null_typeES8_S8_S8_S8_S8_S8_S8_EEEEZNS1_34radix_sort_onesweep_global_offsetsIS3_Lb0ENS6_6detail15normal_iteratorINS6_10device_ptrIjEEEENSD_INSE_IS9_EEEEjNS0_19identity_decomposerEEE10hipError_tT1_T2_PT3_SN_jT4_jjP12ihipStream_tbEUlT_E_NS1_11comp_targetILNS1_3genE9ELNS1_11target_archE1100ELNS1_3gpuE3ELNS1_3repE0EEENS1_52radix_sort_onesweep_histogram_config_static_selectorELNS0_4arch9wavefront6targetE0EEEvSL_: ; @_ZN7rocprim17ROCPRIM_400000_NS6detail17trampoline_kernelINS0_14default_configENS1_35radix_sort_onesweep_config_selectorIjN6thrust23THRUST_200600_302600_NS5tupleIffNS6_9null_typeES8_S8_S8_S8_S8_S8_S8_EEEEZNS1_34radix_sort_onesweep_global_offsetsIS3_Lb0ENS6_6detail15normal_iteratorINS6_10device_ptrIjEEEENSD_INSE_IS9_EEEEjNS0_19identity_decomposerEEE10hipError_tT1_T2_PT3_SN_jT4_jjP12ihipStream_tbEUlT_E_NS1_11comp_targetILNS1_3genE9ELNS1_11target_archE1100ELNS1_3gpuE3ELNS1_3repE0EEENS1_52radix_sort_onesweep_histogram_config_static_selectorELNS0_4arch9wavefront6targetE0EEEvSL_
; %bb.0:
	.section	.rodata,"a",@progbits
	.p2align	6, 0x0
	.amdhsa_kernel _ZN7rocprim17ROCPRIM_400000_NS6detail17trampoline_kernelINS0_14default_configENS1_35radix_sort_onesweep_config_selectorIjN6thrust23THRUST_200600_302600_NS5tupleIffNS6_9null_typeES8_S8_S8_S8_S8_S8_S8_EEEEZNS1_34radix_sort_onesweep_global_offsetsIS3_Lb0ENS6_6detail15normal_iteratorINS6_10device_ptrIjEEEENSD_INSE_IS9_EEEEjNS0_19identity_decomposerEEE10hipError_tT1_T2_PT3_SN_jT4_jjP12ihipStream_tbEUlT_E_NS1_11comp_targetILNS1_3genE9ELNS1_11target_archE1100ELNS1_3gpuE3ELNS1_3repE0EEENS1_52radix_sort_onesweep_histogram_config_static_selectorELNS0_4arch9wavefront6targetE0EEEvSL_
		.amdhsa_group_segment_fixed_size 0
		.amdhsa_private_segment_fixed_size 0
		.amdhsa_kernarg_size 40
		.amdhsa_user_sgpr_count 2
		.amdhsa_user_sgpr_dispatch_ptr 0
		.amdhsa_user_sgpr_queue_ptr 0
		.amdhsa_user_sgpr_kernarg_segment_ptr 1
		.amdhsa_user_sgpr_dispatch_id 0
		.amdhsa_user_sgpr_private_segment_size 0
		.amdhsa_wavefront_size32 1
		.amdhsa_uses_dynamic_stack 0
		.amdhsa_enable_private_segment 0
		.amdhsa_system_sgpr_workgroup_id_x 1
		.amdhsa_system_sgpr_workgroup_id_y 0
		.amdhsa_system_sgpr_workgroup_id_z 0
		.amdhsa_system_sgpr_workgroup_info 0
		.amdhsa_system_vgpr_workitem_id 0
		.amdhsa_next_free_vgpr 1
		.amdhsa_next_free_sgpr 1
		.amdhsa_reserve_vcc 0
		.amdhsa_float_round_mode_32 0
		.amdhsa_float_round_mode_16_64 0
		.amdhsa_float_denorm_mode_32 3
		.amdhsa_float_denorm_mode_16_64 3
		.amdhsa_fp16_overflow 0
		.amdhsa_workgroup_processor_mode 1
		.amdhsa_memory_ordered 1
		.amdhsa_forward_progress 1
		.amdhsa_inst_pref_size 0
		.amdhsa_round_robin_scheduling 0
		.amdhsa_exception_fp_ieee_invalid_op 0
		.amdhsa_exception_fp_denorm_src 0
		.amdhsa_exception_fp_ieee_div_zero 0
		.amdhsa_exception_fp_ieee_overflow 0
		.amdhsa_exception_fp_ieee_underflow 0
		.amdhsa_exception_fp_ieee_inexact 0
		.amdhsa_exception_int_div_zero 0
	.end_amdhsa_kernel
	.section	.text._ZN7rocprim17ROCPRIM_400000_NS6detail17trampoline_kernelINS0_14default_configENS1_35radix_sort_onesweep_config_selectorIjN6thrust23THRUST_200600_302600_NS5tupleIffNS6_9null_typeES8_S8_S8_S8_S8_S8_S8_EEEEZNS1_34radix_sort_onesweep_global_offsetsIS3_Lb0ENS6_6detail15normal_iteratorINS6_10device_ptrIjEEEENSD_INSE_IS9_EEEEjNS0_19identity_decomposerEEE10hipError_tT1_T2_PT3_SN_jT4_jjP12ihipStream_tbEUlT_E_NS1_11comp_targetILNS1_3genE9ELNS1_11target_archE1100ELNS1_3gpuE3ELNS1_3repE0EEENS1_52radix_sort_onesweep_histogram_config_static_selectorELNS0_4arch9wavefront6targetE0EEEvSL_,"axG",@progbits,_ZN7rocprim17ROCPRIM_400000_NS6detail17trampoline_kernelINS0_14default_configENS1_35radix_sort_onesweep_config_selectorIjN6thrust23THRUST_200600_302600_NS5tupleIffNS6_9null_typeES8_S8_S8_S8_S8_S8_S8_EEEEZNS1_34radix_sort_onesweep_global_offsetsIS3_Lb0ENS6_6detail15normal_iteratorINS6_10device_ptrIjEEEENSD_INSE_IS9_EEEEjNS0_19identity_decomposerEEE10hipError_tT1_T2_PT3_SN_jT4_jjP12ihipStream_tbEUlT_E_NS1_11comp_targetILNS1_3genE9ELNS1_11target_archE1100ELNS1_3gpuE3ELNS1_3repE0EEENS1_52radix_sort_onesweep_histogram_config_static_selectorELNS0_4arch9wavefront6targetE0EEEvSL_,comdat
.Lfunc_end146:
	.size	_ZN7rocprim17ROCPRIM_400000_NS6detail17trampoline_kernelINS0_14default_configENS1_35radix_sort_onesweep_config_selectorIjN6thrust23THRUST_200600_302600_NS5tupleIffNS6_9null_typeES8_S8_S8_S8_S8_S8_S8_EEEEZNS1_34radix_sort_onesweep_global_offsetsIS3_Lb0ENS6_6detail15normal_iteratorINS6_10device_ptrIjEEEENSD_INSE_IS9_EEEEjNS0_19identity_decomposerEEE10hipError_tT1_T2_PT3_SN_jT4_jjP12ihipStream_tbEUlT_E_NS1_11comp_targetILNS1_3genE9ELNS1_11target_archE1100ELNS1_3gpuE3ELNS1_3repE0EEENS1_52radix_sort_onesweep_histogram_config_static_selectorELNS0_4arch9wavefront6targetE0EEEvSL_, .Lfunc_end146-_ZN7rocprim17ROCPRIM_400000_NS6detail17trampoline_kernelINS0_14default_configENS1_35radix_sort_onesweep_config_selectorIjN6thrust23THRUST_200600_302600_NS5tupleIffNS6_9null_typeES8_S8_S8_S8_S8_S8_S8_EEEEZNS1_34radix_sort_onesweep_global_offsetsIS3_Lb0ENS6_6detail15normal_iteratorINS6_10device_ptrIjEEEENSD_INSE_IS9_EEEEjNS0_19identity_decomposerEEE10hipError_tT1_T2_PT3_SN_jT4_jjP12ihipStream_tbEUlT_E_NS1_11comp_targetILNS1_3genE9ELNS1_11target_archE1100ELNS1_3gpuE3ELNS1_3repE0EEENS1_52radix_sort_onesweep_histogram_config_static_selectorELNS0_4arch9wavefront6targetE0EEEvSL_
                                        ; -- End function
	.set _ZN7rocprim17ROCPRIM_400000_NS6detail17trampoline_kernelINS0_14default_configENS1_35radix_sort_onesweep_config_selectorIjN6thrust23THRUST_200600_302600_NS5tupleIffNS6_9null_typeES8_S8_S8_S8_S8_S8_S8_EEEEZNS1_34radix_sort_onesweep_global_offsetsIS3_Lb0ENS6_6detail15normal_iteratorINS6_10device_ptrIjEEEENSD_INSE_IS9_EEEEjNS0_19identity_decomposerEEE10hipError_tT1_T2_PT3_SN_jT4_jjP12ihipStream_tbEUlT_E_NS1_11comp_targetILNS1_3genE9ELNS1_11target_archE1100ELNS1_3gpuE3ELNS1_3repE0EEENS1_52radix_sort_onesweep_histogram_config_static_selectorELNS0_4arch9wavefront6targetE0EEEvSL_.num_vgpr, 0
	.set _ZN7rocprim17ROCPRIM_400000_NS6detail17trampoline_kernelINS0_14default_configENS1_35radix_sort_onesweep_config_selectorIjN6thrust23THRUST_200600_302600_NS5tupleIffNS6_9null_typeES8_S8_S8_S8_S8_S8_S8_EEEEZNS1_34radix_sort_onesweep_global_offsetsIS3_Lb0ENS6_6detail15normal_iteratorINS6_10device_ptrIjEEEENSD_INSE_IS9_EEEEjNS0_19identity_decomposerEEE10hipError_tT1_T2_PT3_SN_jT4_jjP12ihipStream_tbEUlT_E_NS1_11comp_targetILNS1_3genE9ELNS1_11target_archE1100ELNS1_3gpuE3ELNS1_3repE0EEENS1_52radix_sort_onesweep_histogram_config_static_selectorELNS0_4arch9wavefront6targetE0EEEvSL_.num_agpr, 0
	.set _ZN7rocprim17ROCPRIM_400000_NS6detail17trampoline_kernelINS0_14default_configENS1_35radix_sort_onesweep_config_selectorIjN6thrust23THRUST_200600_302600_NS5tupleIffNS6_9null_typeES8_S8_S8_S8_S8_S8_S8_EEEEZNS1_34radix_sort_onesweep_global_offsetsIS3_Lb0ENS6_6detail15normal_iteratorINS6_10device_ptrIjEEEENSD_INSE_IS9_EEEEjNS0_19identity_decomposerEEE10hipError_tT1_T2_PT3_SN_jT4_jjP12ihipStream_tbEUlT_E_NS1_11comp_targetILNS1_3genE9ELNS1_11target_archE1100ELNS1_3gpuE3ELNS1_3repE0EEENS1_52radix_sort_onesweep_histogram_config_static_selectorELNS0_4arch9wavefront6targetE0EEEvSL_.numbered_sgpr, 0
	.set _ZN7rocprim17ROCPRIM_400000_NS6detail17trampoline_kernelINS0_14default_configENS1_35radix_sort_onesweep_config_selectorIjN6thrust23THRUST_200600_302600_NS5tupleIffNS6_9null_typeES8_S8_S8_S8_S8_S8_S8_EEEEZNS1_34radix_sort_onesweep_global_offsetsIS3_Lb0ENS6_6detail15normal_iteratorINS6_10device_ptrIjEEEENSD_INSE_IS9_EEEEjNS0_19identity_decomposerEEE10hipError_tT1_T2_PT3_SN_jT4_jjP12ihipStream_tbEUlT_E_NS1_11comp_targetILNS1_3genE9ELNS1_11target_archE1100ELNS1_3gpuE3ELNS1_3repE0EEENS1_52radix_sort_onesweep_histogram_config_static_selectorELNS0_4arch9wavefront6targetE0EEEvSL_.num_named_barrier, 0
	.set _ZN7rocprim17ROCPRIM_400000_NS6detail17trampoline_kernelINS0_14default_configENS1_35radix_sort_onesweep_config_selectorIjN6thrust23THRUST_200600_302600_NS5tupleIffNS6_9null_typeES8_S8_S8_S8_S8_S8_S8_EEEEZNS1_34radix_sort_onesweep_global_offsetsIS3_Lb0ENS6_6detail15normal_iteratorINS6_10device_ptrIjEEEENSD_INSE_IS9_EEEEjNS0_19identity_decomposerEEE10hipError_tT1_T2_PT3_SN_jT4_jjP12ihipStream_tbEUlT_E_NS1_11comp_targetILNS1_3genE9ELNS1_11target_archE1100ELNS1_3gpuE3ELNS1_3repE0EEENS1_52radix_sort_onesweep_histogram_config_static_selectorELNS0_4arch9wavefront6targetE0EEEvSL_.private_seg_size, 0
	.set _ZN7rocprim17ROCPRIM_400000_NS6detail17trampoline_kernelINS0_14default_configENS1_35radix_sort_onesweep_config_selectorIjN6thrust23THRUST_200600_302600_NS5tupleIffNS6_9null_typeES8_S8_S8_S8_S8_S8_S8_EEEEZNS1_34radix_sort_onesweep_global_offsetsIS3_Lb0ENS6_6detail15normal_iteratorINS6_10device_ptrIjEEEENSD_INSE_IS9_EEEEjNS0_19identity_decomposerEEE10hipError_tT1_T2_PT3_SN_jT4_jjP12ihipStream_tbEUlT_E_NS1_11comp_targetILNS1_3genE9ELNS1_11target_archE1100ELNS1_3gpuE3ELNS1_3repE0EEENS1_52radix_sort_onesweep_histogram_config_static_selectorELNS0_4arch9wavefront6targetE0EEEvSL_.uses_vcc, 0
	.set _ZN7rocprim17ROCPRIM_400000_NS6detail17trampoline_kernelINS0_14default_configENS1_35radix_sort_onesweep_config_selectorIjN6thrust23THRUST_200600_302600_NS5tupleIffNS6_9null_typeES8_S8_S8_S8_S8_S8_S8_EEEEZNS1_34radix_sort_onesweep_global_offsetsIS3_Lb0ENS6_6detail15normal_iteratorINS6_10device_ptrIjEEEENSD_INSE_IS9_EEEEjNS0_19identity_decomposerEEE10hipError_tT1_T2_PT3_SN_jT4_jjP12ihipStream_tbEUlT_E_NS1_11comp_targetILNS1_3genE9ELNS1_11target_archE1100ELNS1_3gpuE3ELNS1_3repE0EEENS1_52radix_sort_onesweep_histogram_config_static_selectorELNS0_4arch9wavefront6targetE0EEEvSL_.uses_flat_scratch, 0
	.set _ZN7rocprim17ROCPRIM_400000_NS6detail17trampoline_kernelINS0_14default_configENS1_35radix_sort_onesweep_config_selectorIjN6thrust23THRUST_200600_302600_NS5tupleIffNS6_9null_typeES8_S8_S8_S8_S8_S8_S8_EEEEZNS1_34radix_sort_onesweep_global_offsetsIS3_Lb0ENS6_6detail15normal_iteratorINS6_10device_ptrIjEEEENSD_INSE_IS9_EEEEjNS0_19identity_decomposerEEE10hipError_tT1_T2_PT3_SN_jT4_jjP12ihipStream_tbEUlT_E_NS1_11comp_targetILNS1_3genE9ELNS1_11target_archE1100ELNS1_3gpuE3ELNS1_3repE0EEENS1_52radix_sort_onesweep_histogram_config_static_selectorELNS0_4arch9wavefront6targetE0EEEvSL_.has_dyn_sized_stack, 0
	.set _ZN7rocprim17ROCPRIM_400000_NS6detail17trampoline_kernelINS0_14default_configENS1_35radix_sort_onesweep_config_selectorIjN6thrust23THRUST_200600_302600_NS5tupleIffNS6_9null_typeES8_S8_S8_S8_S8_S8_S8_EEEEZNS1_34radix_sort_onesweep_global_offsetsIS3_Lb0ENS6_6detail15normal_iteratorINS6_10device_ptrIjEEEENSD_INSE_IS9_EEEEjNS0_19identity_decomposerEEE10hipError_tT1_T2_PT3_SN_jT4_jjP12ihipStream_tbEUlT_E_NS1_11comp_targetILNS1_3genE9ELNS1_11target_archE1100ELNS1_3gpuE3ELNS1_3repE0EEENS1_52radix_sort_onesweep_histogram_config_static_selectorELNS0_4arch9wavefront6targetE0EEEvSL_.has_recursion, 0
	.set _ZN7rocprim17ROCPRIM_400000_NS6detail17trampoline_kernelINS0_14default_configENS1_35radix_sort_onesweep_config_selectorIjN6thrust23THRUST_200600_302600_NS5tupleIffNS6_9null_typeES8_S8_S8_S8_S8_S8_S8_EEEEZNS1_34radix_sort_onesweep_global_offsetsIS3_Lb0ENS6_6detail15normal_iteratorINS6_10device_ptrIjEEEENSD_INSE_IS9_EEEEjNS0_19identity_decomposerEEE10hipError_tT1_T2_PT3_SN_jT4_jjP12ihipStream_tbEUlT_E_NS1_11comp_targetILNS1_3genE9ELNS1_11target_archE1100ELNS1_3gpuE3ELNS1_3repE0EEENS1_52radix_sort_onesweep_histogram_config_static_selectorELNS0_4arch9wavefront6targetE0EEEvSL_.has_indirect_call, 0
	.section	.AMDGPU.csdata,"",@progbits
; Kernel info:
; codeLenInByte = 0
; TotalNumSgprs: 0
; NumVgprs: 0
; ScratchSize: 0
; MemoryBound: 0
; FloatMode: 240
; IeeeMode: 1
; LDSByteSize: 0 bytes/workgroup (compile time only)
; SGPRBlocks: 0
; VGPRBlocks: 0
; NumSGPRsForWavesPerEU: 1
; NumVGPRsForWavesPerEU: 1
; Occupancy: 16
; WaveLimiterHint : 0
; COMPUTE_PGM_RSRC2:SCRATCH_EN: 0
; COMPUTE_PGM_RSRC2:USER_SGPR: 2
; COMPUTE_PGM_RSRC2:TRAP_HANDLER: 0
; COMPUTE_PGM_RSRC2:TGID_X_EN: 1
; COMPUTE_PGM_RSRC2:TGID_Y_EN: 0
; COMPUTE_PGM_RSRC2:TGID_Z_EN: 0
; COMPUTE_PGM_RSRC2:TIDIG_COMP_CNT: 0
	.section	.text._ZN7rocprim17ROCPRIM_400000_NS6detail17trampoline_kernelINS0_14default_configENS1_35radix_sort_onesweep_config_selectorIjN6thrust23THRUST_200600_302600_NS5tupleIffNS6_9null_typeES8_S8_S8_S8_S8_S8_S8_EEEEZNS1_34radix_sort_onesweep_global_offsetsIS3_Lb0ENS6_6detail15normal_iteratorINS6_10device_ptrIjEEEENSD_INSE_IS9_EEEEjNS0_19identity_decomposerEEE10hipError_tT1_T2_PT3_SN_jT4_jjP12ihipStream_tbEUlT_E_NS1_11comp_targetILNS1_3genE8ELNS1_11target_archE1030ELNS1_3gpuE2ELNS1_3repE0EEENS1_52radix_sort_onesweep_histogram_config_static_selectorELNS0_4arch9wavefront6targetE0EEEvSL_,"axG",@progbits,_ZN7rocprim17ROCPRIM_400000_NS6detail17trampoline_kernelINS0_14default_configENS1_35radix_sort_onesweep_config_selectorIjN6thrust23THRUST_200600_302600_NS5tupleIffNS6_9null_typeES8_S8_S8_S8_S8_S8_S8_EEEEZNS1_34radix_sort_onesweep_global_offsetsIS3_Lb0ENS6_6detail15normal_iteratorINS6_10device_ptrIjEEEENSD_INSE_IS9_EEEEjNS0_19identity_decomposerEEE10hipError_tT1_T2_PT3_SN_jT4_jjP12ihipStream_tbEUlT_E_NS1_11comp_targetILNS1_3genE8ELNS1_11target_archE1030ELNS1_3gpuE2ELNS1_3repE0EEENS1_52radix_sort_onesweep_histogram_config_static_selectorELNS0_4arch9wavefront6targetE0EEEvSL_,comdat
	.protected	_ZN7rocprim17ROCPRIM_400000_NS6detail17trampoline_kernelINS0_14default_configENS1_35radix_sort_onesweep_config_selectorIjN6thrust23THRUST_200600_302600_NS5tupleIffNS6_9null_typeES8_S8_S8_S8_S8_S8_S8_EEEEZNS1_34radix_sort_onesweep_global_offsetsIS3_Lb0ENS6_6detail15normal_iteratorINS6_10device_ptrIjEEEENSD_INSE_IS9_EEEEjNS0_19identity_decomposerEEE10hipError_tT1_T2_PT3_SN_jT4_jjP12ihipStream_tbEUlT_E_NS1_11comp_targetILNS1_3genE8ELNS1_11target_archE1030ELNS1_3gpuE2ELNS1_3repE0EEENS1_52radix_sort_onesweep_histogram_config_static_selectorELNS0_4arch9wavefront6targetE0EEEvSL_ ; -- Begin function _ZN7rocprim17ROCPRIM_400000_NS6detail17trampoline_kernelINS0_14default_configENS1_35radix_sort_onesweep_config_selectorIjN6thrust23THRUST_200600_302600_NS5tupleIffNS6_9null_typeES8_S8_S8_S8_S8_S8_S8_EEEEZNS1_34radix_sort_onesweep_global_offsetsIS3_Lb0ENS6_6detail15normal_iteratorINS6_10device_ptrIjEEEENSD_INSE_IS9_EEEEjNS0_19identity_decomposerEEE10hipError_tT1_T2_PT3_SN_jT4_jjP12ihipStream_tbEUlT_E_NS1_11comp_targetILNS1_3genE8ELNS1_11target_archE1030ELNS1_3gpuE2ELNS1_3repE0EEENS1_52radix_sort_onesweep_histogram_config_static_selectorELNS0_4arch9wavefront6targetE0EEEvSL_
	.globl	_ZN7rocprim17ROCPRIM_400000_NS6detail17trampoline_kernelINS0_14default_configENS1_35radix_sort_onesweep_config_selectorIjN6thrust23THRUST_200600_302600_NS5tupleIffNS6_9null_typeES8_S8_S8_S8_S8_S8_S8_EEEEZNS1_34radix_sort_onesweep_global_offsetsIS3_Lb0ENS6_6detail15normal_iteratorINS6_10device_ptrIjEEEENSD_INSE_IS9_EEEEjNS0_19identity_decomposerEEE10hipError_tT1_T2_PT3_SN_jT4_jjP12ihipStream_tbEUlT_E_NS1_11comp_targetILNS1_3genE8ELNS1_11target_archE1030ELNS1_3gpuE2ELNS1_3repE0EEENS1_52radix_sort_onesweep_histogram_config_static_selectorELNS0_4arch9wavefront6targetE0EEEvSL_
	.p2align	8
	.type	_ZN7rocprim17ROCPRIM_400000_NS6detail17trampoline_kernelINS0_14default_configENS1_35radix_sort_onesweep_config_selectorIjN6thrust23THRUST_200600_302600_NS5tupleIffNS6_9null_typeES8_S8_S8_S8_S8_S8_S8_EEEEZNS1_34radix_sort_onesweep_global_offsetsIS3_Lb0ENS6_6detail15normal_iteratorINS6_10device_ptrIjEEEENSD_INSE_IS9_EEEEjNS0_19identity_decomposerEEE10hipError_tT1_T2_PT3_SN_jT4_jjP12ihipStream_tbEUlT_E_NS1_11comp_targetILNS1_3genE8ELNS1_11target_archE1030ELNS1_3gpuE2ELNS1_3repE0EEENS1_52radix_sort_onesweep_histogram_config_static_selectorELNS0_4arch9wavefront6targetE0EEEvSL_,@function
_ZN7rocprim17ROCPRIM_400000_NS6detail17trampoline_kernelINS0_14default_configENS1_35radix_sort_onesweep_config_selectorIjN6thrust23THRUST_200600_302600_NS5tupleIffNS6_9null_typeES8_S8_S8_S8_S8_S8_S8_EEEEZNS1_34radix_sort_onesweep_global_offsetsIS3_Lb0ENS6_6detail15normal_iteratorINS6_10device_ptrIjEEEENSD_INSE_IS9_EEEEjNS0_19identity_decomposerEEE10hipError_tT1_T2_PT3_SN_jT4_jjP12ihipStream_tbEUlT_E_NS1_11comp_targetILNS1_3genE8ELNS1_11target_archE1030ELNS1_3gpuE2ELNS1_3repE0EEENS1_52radix_sort_onesweep_histogram_config_static_selectorELNS0_4arch9wavefront6targetE0EEEvSL_: ; @_ZN7rocprim17ROCPRIM_400000_NS6detail17trampoline_kernelINS0_14default_configENS1_35radix_sort_onesweep_config_selectorIjN6thrust23THRUST_200600_302600_NS5tupleIffNS6_9null_typeES8_S8_S8_S8_S8_S8_S8_EEEEZNS1_34radix_sort_onesweep_global_offsetsIS3_Lb0ENS6_6detail15normal_iteratorINS6_10device_ptrIjEEEENSD_INSE_IS9_EEEEjNS0_19identity_decomposerEEE10hipError_tT1_T2_PT3_SN_jT4_jjP12ihipStream_tbEUlT_E_NS1_11comp_targetILNS1_3genE8ELNS1_11target_archE1030ELNS1_3gpuE2ELNS1_3repE0EEENS1_52radix_sort_onesweep_histogram_config_static_selectorELNS0_4arch9wavefront6targetE0EEEvSL_
; %bb.0:
	.section	.rodata,"a",@progbits
	.p2align	6, 0x0
	.amdhsa_kernel _ZN7rocprim17ROCPRIM_400000_NS6detail17trampoline_kernelINS0_14default_configENS1_35radix_sort_onesweep_config_selectorIjN6thrust23THRUST_200600_302600_NS5tupleIffNS6_9null_typeES8_S8_S8_S8_S8_S8_S8_EEEEZNS1_34radix_sort_onesweep_global_offsetsIS3_Lb0ENS6_6detail15normal_iteratorINS6_10device_ptrIjEEEENSD_INSE_IS9_EEEEjNS0_19identity_decomposerEEE10hipError_tT1_T2_PT3_SN_jT4_jjP12ihipStream_tbEUlT_E_NS1_11comp_targetILNS1_3genE8ELNS1_11target_archE1030ELNS1_3gpuE2ELNS1_3repE0EEENS1_52radix_sort_onesweep_histogram_config_static_selectorELNS0_4arch9wavefront6targetE0EEEvSL_
		.amdhsa_group_segment_fixed_size 0
		.amdhsa_private_segment_fixed_size 0
		.amdhsa_kernarg_size 40
		.amdhsa_user_sgpr_count 2
		.amdhsa_user_sgpr_dispatch_ptr 0
		.amdhsa_user_sgpr_queue_ptr 0
		.amdhsa_user_sgpr_kernarg_segment_ptr 1
		.amdhsa_user_sgpr_dispatch_id 0
		.amdhsa_user_sgpr_private_segment_size 0
		.amdhsa_wavefront_size32 1
		.amdhsa_uses_dynamic_stack 0
		.amdhsa_enable_private_segment 0
		.amdhsa_system_sgpr_workgroup_id_x 1
		.amdhsa_system_sgpr_workgroup_id_y 0
		.amdhsa_system_sgpr_workgroup_id_z 0
		.amdhsa_system_sgpr_workgroup_info 0
		.amdhsa_system_vgpr_workitem_id 0
		.amdhsa_next_free_vgpr 1
		.amdhsa_next_free_sgpr 1
		.amdhsa_reserve_vcc 0
		.amdhsa_float_round_mode_32 0
		.amdhsa_float_round_mode_16_64 0
		.amdhsa_float_denorm_mode_32 3
		.amdhsa_float_denorm_mode_16_64 3
		.amdhsa_fp16_overflow 0
		.amdhsa_workgroup_processor_mode 1
		.amdhsa_memory_ordered 1
		.amdhsa_forward_progress 1
		.amdhsa_inst_pref_size 0
		.amdhsa_round_robin_scheduling 0
		.amdhsa_exception_fp_ieee_invalid_op 0
		.amdhsa_exception_fp_denorm_src 0
		.amdhsa_exception_fp_ieee_div_zero 0
		.amdhsa_exception_fp_ieee_overflow 0
		.amdhsa_exception_fp_ieee_underflow 0
		.amdhsa_exception_fp_ieee_inexact 0
		.amdhsa_exception_int_div_zero 0
	.end_amdhsa_kernel
	.section	.text._ZN7rocprim17ROCPRIM_400000_NS6detail17trampoline_kernelINS0_14default_configENS1_35radix_sort_onesweep_config_selectorIjN6thrust23THRUST_200600_302600_NS5tupleIffNS6_9null_typeES8_S8_S8_S8_S8_S8_S8_EEEEZNS1_34radix_sort_onesweep_global_offsetsIS3_Lb0ENS6_6detail15normal_iteratorINS6_10device_ptrIjEEEENSD_INSE_IS9_EEEEjNS0_19identity_decomposerEEE10hipError_tT1_T2_PT3_SN_jT4_jjP12ihipStream_tbEUlT_E_NS1_11comp_targetILNS1_3genE8ELNS1_11target_archE1030ELNS1_3gpuE2ELNS1_3repE0EEENS1_52radix_sort_onesweep_histogram_config_static_selectorELNS0_4arch9wavefront6targetE0EEEvSL_,"axG",@progbits,_ZN7rocprim17ROCPRIM_400000_NS6detail17trampoline_kernelINS0_14default_configENS1_35radix_sort_onesweep_config_selectorIjN6thrust23THRUST_200600_302600_NS5tupleIffNS6_9null_typeES8_S8_S8_S8_S8_S8_S8_EEEEZNS1_34radix_sort_onesweep_global_offsetsIS3_Lb0ENS6_6detail15normal_iteratorINS6_10device_ptrIjEEEENSD_INSE_IS9_EEEEjNS0_19identity_decomposerEEE10hipError_tT1_T2_PT3_SN_jT4_jjP12ihipStream_tbEUlT_E_NS1_11comp_targetILNS1_3genE8ELNS1_11target_archE1030ELNS1_3gpuE2ELNS1_3repE0EEENS1_52radix_sort_onesweep_histogram_config_static_selectorELNS0_4arch9wavefront6targetE0EEEvSL_,comdat
.Lfunc_end147:
	.size	_ZN7rocprim17ROCPRIM_400000_NS6detail17trampoline_kernelINS0_14default_configENS1_35radix_sort_onesweep_config_selectorIjN6thrust23THRUST_200600_302600_NS5tupleIffNS6_9null_typeES8_S8_S8_S8_S8_S8_S8_EEEEZNS1_34radix_sort_onesweep_global_offsetsIS3_Lb0ENS6_6detail15normal_iteratorINS6_10device_ptrIjEEEENSD_INSE_IS9_EEEEjNS0_19identity_decomposerEEE10hipError_tT1_T2_PT3_SN_jT4_jjP12ihipStream_tbEUlT_E_NS1_11comp_targetILNS1_3genE8ELNS1_11target_archE1030ELNS1_3gpuE2ELNS1_3repE0EEENS1_52radix_sort_onesweep_histogram_config_static_selectorELNS0_4arch9wavefront6targetE0EEEvSL_, .Lfunc_end147-_ZN7rocprim17ROCPRIM_400000_NS6detail17trampoline_kernelINS0_14default_configENS1_35radix_sort_onesweep_config_selectorIjN6thrust23THRUST_200600_302600_NS5tupleIffNS6_9null_typeES8_S8_S8_S8_S8_S8_S8_EEEEZNS1_34radix_sort_onesweep_global_offsetsIS3_Lb0ENS6_6detail15normal_iteratorINS6_10device_ptrIjEEEENSD_INSE_IS9_EEEEjNS0_19identity_decomposerEEE10hipError_tT1_T2_PT3_SN_jT4_jjP12ihipStream_tbEUlT_E_NS1_11comp_targetILNS1_3genE8ELNS1_11target_archE1030ELNS1_3gpuE2ELNS1_3repE0EEENS1_52radix_sort_onesweep_histogram_config_static_selectorELNS0_4arch9wavefront6targetE0EEEvSL_
                                        ; -- End function
	.set _ZN7rocprim17ROCPRIM_400000_NS6detail17trampoline_kernelINS0_14default_configENS1_35radix_sort_onesweep_config_selectorIjN6thrust23THRUST_200600_302600_NS5tupleIffNS6_9null_typeES8_S8_S8_S8_S8_S8_S8_EEEEZNS1_34radix_sort_onesweep_global_offsetsIS3_Lb0ENS6_6detail15normal_iteratorINS6_10device_ptrIjEEEENSD_INSE_IS9_EEEEjNS0_19identity_decomposerEEE10hipError_tT1_T2_PT3_SN_jT4_jjP12ihipStream_tbEUlT_E_NS1_11comp_targetILNS1_3genE8ELNS1_11target_archE1030ELNS1_3gpuE2ELNS1_3repE0EEENS1_52radix_sort_onesweep_histogram_config_static_selectorELNS0_4arch9wavefront6targetE0EEEvSL_.num_vgpr, 0
	.set _ZN7rocprim17ROCPRIM_400000_NS6detail17trampoline_kernelINS0_14default_configENS1_35radix_sort_onesweep_config_selectorIjN6thrust23THRUST_200600_302600_NS5tupleIffNS6_9null_typeES8_S8_S8_S8_S8_S8_S8_EEEEZNS1_34radix_sort_onesweep_global_offsetsIS3_Lb0ENS6_6detail15normal_iteratorINS6_10device_ptrIjEEEENSD_INSE_IS9_EEEEjNS0_19identity_decomposerEEE10hipError_tT1_T2_PT3_SN_jT4_jjP12ihipStream_tbEUlT_E_NS1_11comp_targetILNS1_3genE8ELNS1_11target_archE1030ELNS1_3gpuE2ELNS1_3repE0EEENS1_52radix_sort_onesweep_histogram_config_static_selectorELNS0_4arch9wavefront6targetE0EEEvSL_.num_agpr, 0
	.set _ZN7rocprim17ROCPRIM_400000_NS6detail17trampoline_kernelINS0_14default_configENS1_35radix_sort_onesweep_config_selectorIjN6thrust23THRUST_200600_302600_NS5tupleIffNS6_9null_typeES8_S8_S8_S8_S8_S8_S8_EEEEZNS1_34radix_sort_onesweep_global_offsetsIS3_Lb0ENS6_6detail15normal_iteratorINS6_10device_ptrIjEEEENSD_INSE_IS9_EEEEjNS0_19identity_decomposerEEE10hipError_tT1_T2_PT3_SN_jT4_jjP12ihipStream_tbEUlT_E_NS1_11comp_targetILNS1_3genE8ELNS1_11target_archE1030ELNS1_3gpuE2ELNS1_3repE0EEENS1_52radix_sort_onesweep_histogram_config_static_selectorELNS0_4arch9wavefront6targetE0EEEvSL_.numbered_sgpr, 0
	.set _ZN7rocprim17ROCPRIM_400000_NS6detail17trampoline_kernelINS0_14default_configENS1_35radix_sort_onesweep_config_selectorIjN6thrust23THRUST_200600_302600_NS5tupleIffNS6_9null_typeES8_S8_S8_S8_S8_S8_S8_EEEEZNS1_34radix_sort_onesweep_global_offsetsIS3_Lb0ENS6_6detail15normal_iteratorINS6_10device_ptrIjEEEENSD_INSE_IS9_EEEEjNS0_19identity_decomposerEEE10hipError_tT1_T2_PT3_SN_jT4_jjP12ihipStream_tbEUlT_E_NS1_11comp_targetILNS1_3genE8ELNS1_11target_archE1030ELNS1_3gpuE2ELNS1_3repE0EEENS1_52radix_sort_onesweep_histogram_config_static_selectorELNS0_4arch9wavefront6targetE0EEEvSL_.num_named_barrier, 0
	.set _ZN7rocprim17ROCPRIM_400000_NS6detail17trampoline_kernelINS0_14default_configENS1_35radix_sort_onesweep_config_selectorIjN6thrust23THRUST_200600_302600_NS5tupleIffNS6_9null_typeES8_S8_S8_S8_S8_S8_S8_EEEEZNS1_34radix_sort_onesweep_global_offsetsIS3_Lb0ENS6_6detail15normal_iteratorINS6_10device_ptrIjEEEENSD_INSE_IS9_EEEEjNS0_19identity_decomposerEEE10hipError_tT1_T2_PT3_SN_jT4_jjP12ihipStream_tbEUlT_E_NS1_11comp_targetILNS1_3genE8ELNS1_11target_archE1030ELNS1_3gpuE2ELNS1_3repE0EEENS1_52radix_sort_onesweep_histogram_config_static_selectorELNS0_4arch9wavefront6targetE0EEEvSL_.private_seg_size, 0
	.set _ZN7rocprim17ROCPRIM_400000_NS6detail17trampoline_kernelINS0_14default_configENS1_35radix_sort_onesweep_config_selectorIjN6thrust23THRUST_200600_302600_NS5tupleIffNS6_9null_typeES8_S8_S8_S8_S8_S8_S8_EEEEZNS1_34radix_sort_onesweep_global_offsetsIS3_Lb0ENS6_6detail15normal_iteratorINS6_10device_ptrIjEEEENSD_INSE_IS9_EEEEjNS0_19identity_decomposerEEE10hipError_tT1_T2_PT3_SN_jT4_jjP12ihipStream_tbEUlT_E_NS1_11comp_targetILNS1_3genE8ELNS1_11target_archE1030ELNS1_3gpuE2ELNS1_3repE0EEENS1_52radix_sort_onesweep_histogram_config_static_selectorELNS0_4arch9wavefront6targetE0EEEvSL_.uses_vcc, 0
	.set _ZN7rocprim17ROCPRIM_400000_NS6detail17trampoline_kernelINS0_14default_configENS1_35radix_sort_onesweep_config_selectorIjN6thrust23THRUST_200600_302600_NS5tupleIffNS6_9null_typeES8_S8_S8_S8_S8_S8_S8_EEEEZNS1_34radix_sort_onesweep_global_offsetsIS3_Lb0ENS6_6detail15normal_iteratorINS6_10device_ptrIjEEEENSD_INSE_IS9_EEEEjNS0_19identity_decomposerEEE10hipError_tT1_T2_PT3_SN_jT4_jjP12ihipStream_tbEUlT_E_NS1_11comp_targetILNS1_3genE8ELNS1_11target_archE1030ELNS1_3gpuE2ELNS1_3repE0EEENS1_52radix_sort_onesweep_histogram_config_static_selectorELNS0_4arch9wavefront6targetE0EEEvSL_.uses_flat_scratch, 0
	.set _ZN7rocprim17ROCPRIM_400000_NS6detail17trampoline_kernelINS0_14default_configENS1_35radix_sort_onesweep_config_selectorIjN6thrust23THRUST_200600_302600_NS5tupleIffNS6_9null_typeES8_S8_S8_S8_S8_S8_S8_EEEEZNS1_34radix_sort_onesweep_global_offsetsIS3_Lb0ENS6_6detail15normal_iteratorINS6_10device_ptrIjEEEENSD_INSE_IS9_EEEEjNS0_19identity_decomposerEEE10hipError_tT1_T2_PT3_SN_jT4_jjP12ihipStream_tbEUlT_E_NS1_11comp_targetILNS1_3genE8ELNS1_11target_archE1030ELNS1_3gpuE2ELNS1_3repE0EEENS1_52radix_sort_onesweep_histogram_config_static_selectorELNS0_4arch9wavefront6targetE0EEEvSL_.has_dyn_sized_stack, 0
	.set _ZN7rocprim17ROCPRIM_400000_NS6detail17trampoline_kernelINS0_14default_configENS1_35radix_sort_onesweep_config_selectorIjN6thrust23THRUST_200600_302600_NS5tupleIffNS6_9null_typeES8_S8_S8_S8_S8_S8_S8_EEEEZNS1_34radix_sort_onesweep_global_offsetsIS3_Lb0ENS6_6detail15normal_iteratorINS6_10device_ptrIjEEEENSD_INSE_IS9_EEEEjNS0_19identity_decomposerEEE10hipError_tT1_T2_PT3_SN_jT4_jjP12ihipStream_tbEUlT_E_NS1_11comp_targetILNS1_3genE8ELNS1_11target_archE1030ELNS1_3gpuE2ELNS1_3repE0EEENS1_52radix_sort_onesweep_histogram_config_static_selectorELNS0_4arch9wavefront6targetE0EEEvSL_.has_recursion, 0
	.set _ZN7rocprim17ROCPRIM_400000_NS6detail17trampoline_kernelINS0_14default_configENS1_35radix_sort_onesweep_config_selectorIjN6thrust23THRUST_200600_302600_NS5tupleIffNS6_9null_typeES8_S8_S8_S8_S8_S8_S8_EEEEZNS1_34radix_sort_onesweep_global_offsetsIS3_Lb0ENS6_6detail15normal_iteratorINS6_10device_ptrIjEEEENSD_INSE_IS9_EEEEjNS0_19identity_decomposerEEE10hipError_tT1_T2_PT3_SN_jT4_jjP12ihipStream_tbEUlT_E_NS1_11comp_targetILNS1_3genE8ELNS1_11target_archE1030ELNS1_3gpuE2ELNS1_3repE0EEENS1_52radix_sort_onesweep_histogram_config_static_selectorELNS0_4arch9wavefront6targetE0EEEvSL_.has_indirect_call, 0
	.section	.AMDGPU.csdata,"",@progbits
; Kernel info:
; codeLenInByte = 0
; TotalNumSgprs: 0
; NumVgprs: 0
; ScratchSize: 0
; MemoryBound: 0
; FloatMode: 240
; IeeeMode: 1
; LDSByteSize: 0 bytes/workgroup (compile time only)
; SGPRBlocks: 0
; VGPRBlocks: 0
; NumSGPRsForWavesPerEU: 1
; NumVGPRsForWavesPerEU: 1
; Occupancy: 16
; WaveLimiterHint : 0
; COMPUTE_PGM_RSRC2:SCRATCH_EN: 0
; COMPUTE_PGM_RSRC2:USER_SGPR: 2
; COMPUTE_PGM_RSRC2:TRAP_HANDLER: 0
; COMPUTE_PGM_RSRC2:TGID_X_EN: 1
; COMPUTE_PGM_RSRC2:TGID_Y_EN: 0
; COMPUTE_PGM_RSRC2:TGID_Z_EN: 0
; COMPUTE_PGM_RSRC2:TIDIG_COMP_CNT: 0
	.section	.text._ZN7rocprim17ROCPRIM_400000_NS6detail17trampoline_kernelINS0_14default_configENS1_35radix_sort_onesweep_config_selectorIjN6thrust23THRUST_200600_302600_NS5tupleIffNS6_9null_typeES8_S8_S8_S8_S8_S8_S8_EEEEZNS1_34radix_sort_onesweep_global_offsetsIS3_Lb0ENS6_6detail15normal_iteratorINS6_10device_ptrIjEEEENSD_INSE_IS9_EEEEjNS0_19identity_decomposerEEE10hipError_tT1_T2_PT3_SN_jT4_jjP12ihipStream_tbEUlT_E0_NS1_11comp_targetILNS1_3genE0ELNS1_11target_archE4294967295ELNS1_3gpuE0ELNS1_3repE0EEENS1_52radix_sort_onesweep_histogram_config_static_selectorELNS0_4arch9wavefront6targetE0EEEvSL_,"axG",@progbits,_ZN7rocprim17ROCPRIM_400000_NS6detail17trampoline_kernelINS0_14default_configENS1_35radix_sort_onesweep_config_selectorIjN6thrust23THRUST_200600_302600_NS5tupleIffNS6_9null_typeES8_S8_S8_S8_S8_S8_S8_EEEEZNS1_34radix_sort_onesweep_global_offsetsIS3_Lb0ENS6_6detail15normal_iteratorINS6_10device_ptrIjEEEENSD_INSE_IS9_EEEEjNS0_19identity_decomposerEEE10hipError_tT1_T2_PT3_SN_jT4_jjP12ihipStream_tbEUlT_E0_NS1_11comp_targetILNS1_3genE0ELNS1_11target_archE4294967295ELNS1_3gpuE0ELNS1_3repE0EEENS1_52radix_sort_onesweep_histogram_config_static_selectorELNS0_4arch9wavefront6targetE0EEEvSL_,comdat
	.protected	_ZN7rocprim17ROCPRIM_400000_NS6detail17trampoline_kernelINS0_14default_configENS1_35radix_sort_onesweep_config_selectorIjN6thrust23THRUST_200600_302600_NS5tupleIffNS6_9null_typeES8_S8_S8_S8_S8_S8_S8_EEEEZNS1_34radix_sort_onesweep_global_offsetsIS3_Lb0ENS6_6detail15normal_iteratorINS6_10device_ptrIjEEEENSD_INSE_IS9_EEEEjNS0_19identity_decomposerEEE10hipError_tT1_T2_PT3_SN_jT4_jjP12ihipStream_tbEUlT_E0_NS1_11comp_targetILNS1_3genE0ELNS1_11target_archE4294967295ELNS1_3gpuE0ELNS1_3repE0EEENS1_52radix_sort_onesweep_histogram_config_static_selectorELNS0_4arch9wavefront6targetE0EEEvSL_ ; -- Begin function _ZN7rocprim17ROCPRIM_400000_NS6detail17trampoline_kernelINS0_14default_configENS1_35radix_sort_onesweep_config_selectorIjN6thrust23THRUST_200600_302600_NS5tupleIffNS6_9null_typeES8_S8_S8_S8_S8_S8_S8_EEEEZNS1_34radix_sort_onesweep_global_offsetsIS3_Lb0ENS6_6detail15normal_iteratorINS6_10device_ptrIjEEEENSD_INSE_IS9_EEEEjNS0_19identity_decomposerEEE10hipError_tT1_T2_PT3_SN_jT4_jjP12ihipStream_tbEUlT_E0_NS1_11comp_targetILNS1_3genE0ELNS1_11target_archE4294967295ELNS1_3gpuE0ELNS1_3repE0EEENS1_52radix_sort_onesweep_histogram_config_static_selectorELNS0_4arch9wavefront6targetE0EEEvSL_
	.globl	_ZN7rocprim17ROCPRIM_400000_NS6detail17trampoline_kernelINS0_14default_configENS1_35radix_sort_onesweep_config_selectorIjN6thrust23THRUST_200600_302600_NS5tupleIffNS6_9null_typeES8_S8_S8_S8_S8_S8_S8_EEEEZNS1_34radix_sort_onesweep_global_offsetsIS3_Lb0ENS6_6detail15normal_iteratorINS6_10device_ptrIjEEEENSD_INSE_IS9_EEEEjNS0_19identity_decomposerEEE10hipError_tT1_T2_PT3_SN_jT4_jjP12ihipStream_tbEUlT_E0_NS1_11comp_targetILNS1_3genE0ELNS1_11target_archE4294967295ELNS1_3gpuE0ELNS1_3repE0EEENS1_52radix_sort_onesweep_histogram_config_static_selectorELNS0_4arch9wavefront6targetE0EEEvSL_
	.p2align	8
	.type	_ZN7rocprim17ROCPRIM_400000_NS6detail17trampoline_kernelINS0_14default_configENS1_35radix_sort_onesweep_config_selectorIjN6thrust23THRUST_200600_302600_NS5tupleIffNS6_9null_typeES8_S8_S8_S8_S8_S8_S8_EEEEZNS1_34radix_sort_onesweep_global_offsetsIS3_Lb0ENS6_6detail15normal_iteratorINS6_10device_ptrIjEEEENSD_INSE_IS9_EEEEjNS0_19identity_decomposerEEE10hipError_tT1_T2_PT3_SN_jT4_jjP12ihipStream_tbEUlT_E0_NS1_11comp_targetILNS1_3genE0ELNS1_11target_archE4294967295ELNS1_3gpuE0ELNS1_3repE0EEENS1_52radix_sort_onesweep_histogram_config_static_selectorELNS0_4arch9wavefront6targetE0EEEvSL_,@function
_ZN7rocprim17ROCPRIM_400000_NS6detail17trampoline_kernelINS0_14default_configENS1_35radix_sort_onesweep_config_selectorIjN6thrust23THRUST_200600_302600_NS5tupleIffNS6_9null_typeES8_S8_S8_S8_S8_S8_S8_EEEEZNS1_34radix_sort_onesweep_global_offsetsIS3_Lb0ENS6_6detail15normal_iteratorINS6_10device_ptrIjEEEENSD_INSE_IS9_EEEEjNS0_19identity_decomposerEEE10hipError_tT1_T2_PT3_SN_jT4_jjP12ihipStream_tbEUlT_E0_NS1_11comp_targetILNS1_3genE0ELNS1_11target_archE4294967295ELNS1_3gpuE0ELNS1_3repE0EEENS1_52radix_sort_onesweep_histogram_config_static_selectorELNS0_4arch9wavefront6targetE0EEEvSL_: ; @_ZN7rocprim17ROCPRIM_400000_NS6detail17trampoline_kernelINS0_14default_configENS1_35radix_sort_onesweep_config_selectorIjN6thrust23THRUST_200600_302600_NS5tupleIffNS6_9null_typeES8_S8_S8_S8_S8_S8_S8_EEEEZNS1_34radix_sort_onesweep_global_offsetsIS3_Lb0ENS6_6detail15normal_iteratorINS6_10device_ptrIjEEEENSD_INSE_IS9_EEEEjNS0_19identity_decomposerEEE10hipError_tT1_T2_PT3_SN_jT4_jjP12ihipStream_tbEUlT_E0_NS1_11comp_targetILNS1_3genE0ELNS1_11target_archE4294967295ELNS1_3gpuE0ELNS1_3repE0EEENS1_52radix_sort_onesweep_histogram_config_static_selectorELNS0_4arch9wavefront6targetE0EEEvSL_
; %bb.0:
	.section	.rodata,"a",@progbits
	.p2align	6, 0x0
	.amdhsa_kernel _ZN7rocprim17ROCPRIM_400000_NS6detail17trampoline_kernelINS0_14default_configENS1_35radix_sort_onesweep_config_selectorIjN6thrust23THRUST_200600_302600_NS5tupleIffNS6_9null_typeES8_S8_S8_S8_S8_S8_S8_EEEEZNS1_34radix_sort_onesweep_global_offsetsIS3_Lb0ENS6_6detail15normal_iteratorINS6_10device_ptrIjEEEENSD_INSE_IS9_EEEEjNS0_19identity_decomposerEEE10hipError_tT1_T2_PT3_SN_jT4_jjP12ihipStream_tbEUlT_E0_NS1_11comp_targetILNS1_3genE0ELNS1_11target_archE4294967295ELNS1_3gpuE0ELNS1_3repE0EEENS1_52radix_sort_onesweep_histogram_config_static_selectorELNS0_4arch9wavefront6targetE0EEEvSL_
		.amdhsa_group_segment_fixed_size 0
		.amdhsa_private_segment_fixed_size 0
		.amdhsa_kernarg_size 8
		.amdhsa_user_sgpr_count 2
		.amdhsa_user_sgpr_dispatch_ptr 0
		.amdhsa_user_sgpr_queue_ptr 0
		.amdhsa_user_sgpr_kernarg_segment_ptr 1
		.amdhsa_user_sgpr_dispatch_id 0
		.amdhsa_user_sgpr_private_segment_size 0
		.amdhsa_wavefront_size32 1
		.amdhsa_uses_dynamic_stack 0
		.amdhsa_enable_private_segment 0
		.amdhsa_system_sgpr_workgroup_id_x 1
		.amdhsa_system_sgpr_workgroup_id_y 0
		.amdhsa_system_sgpr_workgroup_id_z 0
		.amdhsa_system_sgpr_workgroup_info 0
		.amdhsa_system_vgpr_workitem_id 0
		.amdhsa_next_free_vgpr 1
		.amdhsa_next_free_sgpr 1
		.amdhsa_reserve_vcc 0
		.amdhsa_float_round_mode_32 0
		.amdhsa_float_round_mode_16_64 0
		.amdhsa_float_denorm_mode_32 3
		.amdhsa_float_denorm_mode_16_64 3
		.amdhsa_fp16_overflow 0
		.amdhsa_workgroup_processor_mode 1
		.amdhsa_memory_ordered 1
		.amdhsa_forward_progress 1
		.amdhsa_inst_pref_size 0
		.amdhsa_round_robin_scheduling 0
		.amdhsa_exception_fp_ieee_invalid_op 0
		.amdhsa_exception_fp_denorm_src 0
		.amdhsa_exception_fp_ieee_div_zero 0
		.amdhsa_exception_fp_ieee_overflow 0
		.amdhsa_exception_fp_ieee_underflow 0
		.amdhsa_exception_fp_ieee_inexact 0
		.amdhsa_exception_int_div_zero 0
	.end_amdhsa_kernel
	.section	.text._ZN7rocprim17ROCPRIM_400000_NS6detail17trampoline_kernelINS0_14default_configENS1_35radix_sort_onesweep_config_selectorIjN6thrust23THRUST_200600_302600_NS5tupleIffNS6_9null_typeES8_S8_S8_S8_S8_S8_S8_EEEEZNS1_34radix_sort_onesweep_global_offsetsIS3_Lb0ENS6_6detail15normal_iteratorINS6_10device_ptrIjEEEENSD_INSE_IS9_EEEEjNS0_19identity_decomposerEEE10hipError_tT1_T2_PT3_SN_jT4_jjP12ihipStream_tbEUlT_E0_NS1_11comp_targetILNS1_3genE0ELNS1_11target_archE4294967295ELNS1_3gpuE0ELNS1_3repE0EEENS1_52radix_sort_onesweep_histogram_config_static_selectorELNS0_4arch9wavefront6targetE0EEEvSL_,"axG",@progbits,_ZN7rocprim17ROCPRIM_400000_NS6detail17trampoline_kernelINS0_14default_configENS1_35radix_sort_onesweep_config_selectorIjN6thrust23THRUST_200600_302600_NS5tupleIffNS6_9null_typeES8_S8_S8_S8_S8_S8_S8_EEEEZNS1_34radix_sort_onesweep_global_offsetsIS3_Lb0ENS6_6detail15normal_iteratorINS6_10device_ptrIjEEEENSD_INSE_IS9_EEEEjNS0_19identity_decomposerEEE10hipError_tT1_T2_PT3_SN_jT4_jjP12ihipStream_tbEUlT_E0_NS1_11comp_targetILNS1_3genE0ELNS1_11target_archE4294967295ELNS1_3gpuE0ELNS1_3repE0EEENS1_52radix_sort_onesweep_histogram_config_static_selectorELNS0_4arch9wavefront6targetE0EEEvSL_,comdat
.Lfunc_end148:
	.size	_ZN7rocprim17ROCPRIM_400000_NS6detail17trampoline_kernelINS0_14default_configENS1_35radix_sort_onesweep_config_selectorIjN6thrust23THRUST_200600_302600_NS5tupleIffNS6_9null_typeES8_S8_S8_S8_S8_S8_S8_EEEEZNS1_34radix_sort_onesweep_global_offsetsIS3_Lb0ENS6_6detail15normal_iteratorINS6_10device_ptrIjEEEENSD_INSE_IS9_EEEEjNS0_19identity_decomposerEEE10hipError_tT1_T2_PT3_SN_jT4_jjP12ihipStream_tbEUlT_E0_NS1_11comp_targetILNS1_3genE0ELNS1_11target_archE4294967295ELNS1_3gpuE0ELNS1_3repE0EEENS1_52radix_sort_onesweep_histogram_config_static_selectorELNS0_4arch9wavefront6targetE0EEEvSL_, .Lfunc_end148-_ZN7rocprim17ROCPRIM_400000_NS6detail17trampoline_kernelINS0_14default_configENS1_35radix_sort_onesweep_config_selectorIjN6thrust23THRUST_200600_302600_NS5tupleIffNS6_9null_typeES8_S8_S8_S8_S8_S8_S8_EEEEZNS1_34radix_sort_onesweep_global_offsetsIS3_Lb0ENS6_6detail15normal_iteratorINS6_10device_ptrIjEEEENSD_INSE_IS9_EEEEjNS0_19identity_decomposerEEE10hipError_tT1_T2_PT3_SN_jT4_jjP12ihipStream_tbEUlT_E0_NS1_11comp_targetILNS1_3genE0ELNS1_11target_archE4294967295ELNS1_3gpuE0ELNS1_3repE0EEENS1_52radix_sort_onesweep_histogram_config_static_selectorELNS0_4arch9wavefront6targetE0EEEvSL_
                                        ; -- End function
	.set _ZN7rocprim17ROCPRIM_400000_NS6detail17trampoline_kernelINS0_14default_configENS1_35radix_sort_onesweep_config_selectorIjN6thrust23THRUST_200600_302600_NS5tupleIffNS6_9null_typeES8_S8_S8_S8_S8_S8_S8_EEEEZNS1_34radix_sort_onesweep_global_offsetsIS3_Lb0ENS6_6detail15normal_iteratorINS6_10device_ptrIjEEEENSD_INSE_IS9_EEEEjNS0_19identity_decomposerEEE10hipError_tT1_T2_PT3_SN_jT4_jjP12ihipStream_tbEUlT_E0_NS1_11comp_targetILNS1_3genE0ELNS1_11target_archE4294967295ELNS1_3gpuE0ELNS1_3repE0EEENS1_52radix_sort_onesweep_histogram_config_static_selectorELNS0_4arch9wavefront6targetE0EEEvSL_.num_vgpr, 0
	.set _ZN7rocprim17ROCPRIM_400000_NS6detail17trampoline_kernelINS0_14default_configENS1_35radix_sort_onesweep_config_selectorIjN6thrust23THRUST_200600_302600_NS5tupleIffNS6_9null_typeES8_S8_S8_S8_S8_S8_S8_EEEEZNS1_34radix_sort_onesweep_global_offsetsIS3_Lb0ENS6_6detail15normal_iteratorINS6_10device_ptrIjEEEENSD_INSE_IS9_EEEEjNS0_19identity_decomposerEEE10hipError_tT1_T2_PT3_SN_jT4_jjP12ihipStream_tbEUlT_E0_NS1_11comp_targetILNS1_3genE0ELNS1_11target_archE4294967295ELNS1_3gpuE0ELNS1_3repE0EEENS1_52radix_sort_onesweep_histogram_config_static_selectorELNS0_4arch9wavefront6targetE0EEEvSL_.num_agpr, 0
	.set _ZN7rocprim17ROCPRIM_400000_NS6detail17trampoline_kernelINS0_14default_configENS1_35radix_sort_onesweep_config_selectorIjN6thrust23THRUST_200600_302600_NS5tupleIffNS6_9null_typeES8_S8_S8_S8_S8_S8_S8_EEEEZNS1_34radix_sort_onesweep_global_offsetsIS3_Lb0ENS6_6detail15normal_iteratorINS6_10device_ptrIjEEEENSD_INSE_IS9_EEEEjNS0_19identity_decomposerEEE10hipError_tT1_T2_PT3_SN_jT4_jjP12ihipStream_tbEUlT_E0_NS1_11comp_targetILNS1_3genE0ELNS1_11target_archE4294967295ELNS1_3gpuE0ELNS1_3repE0EEENS1_52radix_sort_onesweep_histogram_config_static_selectorELNS0_4arch9wavefront6targetE0EEEvSL_.numbered_sgpr, 0
	.set _ZN7rocprim17ROCPRIM_400000_NS6detail17trampoline_kernelINS0_14default_configENS1_35radix_sort_onesweep_config_selectorIjN6thrust23THRUST_200600_302600_NS5tupleIffNS6_9null_typeES8_S8_S8_S8_S8_S8_S8_EEEEZNS1_34radix_sort_onesweep_global_offsetsIS3_Lb0ENS6_6detail15normal_iteratorINS6_10device_ptrIjEEEENSD_INSE_IS9_EEEEjNS0_19identity_decomposerEEE10hipError_tT1_T2_PT3_SN_jT4_jjP12ihipStream_tbEUlT_E0_NS1_11comp_targetILNS1_3genE0ELNS1_11target_archE4294967295ELNS1_3gpuE0ELNS1_3repE0EEENS1_52radix_sort_onesweep_histogram_config_static_selectorELNS0_4arch9wavefront6targetE0EEEvSL_.num_named_barrier, 0
	.set _ZN7rocprim17ROCPRIM_400000_NS6detail17trampoline_kernelINS0_14default_configENS1_35radix_sort_onesweep_config_selectorIjN6thrust23THRUST_200600_302600_NS5tupleIffNS6_9null_typeES8_S8_S8_S8_S8_S8_S8_EEEEZNS1_34radix_sort_onesweep_global_offsetsIS3_Lb0ENS6_6detail15normal_iteratorINS6_10device_ptrIjEEEENSD_INSE_IS9_EEEEjNS0_19identity_decomposerEEE10hipError_tT1_T2_PT3_SN_jT4_jjP12ihipStream_tbEUlT_E0_NS1_11comp_targetILNS1_3genE0ELNS1_11target_archE4294967295ELNS1_3gpuE0ELNS1_3repE0EEENS1_52radix_sort_onesweep_histogram_config_static_selectorELNS0_4arch9wavefront6targetE0EEEvSL_.private_seg_size, 0
	.set _ZN7rocprim17ROCPRIM_400000_NS6detail17trampoline_kernelINS0_14default_configENS1_35radix_sort_onesweep_config_selectorIjN6thrust23THRUST_200600_302600_NS5tupleIffNS6_9null_typeES8_S8_S8_S8_S8_S8_S8_EEEEZNS1_34radix_sort_onesweep_global_offsetsIS3_Lb0ENS6_6detail15normal_iteratorINS6_10device_ptrIjEEEENSD_INSE_IS9_EEEEjNS0_19identity_decomposerEEE10hipError_tT1_T2_PT3_SN_jT4_jjP12ihipStream_tbEUlT_E0_NS1_11comp_targetILNS1_3genE0ELNS1_11target_archE4294967295ELNS1_3gpuE0ELNS1_3repE0EEENS1_52radix_sort_onesweep_histogram_config_static_selectorELNS0_4arch9wavefront6targetE0EEEvSL_.uses_vcc, 0
	.set _ZN7rocprim17ROCPRIM_400000_NS6detail17trampoline_kernelINS0_14default_configENS1_35radix_sort_onesweep_config_selectorIjN6thrust23THRUST_200600_302600_NS5tupleIffNS6_9null_typeES8_S8_S8_S8_S8_S8_S8_EEEEZNS1_34radix_sort_onesweep_global_offsetsIS3_Lb0ENS6_6detail15normal_iteratorINS6_10device_ptrIjEEEENSD_INSE_IS9_EEEEjNS0_19identity_decomposerEEE10hipError_tT1_T2_PT3_SN_jT4_jjP12ihipStream_tbEUlT_E0_NS1_11comp_targetILNS1_3genE0ELNS1_11target_archE4294967295ELNS1_3gpuE0ELNS1_3repE0EEENS1_52radix_sort_onesweep_histogram_config_static_selectorELNS0_4arch9wavefront6targetE0EEEvSL_.uses_flat_scratch, 0
	.set _ZN7rocprim17ROCPRIM_400000_NS6detail17trampoline_kernelINS0_14default_configENS1_35radix_sort_onesweep_config_selectorIjN6thrust23THRUST_200600_302600_NS5tupleIffNS6_9null_typeES8_S8_S8_S8_S8_S8_S8_EEEEZNS1_34radix_sort_onesweep_global_offsetsIS3_Lb0ENS6_6detail15normal_iteratorINS6_10device_ptrIjEEEENSD_INSE_IS9_EEEEjNS0_19identity_decomposerEEE10hipError_tT1_T2_PT3_SN_jT4_jjP12ihipStream_tbEUlT_E0_NS1_11comp_targetILNS1_3genE0ELNS1_11target_archE4294967295ELNS1_3gpuE0ELNS1_3repE0EEENS1_52radix_sort_onesweep_histogram_config_static_selectorELNS0_4arch9wavefront6targetE0EEEvSL_.has_dyn_sized_stack, 0
	.set _ZN7rocprim17ROCPRIM_400000_NS6detail17trampoline_kernelINS0_14default_configENS1_35radix_sort_onesweep_config_selectorIjN6thrust23THRUST_200600_302600_NS5tupleIffNS6_9null_typeES8_S8_S8_S8_S8_S8_S8_EEEEZNS1_34radix_sort_onesweep_global_offsetsIS3_Lb0ENS6_6detail15normal_iteratorINS6_10device_ptrIjEEEENSD_INSE_IS9_EEEEjNS0_19identity_decomposerEEE10hipError_tT1_T2_PT3_SN_jT4_jjP12ihipStream_tbEUlT_E0_NS1_11comp_targetILNS1_3genE0ELNS1_11target_archE4294967295ELNS1_3gpuE0ELNS1_3repE0EEENS1_52radix_sort_onesweep_histogram_config_static_selectorELNS0_4arch9wavefront6targetE0EEEvSL_.has_recursion, 0
	.set _ZN7rocprim17ROCPRIM_400000_NS6detail17trampoline_kernelINS0_14default_configENS1_35radix_sort_onesweep_config_selectorIjN6thrust23THRUST_200600_302600_NS5tupleIffNS6_9null_typeES8_S8_S8_S8_S8_S8_S8_EEEEZNS1_34radix_sort_onesweep_global_offsetsIS3_Lb0ENS6_6detail15normal_iteratorINS6_10device_ptrIjEEEENSD_INSE_IS9_EEEEjNS0_19identity_decomposerEEE10hipError_tT1_T2_PT3_SN_jT4_jjP12ihipStream_tbEUlT_E0_NS1_11comp_targetILNS1_3genE0ELNS1_11target_archE4294967295ELNS1_3gpuE0ELNS1_3repE0EEENS1_52radix_sort_onesweep_histogram_config_static_selectorELNS0_4arch9wavefront6targetE0EEEvSL_.has_indirect_call, 0
	.section	.AMDGPU.csdata,"",@progbits
; Kernel info:
; codeLenInByte = 0
; TotalNumSgprs: 0
; NumVgprs: 0
; ScratchSize: 0
; MemoryBound: 0
; FloatMode: 240
; IeeeMode: 1
; LDSByteSize: 0 bytes/workgroup (compile time only)
; SGPRBlocks: 0
; VGPRBlocks: 0
; NumSGPRsForWavesPerEU: 1
; NumVGPRsForWavesPerEU: 1
; Occupancy: 16
; WaveLimiterHint : 0
; COMPUTE_PGM_RSRC2:SCRATCH_EN: 0
; COMPUTE_PGM_RSRC2:USER_SGPR: 2
; COMPUTE_PGM_RSRC2:TRAP_HANDLER: 0
; COMPUTE_PGM_RSRC2:TGID_X_EN: 1
; COMPUTE_PGM_RSRC2:TGID_Y_EN: 0
; COMPUTE_PGM_RSRC2:TGID_Z_EN: 0
; COMPUTE_PGM_RSRC2:TIDIG_COMP_CNT: 0
	.section	.text._ZN7rocprim17ROCPRIM_400000_NS6detail17trampoline_kernelINS0_14default_configENS1_35radix_sort_onesweep_config_selectorIjN6thrust23THRUST_200600_302600_NS5tupleIffNS6_9null_typeES8_S8_S8_S8_S8_S8_S8_EEEEZNS1_34radix_sort_onesweep_global_offsetsIS3_Lb0ENS6_6detail15normal_iteratorINS6_10device_ptrIjEEEENSD_INSE_IS9_EEEEjNS0_19identity_decomposerEEE10hipError_tT1_T2_PT3_SN_jT4_jjP12ihipStream_tbEUlT_E0_NS1_11comp_targetILNS1_3genE6ELNS1_11target_archE950ELNS1_3gpuE13ELNS1_3repE0EEENS1_52radix_sort_onesweep_histogram_config_static_selectorELNS0_4arch9wavefront6targetE0EEEvSL_,"axG",@progbits,_ZN7rocprim17ROCPRIM_400000_NS6detail17trampoline_kernelINS0_14default_configENS1_35radix_sort_onesweep_config_selectorIjN6thrust23THRUST_200600_302600_NS5tupleIffNS6_9null_typeES8_S8_S8_S8_S8_S8_S8_EEEEZNS1_34radix_sort_onesweep_global_offsetsIS3_Lb0ENS6_6detail15normal_iteratorINS6_10device_ptrIjEEEENSD_INSE_IS9_EEEEjNS0_19identity_decomposerEEE10hipError_tT1_T2_PT3_SN_jT4_jjP12ihipStream_tbEUlT_E0_NS1_11comp_targetILNS1_3genE6ELNS1_11target_archE950ELNS1_3gpuE13ELNS1_3repE0EEENS1_52radix_sort_onesweep_histogram_config_static_selectorELNS0_4arch9wavefront6targetE0EEEvSL_,comdat
	.protected	_ZN7rocprim17ROCPRIM_400000_NS6detail17trampoline_kernelINS0_14default_configENS1_35radix_sort_onesweep_config_selectorIjN6thrust23THRUST_200600_302600_NS5tupleIffNS6_9null_typeES8_S8_S8_S8_S8_S8_S8_EEEEZNS1_34radix_sort_onesweep_global_offsetsIS3_Lb0ENS6_6detail15normal_iteratorINS6_10device_ptrIjEEEENSD_INSE_IS9_EEEEjNS0_19identity_decomposerEEE10hipError_tT1_T2_PT3_SN_jT4_jjP12ihipStream_tbEUlT_E0_NS1_11comp_targetILNS1_3genE6ELNS1_11target_archE950ELNS1_3gpuE13ELNS1_3repE0EEENS1_52radix_sort_onesweep_histogram_config_static_selectorELNS0_4arch9wavefront6targetE0EEEvSL_ ; -- Begin function _ZN7rocprim17ROCPRIM_400000_NS6detail17trampoline_kernelINS0_14default_configENS1_35radix_sort_onesweep_config_selectorIjN6thrust23THRUST_200600_302600_NS5tupleIffNS6_9null_typeES8_S8_S8_S8_S8_S8_S8_EEEEZNS1_34radix_sort_onesweep_global_offsetsIS3_Lb0ENS6_6detail15normal_iteratorINS6_10device_ptrIjEEEENSD_INSE_IS9_EEEEjNS0_19identity_decomposerEEE10hipError_tT1_T2_PT3_SN_jT4_jjP12ihipStream_tbEUlT_E0_NS1_11comp_targetILNS1_3genE6ELNS1_11target_archE950ELNS1_3gpuE13ELNS1_3repE0EEENS1_52radix_sort_onesweep_histogram_config_static_selectorELNS0_4arch9wavefront6targetE0EEEvSL_
	.globl	_ZN7rocprim17ROCPRIM_400000_NS6detail17trampoline_kernelINS0_14default_configENS1_35radix_sort_onesweep_config_selectorIjN6thrust23THRUST_200600_302600_NS5tupleIffNS6_9null_typeES8_S8_S8_S8_S8_S8_S8_EEEEZNS1_34radix_sort_onesweep_global_offsetsIS3_Lb0ENS6_6detail15normal_iteratorINS6_10device_ptrIjEEEENSD_INSE_IS9_EEEEjNS0_19identity_decomposerEEE10hipError_tT1_T2_PT3_SN_jT4_jjP12ihipStream_tbEUlT_E0_NS1_11comp_targetILNS1_3genE6ELNS1_11target_archE950ELNS1_3gpuE13ELNS1_3repE0EEENS1_52radix_sort_onesweep_histogram_config_static_selectorELNS0_4arch9wavefront6targetE0EEEvSL_
	.p2align	8
	.type	_ZN7rocprim17ROCPRIM_400000_NS6detail17trampoline_kernelINS0_14default_configENS1_35radix_sort_onesweep_config_selectorIjN6thrust23THRUST_200600_302600_NS5tupleIffNS6_9null_typeES8_S8_S8_S8_S8_S8_S8_EEEEZNS1_34radix_sort_onesweep_global_offsetsIS3_Lb0ENS6_6detail15normal_iteratorINS6_10device_ptrIjEEEENSD_INSE_IS9_EEEEjNS0_19identity_decomposerEEE10hipError_tT1_T2_PT3_SN_jT4_jjP12ihipStream_tbEUlT_E0_NS1_11comp_targetILNS1_3genE6ELNS1_11target_archE950ELNS1_3gpuE13ELNS1_3repE0EEENS1_52radix_sort_onesweep_histogram_config_static_selectorELNS0_4arch9wavefront6targetE0EEEvSL_,@function
_ZN7rocprim17ROCPRIM_400000_NS6detail17trampoline_kernelINS0_14default_configENS1_35radix_sort_onesweep_config_selectorIjN6thrust23THRUST_200600_302600_NS5tupleIffNS6_9null_typeES8_S8_S8_S8_S8_S8_S8_EEEEZNS1_34radix_sort_onesweep_global_offsetsIS3_Lb0ENS6_6detail15normal_iteratorINS6_10device_ptrIjEEEENSD_INSE_IS9_EEEEjNS0_19identity_decomposerEEE10hipError_tT1_T2_PT3_SN_jT4_jjP12ihipStream_tbEUlT_E0_NS1_11comp_targetILNS1_3genE6ELNS1_11target_archE950ELNS1_3gpuE13ELNS1_3repE0EEENS1_52radix_sort_onesweep_histogram_config_static_selectorELNS0_4arch9wavefront6targetE0EEEvSL_: ; @_ZN7rocprim17ROCPRIM_400000_NS6detail17trampoline_kernelINS0_14default_configENS1_35radix_sort_onesweep_config_selectorIjN6thrust23THRUST_200600_302600_NS5tupleIffNS6_9null_typeES8_S8_S8_S8_S8_S8_S8_EEEEZNS1_34radix_sort_onesweep_global_offsetsIS3_Lb0ENS6_6detail15normal_iteratorINS6_10device_ptrIjEEEENSD_INSE_IS9_EEEEjNS0_19identity_decomposerEEE10hipError_tT1_T2_PT3_SN_jT4_jjP12ihipStream_tbEUlT_E0_NS1_11comp_targetILNS1_3genE6ELNS1_11target_archE950ELNS1_3gpuE13ELNS1_3repE0EEENS1_52radix_sort_onesweep_histogram_config_static_selectorELNS0_4arch9wavefront6targetE0EEEvSL_
; %bb.0:
	.section	.rodata,"a",@progbits
	.p2align	6, 0x0
	.amdhsa_kernel _ZN7rocprim17ROCPRIM_400000_NS6detail17trampoline_kernelINS0_14default_configENS1_35radix_sort_onesweep_config_selectorIjN6thrust23THRUST_200600_302600_NS5tupleIffNS6_9null_typeES8_S8_S8_S8_S8_S8_S8_EEEEZNS1_34radix_sort_onesweep_global_offsetsIS3_Lb0ENS6_6detail15normal_iteratorINS6_10device_ptrIjEEEENSD_INSE_IS9_EEEEjNS0_19identity_decomposerEEE10hipError_tT1_T2_PT3_SN_jT4_jjP12ihipStream_tbEUlT_E0_NS1_11comp_targetILNS1_3genE6ELNS1_11target_archE950ELNS1_3gpuE13ELNS1_3repE0EEENS1_52radix_sort_onesweep_histogram_config_static_selectorELNS0_4arch9wavefront6targetE0EEEvSL_
		.amdhsa_group_segment_fixed_size 0
		.amdhsa_private_segment_fixed_size 0
		.amdhsa_kernarg_size 8
		.amdhsa_user_sgpr_count 2
		.amdhsa_user_sgpr_dispatch_ptr 0
		.amdhsa_user_sgpr_queue_ptr 0
		.amdhsa_user_sgpr_kernarg_segment_ptr 1
		.amdhsa_user_sgpr_dispatch_id 0
		.amdhsa_user_sgpr_private_segment_size 0
		.amdhsa_wavefront_size32 1
		.amdhsa_uses_dynamic_stack 0
		.amdhsa_enable_private_segment 0
		.amdhsa_system_sgpr_workgroup_id_x 1
		.amdhsa_system_sgpr_workgroup_id_y 0
		.amdhsa_system_sgpr_workgroup_id_z 0
		.amdhsa_system_sgpr_workgroup_info 0
		.amdhsa_system_vgpr_workitem_id 0
		.amdhsa_next_free_vgpr 1
		.amdhsa_next_free_sgpr 1
		.amdhsa_reserve_vcc 0
		.amdhsa_float_round_mode_32 0
		.amdhsa_float_round_mode_16_64 0
		.amdhsa_float_denorm_mode_32 3
		.amdhsa_float_denorm_mode_16_64 3
		.amdhsa_fp16_overflow 0
		.amdhsa_workgroup_processor_mode 1
		.amdhsa_memory_ordered 1
		.amdhsa_forward_progress 1
		.amdhsa_inst_pref_size 0
		.amdhsa_round_robin_scheduling 0
		.amdhsa_exception_fp_ieee_invalid_op 0
		.amdhsa_exception_fp_denorm_src 0
		.amdhsa_exception_fp_ieee_div_zero 0
		.amdhsa_exception_fp_ieee_overflow 0
		.amdhsa_exception_fp_ieee_underflow 0
		.amdhsa_exception_fp_ieee_inexact 0
		.amdhsa_exception_int_div_zero 0
	.end_amdhsa_kernel
	.section	.text._ZN7rocprim17ROCPRIM_400000_NS6detail17trampoline_kernelINS0_14default_configENS1_35radix_sort_onesweep_config_selectorIjN6thrust23THRUST_200600_302600_NS5tupleIffNS6_9null_typeES8_S8_S8_S8_S8_S8_S8_EEEEZNS1_34radix_sort_onesweep_global_offsetsIS3_Lb0ENS6_6detail15normal_iteratorINS6_10device_ptrIjEEEENSD_INSE_IS9_EEEEjNS0_19identity_decomposerEEE10hipError_tT1_T2_PT3_SN_jT4_jjP12ihipStream_tbEUlT_E0_NS1_11comp_targetILNS1_3genE6ELNS1_11target_archE950ELNS1_3gpuE13ELNS1_3repE0EEENS1_52radix_sort_onesweep_histogram_config_static_selectorELNS0_4arch9wavefront6targetE0EEEvSL_,"axG",@progbits,_ZN7rocprim17ROCPRIM_400000_NS6detail17trampoline_kernelINS0_14default_configENS1_35radix_sort_onesweep_config_selectorIjN6thrust23THRUST_200600_302600_NS5tupleIffNS6_9null_typeES8_S8_S8_S8_S8_S8_S8_EEEEZNS1_34radix_sort_onesweep_global_offsetsIS3_Lb0ENS6_6detail15normal_iteratorINS6_10device_ptrIjEEEENSD_INSE_IS9_EEEEjNS0_19identity_decomposerEEE10hipError_tT1_T2_PT3_SN_jT4_jjP12ihipStream_tbEUlT_E0_NS1_11comp_targetILNS1_3genE6ELNS1_11target_archE950ELNS1_3gpuE13ELNS1_3repE0EEENS1_52radix_sort_onesweep_histogram_config_static_selectorELNS0_4arch9wavefront6targetE0EEEvSL_,comdat
.Lfunc_end149:
	.size	_ZN7rocprim17ROCPRIM_400000_NS6detail17trampoline_kernelINS0_14default_configENS1_35radix_sort_onesweep_config_selectorIjN6thrust23THRUST_200600_302600_NS5tupleIffNS6_9null_typeES8_S8_S8_S8_S8_S8_S8_EEEEZNS1_34radix_sort_onesweep_global_offsetsIS3_Lb0ENS6_6detail15normal_iteratorINS6_10device_ptrIjEEEENSD_INSE_IS9_EEEEjNS0_19identity_decomposerEEE10hipError_tT1_T2_PT3_SN_jT4_jjP12ihipStream_tbEUlT_E0_NS1_11comp_targetILNS1_3genE6ELNS1_11target_archE950ELNS1_3gpuE13ELNS1_3repE0EEENS1_52radix_sort_onesweep_histogram_config_static_selectorELNS0_4arch9wavefront6targetE0EEEvSL_, .Lfunc_end149-_ZN7rocprim17ROCPRIM_400000_NS6detail17trampoline_kernelINS0_14default_configENS1_35radix_sort_onesweep_config_selectorIjN6thrust23THRUST_200600_302600_NS5tupleIffNS6_9null_typeES8_S8_S8_S8_S8_S8_S8_EEEEZNS1_34radix_sort_onesweep_global_offsetsIS3_Lb0ENS6_6detail15normal_iteratorINS6_10device_ptrIjEEEENSD_INSE_IS9_EEEEjNS0_19identity_decomposerEEE10hipError_tT1_T2_PT3_SN_jT4_jjP12ihipStream_tbEUlT_E0_NS1_11comp_targetILNS1_3genE6ELNS1_11target_archE950ELNS1_3gpuE13ELNS1_3repE0EEENS1_52radix_sort_onesweep_histogram_config_static_selectorELNS0_4arch9wavefront6targetE0EEEvSL_
                                        ; -- End function
	.set _ZN7rocprim17ROCPRIM_400000_NS6detail17trampoline_kernelINS0_14default_configENS1_35radix_sort_onesweep_config_selectorIjN6thrust23THRUST_200600_302600_NS5tupleIffNS6_9null_typeES8_S8_S8_S8_S8_S8_S8_EEEEZNS1_34radix_sort_onesweep_global_offsetsIS3_Lb0ENS6_6detail15normal_iteratorINS6_10device_ptrIjEEEENSD_INSE_IS9_EEEEjNS0_19identity_decomposerEEE10hipError_tT1_T2_PT3_SN_jT4_jjP12ihipStream_tbEUlT_E0_NS1_11comp_targetILNS1_3genE6ELNS1_11target_archE950ELNS1_3gpuE13ELNS1_3repE0EEENS1_52radix_sort_onesweep_histogram_config_static_selectorELNS0_4arch9wavefront6targetE0EEEvSL_.num_vgpr, 0
	.set _ZN7rocprim17ROCPRIM_400000_NS6detail17trampoline_kernelINS0_14default_configENS1_35radix_sort_onesweep_config_selectorIjN6thrust23THRUST_200600_302600_NS5tupleIffNS6_9null_typeES8_S8_S8_S8_S8_S8_S8_EEEEZNS1_34radix_sort_onesweep_global_offsetsIS3_Lb0ENS6_6detail15normal_iteratorINS6_10device_ptrIjEEEENSD_INSE_IS9_EEEEjNS0_19identity_decomposerEEE10hipError_tT1_T2_PT3_SN_jT4_jjP12ihipStream_tbEUlT_E0_NS1_11comp_targetILNS1_3genE6ELNS1_11target_archE950ELNS1_3gpuE13ELNS1_3repE0EEENS1_52radix_sort_onesweep_histogram_config_static_selectorELNS0_4arch9wavefront6targetE0EEEvSL_.num_agpr, 0
	.set _ZN7rocprim17ROCPRIM_400000_NS6detail17trampoline_kernelINS0_14default_configENS1_35radix_sort_onesweep_config_selectorIjN6thrust23THRUST_200600_302600_NS5tupleIffNS6_9null_typeES8_S8_S8_S8_S8_S8_S8_EEEEZNS1_34radix_sort_onesweep_global_offsetsIS3_Lb0ENS6_6detail15normal_iteratorINS6_10device_ptrIjEEEENSD_INSE_IS9_EEEEjNS0_19identity_decomposerEEE10hipError_tT1_T2_PT3_SN_jT4_jjP12ihipStream_tbEUlT_E0_NS1_11comp_targetILNS1_3genE6ELNS1_11target_archE950ELNS1_3gpuE13ELNS1_3repE0EEENS1_52radix_sort_onesweep_histogram_config_static_selectorELNS0_4arch9wavefront6targetE0EEEvSL_.numbered_sgpr, 0
	.set _ZN7rocprim17ROCPRIM_400000_NS6detail17trampoline_kernelINS0_14default_configENS1_35radix_sort_onesweep_config_selectorIjN6thrust23THRUST_200600_302600_NS5tupleIffNS6_9null_typeES8_S8_S8_S8_S8_S8_S8_EEEEZNS1_34radix_sort_onesweep_global_offsetsIS3_Lb0ENS6_6detail15normal_iteratorINS6_10device_ptrIjEEEENSD_INSE_IS9_EEEEjNS0_19identity_decomposerEEE10hipError_tT1_T2_PT3_SN_jT4_jjP12ihipStream_tbEUlT_E0_NS1_11comp_targetILNS1_3genE6ELNS1_11target_archE950ELNS1_3gpuE13ELNS1_3repE0EEENS1_52radix_sort_onesweep_histogram_config_static_selectorELNS0_4arch9wavefront6targetE0EEEvSL_.num_named_barrier, 0
	.set _ZN7rocprim17ROCPRIM_400000_NS6detail17trampoline_kernelINS0_14default_configENS1_35radix_sort_onesweep_config_selectorIjN6thrust23THRUST_200600_302600_NS5tupleIffNS6_9null_typeES8_S8_S8_S8_S8_S8_S8_EEEEZNS1_34radix_sort_onesweep_global_offsetsIS3_Lb0ENS6_6detail15normal_iteratorINS6_10device_ptrIjEEEENSD_INSE_IS9_EEEEjNS0_19identity_decomposerEEE10hipError_tT1_T2_PT3_SN_jT4_jjP12ihipStream_tbEUlT_E0_NS1_11comp_targetILNS1_3genE6ELNS1_11target_archE950ELNS1_3gpuE13ELNS1_3repE0EEENS1_52radix_sort_onesweep_histogram_config_static_selectorELNS0_4arch9wavefront6targetE0EEEvSL_.private_seg_size, 0
	.set _ZN7rocprim17ROCPRIM_400000_NS6detail17trampoline_kernelINS0_14default_configENS1_35radix_sort_onesweep_config_selectorIjN6thrust23THRUST_200600_302600_NS5tupleIffNS6_9null_typeES8_S8_S8_S8_S8_S8_S8_EEEEZNS1_34radix_sort_onesweep_global_offsetsIS3_Lb0ENS6_6detail15normal_iteratorINS6_10device_ptrIjEEEENSD_INSE_IS9_EEEEjNS0_19identity_decomposerEEE10hipError_tT1_T2_PT3_SN_jT4_jjP12ihipStream_tbEUlT_E0_NS1_11comp_targetILNS1_3genE6ELNS1_11target_archE950ELNS1_3gpuE13ELNS1_3repE0EEENS1_52radix_sort_onesweep_histogram_config_static_selectorELNS0_4arch9wavefront6targetE0EEEvSL_.uses_vcc, 0
	.set _ZN7rocprim17ROCPRIM_400000_NS6detail17trampoline_kernelINS0_14default_configENS1_35radix_sort_onesweep_config_selectorIjN6thrust23THRUST_200600_302600_NS5tupleIffNS6_9null_typeES8_S8_S8_S8_S8_S8_S8_EEEEZNS1_34radix_sort_onesweep_global_offsetsIS3_Lb0ENS6_6detail15normal_iteratorINS6_10device_ptrIjEEEENSD_INSE_IS9_EEEEjNS0_19identity_decomposerEEE10hipError_tT1_T2_PT3_SN_jT4_jjP12ihipStream_tbEUlT_E0_NS1_11comp_targetILNS1_3genE6ELNS1_11target_archE950ELNS1_3gpuE13ELNS1_3repE0EEENS1_52radix_sort_onesweep_histogram_config_static_selectorELNS0_4arch9wavefront6targetE0EEEvSL_.uses_flat_scratch, 0
	.set _ZN7rocprim17ROCPRIM_400000_NS6detail17trampoline_kernelINS0_14default_configENS1_35radix_sort_onesweep_config_selectorIjN6thrust23THRUST_200600_302600_NS5tupleIffNS6_9null_typeES8_S8_S8_S8_S8_S8_S8_EEEEZNS1_34radix_sort_onesweep_global_offsetsIS3_Lb0ENS6_6detail15normal_iteratorINS6_10device_ptrIjEEEENSD_INSE_IS9_EEEEjNS0_19identity_decomposerEEE10hipError_tT1_T2_PT3_SN_jT4_jjP12ihipStream_tbEUlT_E0_NS1_11comp_targetILNS1_3genE6ELNS1_11target_archE950ELNS1_3gpuE13ELNS1_3repE0EEENS1_52radix_sort_onesweep_histogram_config_static_selectorELNS0_4arch9wavefront6targetE0EEEvSL_.has_dyn_sized_stack, 0
	.set _ZN7rocprim17ROCPRIM_400000_NS6detail17trampoline_kernelINS0_14default_configENS1_35radix_sort_onesweep_config_selectorIjN6thrust23THRUST_200600_302600_NS5tupleIffNS6_9null_typeES8_S8_S8_S8_S8_S8_S8_EEEEZNS1_34radix_sort_onesweep_global_offsetsIS3_Lb0ENS6_6detail15normal_iteratorINS6_10device_ptrIjEEEENSD_INSE_IS9_EEEEjNS0_19identity_decomposerEEE10hipError_tT1_T2_PT3_SN_jT4_jjP12ihipStream_tbEUlT_E0_NS1_11comp_targetILNS1_3genE6ELNS1_11target_archE950ELNS1_3gpuE13ELNS1_3repE0EEENS1_52radix_sort_onesweep_histogram_config_static_selectorELNS0_4arch9wavefront6targetE0EEEvSL_.has_recursion, 0
	.set _ZN7rocprim17ROCPRIM_400000_NS6detail17trampoline_kernelINS0_14default_configENS1_35radix_sort_onesweep_config_selectorIjN6thrust23THRUST_200600_302600_NS5tupleIffNS6_9null_typeES8_S8_S8_S8_S8_S8_S8_EEEEZNS1_34radix_sort_onesweep_global_offsetsIS3_Lb0ENS6_6detail15normal_iteratorINS6_10device_ptrIjEEEENSD_INSE_IS9_EEEEjNS0_19identity_decomposerEEE10hipError_tT1_T2_PT3_SN_jT4_jjP12ihipStream_tbEUlT_E0_NS1_11comp_targetILNS1_3genE6ELNS1_11target_archE950ELNS1_3gpuE13ELNS1_3repE0EEENS1_52radix_sort_onesweep_histogram_config_static_selectorELNS0_4arch9wavefront6targetE0EEEvSL_.has_indirect_call, 0
	.section	.AMDGPU.csdata,"",@progbits
; Kernel info:
; codeLenInByte = 0
; TotalNumSgprs: 0
; NumVgprs: 0
; ScratchSize: 0
; MemoryBound: 0
; FloatMode: 240
; IeeeMode: 1
; LDSByteSize: 0 bytes/workgroup (compile time only)
; SGPRBlocks: 0
; VGPRBlocks: 0
; NumSGPRsForWavesPerEU: 1
; NumVGPRsForWavesPerEU: 1
; Occupancy: 16
; WaveLimiterHint : 0
; COMPUTE_PGM_RSRC2:SCRATCH_EN: 0
; COMPUTE_PGM_RSRC2:USER_SGPR: 2
; COMPUTE_PGM_RSRC2:TRAP_HANDLER: 0
; COMPUTE_PGM_RSRC2:TGID_X_EN: 1
; COMPUTE_PGM_RSRC2:TGID_Y_EN: 0
; COMPUTE_PGM_RSRC2:TGID_Z_EN: 0
; COMPUTE_PGM_RSRC2:TIDIG_COMP_CNT: 0
	.section	.text._ZN7rocprim17ROCPRIM_400000_NS6detail17trampoline_kernelINS0_14default_configENS1_35radix_sort_onesweep_config_selectorIjN6thrust23THRUST_200600_302600_NS5tupleIffNS6_9null_typeES8_S8_S8_S8_S8_S8_S8_EEEEZNS1_34radix_sort_onesweep_global_offsetsIS3_Lb0ENS6_6detail15normal_iteratorINS6_10device_ptrIjEEEENSD_INSE_IS9_EEEEjNS0_19identity_decomposerEEE10hipError_tT1_T2_PT3_SN_jT4_jjP12ihipStream_tbEUlT_E0_NS1_11comp_targetILNS1_3genE5ELNS1_11target_archE942ELNS1_3gpuE9ELNS1_3repE0EEENS1_52radix_sort_onesweep_histogram_config_static_selectorELNS0_4arch9wavefront6targetE0EEEvSL_,"axG",@progbits,_ZN7rocprim17ROCPRIM_400000_NS6detail17trampoline_kernelINS0_14default_configENS1_35radix_sort_onesweep_config_selectorIjN6thrust23THRUST_200600_302600_NS5tupleIffNS6_9null_typeES8_S8_S8_S8_S8_S8_S8_EEEEZNS1_34radix_sort_onesweep_global_offsetsIS3_Lb0ENS6_6detail15normal_iteratorINS6_10device_ptrIjEEEENSD_INSE_IS9_EEEEjNS0_19identity_decomposerEEE10hipError_tT1_T2_PT3_SN_jT4_jjP12ihipStream_tbEUlT_E0_NS1_11comp_targetILNS1_3genE5ELNS1_11target_archE942ELNS1_3gpuE9ELNS1_3repE0EEENS1_52radix_sort_onesweep_histogram_config_static_selectorELNS0_4arch9wavefront6targetE0EEEvSL_,comdat
	.protected	_ZN7rocprim17ROCPRIM_400000_NS6detail17trampoline_kernelINS0_14default_configENS1_35radix_sort_onesweep_config_selectorIjN6thrust23THRUST_200600_302600_NS5tupleIffNS6_9null_typeES8_S8_S8_S8_S8_S8_S8_EEEEZNS1_34radix_sort_onesweep_global_offsetsIS3_Lb0ENS6_6detail15normal_iteratorINS6_10device_ptrIjEEEENSD_INSE_IS9_EEEEjNS0_19identity_decomposerEEE10hipError_tT1_T2_PT3_SN_jT4_jjP12ihipStream_tbEUlT_E0_NS1_11comp_targetILNS1_3genE5ELNS1_11target_archE942ELNS1_3gpuE9ELNS1_3repE0EEENS1_52radix_sort_onesweep_histogram_config_static_selectorELNS0_4arch9wavefront6targetE0EEEvSL_ ; -- Begin function _ZN7rocprim17ROCPRIM_400000_NS6detail17trampoline_kernelINS0_14default_configENS1_35radix_sort_onesweep_config_selectorIjN6thrust23THRUST_200600_302600_NS5tupleIffNS6_9null_typeES8_S8_S8_S8_S8_S8_S8_EEEEZNS1_34radix_sort_onesweep_global_offsetsIS3_Lb0ENS6_6detail15normal_iteratorINS6_10device_ptrIjEEEENSD_INSE_IS9_EEEEjNS0_19identity_decomposerEEE10hipError_tT1_T2_PT3_SN_jT4_jjP12ihipStream_tbEUlT_E0_NS1_11comp_targetILNS1_3genE5ELNS1_11target_archE942ELNS1_3gpuE9ELNS1_3repE0EEENS1_52radix_sort_onesweep_histogram_config_static_selectorELNS0_4arch9wavefront6targetE0EEEvSL_
	.globl	_ZN7rocprim17ROCPRIM_400000_NS6detail17trampoline_kernelINS0_14default_configENS1_35radix_sort_onesweep_config_selectorIjN6thrust23THRUST_200600_302600_NS5tupleIffNS6_9null_typeES8_S8_S8_S8_S8_S8_S8_EEEEZNS1_34radix_sort_onesweep_global_offsetsIS3_Lb0ENS6_6detail15normal_iteratorINS6_10device_ptrIjEEEENSD_INSE_IS9_EEEEjNS0_19identity_decomposerEEE10hipError_tT1_T2_PT3_SN_jT4_jjP12ihipStream_tbEUlT_E0_NS1_11comp_targetILNS1_3genE5ELNS1_11target_archE942ELNS1_3gpuE9ELNS1_3repE0EEENS1_52radix_sort_onesweep_histogram_config_static_selectorELNS0_4arch9wavefront6targetE0EEEvSL_
	.p2align	8
	.type	_ZN7rocprim17ROCPRIM_400000_NS6detail17trampoline_kernelINS0_14default_configENS1_35radix_sort_onesweep_config_selectorIjN6thrust23THRUST_200600_302600_NS5tupleIffNS6_9null_typeES8_S8_S8_S8_S8_S8_S8_EEEEZNS1_34radix_sort_onesweep_global_offsetsIS3_Lb0ENS6_6detail15normal_iteratorINS6_10device_ptrIjEEEENSD_INSE_IS9_EEEEjNS0_19identity_decomposerEEE10hipError_tT1_T2_PT3_SN_jT4_jjP12ihipStream_tbEUlT_E0_NS1_11comp_targetILNS1_3genE5ELNS1_11target_archE942ELNS1_3gpuE9ELNS1_3repE0EEENS1_52radix_sort_onesweep_histogram_config_static_selectorELNS0_4arch9wavefront6targetE0EEEvSL_,@function
_ZN7rocprim17ROCPRIM_400000_NS6detail17trampoline_kernelINS0_14default_configENS1_35radix_sort_onesweep_config_selectorIjN6thrust23THRUST_200600_302600_NS5tupleIffNS6_9null_typeES8_S8_S8_S8_S8_S8_S8_EEEEZNS1_34radix_sort_onesweep_global_offsetsIS3_Lb0ENS6_6detail15normal_iteratorINS6_10device_ptrIjEEEENSD_INSE_IS9_EEEEjNS0_19identity_decomposerEEE10hipError_tT1_T2_PT3_SN_jT4_jjP12ihipStream_tbEUlT_E0_NS1_11comp_targetILNS1_3genE5ELNS1_11target_archE942ELNS1_3gpuE9ELNS1_3repE0EEENS1_52radix_sort_onesweep_histogram_config_static_selectorELNS0_4arch9wavefront6targetE0EEEvSL_: ; @_ZN7rocprim17ROCPRIM_400000_NS6detail17trampoline_kernelINS0_14default_configENS1_35radix_sort_onesweep_config_selectorIjN6thrust23THRUST_200600_302600_NS5tupleIffNS6_9null_typeES8_S8_S8_S8_S8_S8_S8_EEEEZNS1_34radix_sort_onesweep_global_offsetsIS3_Lb0ENS6_6detail15normal_iteratorINS6_10device_ptrIjEEEENSD_INSE_IS9_EEEEjNS0_19identity_decomposerEEE10hipError_tT1_T2_PT3_SN_jT4_jjP12ihipStream_tbEUlT_E0_NS1_11comp_targetILNS1_3genE5ELNS1_11target_archE942ELNS1_3gpuE9ELNS1_3repE0EEENS1_52radix_sort_onesweep_histogram_config_static_selectorELNS0_4arch9wavefront6targetE0EEEvSL_
; %bb.0:
	.section	.rodata,"a",@progbits
	.p2align	6, 0x0
	.amdhsa_kernel _ZN7rocprim17ROCPRIM_400000_NS6detail17trampoline_kernelINS0_14default_configENS1_35radix_sort_onesweep_config_selectorIjN6thrust23THRUST_200600_302600_NS5tupleIffNS6_9null_typeES8_S8_S8_S8_S8_S8_S8_EEEEZNS1_34radix_sort_onesweep_global_offsetsIS3_Lb0ENS6_6detail15normal_iteratorINS6_10device_ptrIjEEEENSD_INSE_IS9_EEEEjNS0_19identity_decomposerEEE10hipError_tT1_T2_PT3_SN_jT4_jjP12ihipStream_tbEUlT_E0_NS1_11comp_targetILNS1_3genE5ELNS1_11target_archE942ELNS1_3gpuE9ELNS1_3repE0EEENS1_52radix_sort_onesweep_histogram_config_static_selectorELNS0_4arch9wavefront6targetE0EEEvSL_
		.amdhsa_group_segment_fixed_size 0
		.amdhsa_private_segment_fixed_size 0
		.amdhsa_kernarg_size 8
		.amdhsa_user_sgpr_count 2
		.amdhsa_user_sgpr_dispatch_ptr 0
		.amdhsa_user_sgpr_queue_ptr 0
		.amdhsa_user_sgpr_kernarg_segment_ptr 1
		.amdhsa_user_sgpr_dispatch_id 0
		.amdhsa_user_sgpr_private_segment_size 0
		.amdhsa_wavefront_size32 1
		.amdhsa_uses_dynamic_stack 0
		.amdhsa_enable_private_segment 0
		.amdhsa_system_sgpr_workgroup_id_x 1
		.amdhsa_system_sgpr_workgroup_id_y 0
		.amdhsa_system_sgpr_workgroup_id_z 0
		.amdhsa_system_sgpr_workgroup_info 0
		.amdhsa_system_vgpr_workitem_id 0
		.amdhsa_next_free_vgpr 1
		.amdhsa_next_free_sgpr 1
		.amdhsa_reserve_vcc 0
		.amdhsa_float_round_mode_32 0
		.amdhsa_float_round_mode_16_64 0
		.amdhsa_float_denorm_mode_32 3
		.amdhsa_float_denorm_mode_16_64 3
		.amdhsa_fp16_overflow 0
		.amdhsa_workgroup_processor_mode 1
		.amdhsa_memory_ordered 1
		.amdhsa_forward_progress 1
		.amdhsa_inst_pref_size 0
		.amdhsa_round_robin_scheduling 0
		.amdhsa_exception_fp_ieee_invalid_op 0
		.amdhsa_exception_fp_denorm_src 0
		.amdhsa_exception_fp_ieee_div_zero 0
		.amdhsa_exception_fp_ieee_overflow 0
		.amdhsa_exception_fp_ieee_underflow 0
		.amdhsa_exception_fp_ieee_inexact 0
		.amdhsa_exception_int_div_zero 0
	.end_amdhsa_kernel
	.section	.text._ZN7rocprim17ROCPRIM_400000_NS6detail17trampoline_kernelINS0_14default_configENS1_35radix_sort_onesweep_config_selectorIjN6thrust23THRUST_200600_302600_NS5tupleIffNS6_9null_typeES8_S8_S8_S8_S8_S8_S8_EEEEZNS1_34radix_sort_onesweep_global_offsetsIS3_Lb0ENS6_6detail15normal_iteratorINS6_10device_ptrIjEEEENSD_INSE_IS9_EEEEjNS0_19identity_decomposerEEE10hipError_tT1_T2_PT3_SN_jT4_jjP12ihipStream_tbEUlT_E0_NS1_11comp_targetILNS1_3genE5ELNS1_11target_archE942ELNS1_3gpuE9ELNS1_3repE0EEENS1_52radix_sort_onesweep_histogram_config_static_selectorELNS0_4arch9wavefront6targetE0EEEvSL_,"axG",@progbits,_ZN7rocprim17ROCPRIM_400000_NS6detail17trampoline_kernelINS0_14default_configENS1_35radix_sort_onesweep_config_selectorIjN6thrust23THRUST_200600_302600_NS5tupleIffNS6_9null_typeES8_S8_S8_S8_S8_S8_S8_EEEEZNS1_34radix_sort_onesweep_global_offsetsIS3_Lb0ENS6_6detail15normal_iteratorINS6_10device_ptrIjEEEENSD_INSE_IS9_EEEEjNS0_19identity_decomposerEEE10hipError_tT1_T2_PT3_SN_jT4_jjP12ihipStream_tbEUlT_E0_NS1_11comp_targetILNS1_3genE5ELNS1_11target_archE942ELNS1_3gpuE9ELNS1_3repE0EEENS1_52radix_sort_onesweep_histogram_config_static_selectorELNS0_4arch9wavefront6targetE0EEEvSL_,comdat
.Lfunc_end150:
	.size	_ZN7rocprim17ROCPRIM_400000_NS6detail17trampoline_kernelINS0_14default_configENS1_35radix_sort_onesweep_config_selectorIjN6thrust23THRUST_200600_302600_NS5tupleIffNS6_9null_typeES8_S8_S8_S8_S8_S8_S8_EEEEZNS1_34radix_sort_onesweep_global_offsetsIS3_Lb0ENS6_6detail15normal_iteratorINS6_10device_ptrIjEEEENSD_INSE_IS9_EEEEjNS0_19identity_decomposerEEE10hipError_tT1_T2_PT3_SN_jT4_jjP12ihipStream_tbEUlT_E0_NS1_11comp_targetILNS1_3genE5ELNS1_11target_archE942ELNS1_3gpuE9ELNS1_3repE0EEENS1_52radix_sort_onesweep_histogram_config_static_selectorELNS0_4arch9wavefront6targetE0EEEvSL_, .Lfunc_end150-_ZN7rocprim17ROCPRIM_400000_NS6detail17trampoline_kernelINS0_14default_configENS1_35radix_sort_onesweep_config_selectorIjN6thrust23THRUST_200600_302600_NS5tupleIffNS6_9null_typeES8_S8_S8_S8_S8_S8_S8_EEEEZNS1_34radix_sort_onesweep_global_offsetsIS3_Lb0ENS6_6detail15normal_iteratorINS6_10device_ptrIjEEEENSD_INSE_IS9_EEEEjNS0_19identity_decomposerEEE10hipError_tT1_T2_PT3_SN_jT4_jjP12ihipStream_tbEUlT_E0_NS1_11comp_targetILNS1_3genE5ELNS1_11target_archE942ELNS1_3gpuE9ELNS1_3repE0EEENS1_52radix_sort_onesweep_histogram_config_static_selectorELNS0_4arch9wavefront6targetE0EEEvSL_
                                        ; -- End function
	.set _ZN7rocprim17ROCPRIM_400000_NS6detail17trampoline_kernelINS0_14default_configENS1_35radix_sort_onesweep_config_selectorIjN6thrust23THRUST_200600_302600_NS5tupleIffNS6_9null_typeES8_S8_S8_S8_S8_S8_S8_EEEEZNS1_34radix_sort_onesweep_global_offsetsIS3_Lb0ENS6_6detail15normal_iteratorINS6_10device_ptrIjEEEENSD_INSE_IS9_EEEEjNS0_19identity_decomposerEEE10hipError_tT1_T2_PT3_SN_jT4_jjP12ihipStream_tbEUlT_E0_NS1_11comp_targetILNS1_3genE5ELNS1_11target_archE942ELNS1_3gpuE9ELNS1_3repE0EEENS1_52radix_sort_onesweep_histogram_config_static_selectorELNS0_4arch9wavefront6targetE0EEEvSL_.num_vgpr, 0
	.set _ZN7rocprim17ROCPRIM_400000_NS6detail17trampoline_kernelINS0_14default_configENS1_35radix_sort_onesweep_config_selectorIjN6thrust23THRUST_200600_302600_NS5tupleIffNS6_9null_typeES8_S8_S8_S8_S8_S8_S8_EEEEZNS1_34radix_sort_onesweep_global_offsetsIS3_Lb0ENS6_6detail15normal_iteratorINS6_10device_ptrIjEEEENSD_INSE_IS9_EEEEjNS0_19identity_decomposerEEE10hipError_tT1_T2_PT3_SN_jT4_jjP12ihipStream_tbEUlT_E0_NS1_11comp_targetILNS1_3genE5ELNS1_11target_archE942ELNS1_3gpuE9ELNS1_3repE0EEENS1_52radix_sort_onesweep_histogram_config_static_selectorELNS0_4arch9wavefront6targetE0EEEvSL_.num_agpr, 0
	.set _ZN7rocprim17ROCPRIM_400000_NS6detail17trampoline_kernelINS0_14default_configENS1_35radix_sort_onesweep_config_selectorIjN6thrust23THRUST_200600_302600_NS5tupleIffNS6_9null_typeES8_S8_S8_S8_S8_S8_S8_EEEEZNS1_34radix_sort_onesweep_global_offsetsIS3_Lb0ENS6_6detail15normal_iteratorINS6_10device_ptrIjEEEENSD_INSE_IS9_EEEEjNS0_19identity_decomposerEEE10hipError_tT1_T2_PT3_SN_jT4_jjP12ihipStream_tbEUlT_E0_NS1_11comp_targetILNS1_3genE5ELNS1_11target_archE942ELNS1_3gpuE9ELNS1_3repE0EEENS1_52radix_sort_onesweep_histogram_config_static_selectorELNS0_4arch9wavefront6targetE0EEEvSL_.numbered_sgpr, 0
	.set _ZN7rocprim17ROCPRIM_400000_NS6detail17trampoline_kernelINS0_14default_configENS1_35radix_sort_onesweep_config_selectorIjN6thrust23THRUST_200600_302600_NS5tupleIffNS6_9null_typeES8_S8_S8_S8_S8_S8_S8_EEEEZNS1_34radix_sort_onesweep_global_offsetsIS3_Lb0ENS6_6detail15normal_iteratorINS6_10device_ptrIjEEEENSD_INSE_IS9_EEEEjNS0_19identity_decomposerEEE10hipError_tT1_T2_PT3_SN_jT4_jjP12ihipStream_tbEUlT_E0_NS1_11comp_targetILNS1_3genE5ELNS1_11target_archE942ELNS1_3gpuE9ELNS1_3repE0EEENS1_52radix_sort_onesweep_histogram_config_static_selectorELNS0_4arch9wavefront6targetE0EEEvSL_.num_named_barrier, 0
	.set _ZN7rocprim17ROCPRIM_400000_NS6detail17trampoline_kernelINS0_14default_configENS1_35radix_sort_onesweep_config_selectorIjN6thrust23THRUST_200600_302600_NS5tupleIffNS6_9null_typeES8_S8_S8_S8_S8_S8_S8_EEEEZNS1_34radix_sort_onesweep_global_offsetsIS3_Lb0ENS6_6detail15normal_iteratorINS6_10device_ptrIjEEEENSD_INSE_IS9_EEEEjNS0_19identity_decomposerEEE10hipError_tT1_T2_PT3_SN_jT4_jjP12ihipStream_tbEUlT_E0_NS1_11comp_targetILNS1_3genE5ELNS1_11target_archE942ELNS1_3gpuE9ELNS1_3repE0EEENS1_52radix_sort_onesweep_histogram_config_static_selectorELNS0_4arch9wavefront6targetE0EEEvSL_.private_seg_size, 0
	.set _ZN7rocprim17ROCPRIM_400000_NS6detail17trampoline_kernelINS0_14default_configENS1_35radix_sort_onesweep_config_selectorIjN6thrust23THRUST_200600_302600_NS5tupleIffNS6_9null_typeES8_S8_S8_S8_S8_S8_S8_EEEEZNS1_34radix_sort_onesweep_global_offsetsIS3_Lb0ENS6_6detail15normal_iteratorINS6_10device_ptrIjEEEENSD_INSE_IS9_EEEEjNS0_19identity_decomposerEEE10hipError_tT1_T2_PT3_SN_jT4_jjP12ihipStream_tbEUlT_E0_NS1_11comp_targetILNS1_3genE5ELNS1_11target_archE942ELNS1_3gpuE9ELNS1_3repE0EEENS1_52radix_sort_onesweep_histogram_config_static_selectorELNS0_4arch9wavefront6targetE0EEEvSL_.uses_vcc, 0
	.set _ZN7rocprim17ROCPRIM_400000_NS6detail17trampoline_kernelINS0_14default_configENS1_35radix_sort_onesweep_config_selectorIjN6thrust23THRUST_200600_302600_NS5tupleIffNS6_9null_typeES8_S8_S8_S8_S8_S8_S8_EEEEZNS1_34radix_sort_onesweep_global_offsetsIS3_Lb0ENS6_6detail15normal_iteratorINS6_10device_ptrIjEEEENSD_INSE_IS9_EEEEjNS0_19identity_decomposerEEE10hipError_tT1_T2_PT3_SN_jT4_jjP12ihipStream_tbEUlT_E0_NS1_11comp_targetILNS1_3genE5ELNS1_11target_archE942ELNS1_3gpuE9ELNS1_3repE0EEENS1_52radix_sort_onesweep_histogram_config_static_selectorELNS0_4arch9wavefront6targetE0EEEvSL_.uses_flat_scratch, 0
	.set _ZN7rocprim17ROCPRIM_400000_NS6detail17trampoline_kernelINS0_14default_configENS1_35radix_sort_onesweep_config_selectorIjN6thrust23THRUST_200600_302600_NS5tupleIffNS6_9null_typeES8_S8_S8_S8_S8_S8_S8_EEEEZNS1_34radix_sort_onesweep_global_offsetsIS3_Lb0ENS6_6detail15normal_iteratorINS6_10device_ptrIjEEEENSD_INSE_IS9_EEEEjNS0_19identity_decomposerEEE10hipError_tT1_T2_PT3_SN_jT4_jjP12ihipStream_tbEUlT_E0_NS1_11comp_targetILNS1_3genE5ELNS1_11target_archE942ELNS1_3gpuE9ELNS1_3repE0EEENS1_52radix_sort_onesweep_histogram_config_static_selectorELNS0_4arch9wavefront6targetE0EEEvSL_.has_dyn_sized_stack, 0
	.set _ZN7rocprim17ROCPRIM_400000_NS6detail17trampoline_kernelINS0_14default_configENS1_35radix_sort_onesweep_config_selectorIjN6thrust23THRUST_200600_302600_NS5tupleIffNS6_9null_typeES8_S8_S8_S8_S8_S8_S8_EEEEZNS1_34radix_sort_onesweep_global_offsetsIS3_Lb0ENS6_6detail15normal_iteratorINS6_10device_ptrIjEEEENSD_INSE_IS9_EEEEjNS0_19identity_decomposerEEE10hipError_tT1_T2_PT3_SN_jT4_jjP12ihipStream_tbEUlT_E0_NS1_11comp_targetILNS1_3genE5ELNS1_11target_archE942ELNS1_3gpuE9ELNS1_3repE0EEENS1_52radix_sort_onesweep_histogram_config_static_selectorELNS0_4arch9wavefront6targetE0EEEvSL_.has_recursion, 0
	.set _ZN7rocprim17ROCPRIM_400000_NS6detail17trampoline_kernelINS0_14default_configENS1_35radix_sort_onesweep_config_selectorIjN6thrust23THRUST_200600_302600_NS5tupleIffNS6_9null_typeES8_S8_S8_S8_S8_S8_S8_EEEEZNS1_34radix_sort_onesweep_global_offsetsIS3_Lb0ENS6_6detail15normal_iteratorINS6_10device_ptrIjEEEENSD_INSE_IS9_EEEEjNS0_19identity_decomposerEEE10hipError_tT1_T2_PT3_SN_jT4_jjP12ihipStream_tbEUlT_E0_NS1_11comp_targetILNS1_3genE5ELNS1_11target_archE942ELNS1_3gpuE9ELNS1_3repE0EEENS1_52radix_sort_onesweep_histogram_config_static_selectorELNS0_4arch9wavefront6targetE0EEEvSL_.has_indirect_call, 0
	.section	.AMDGPU.csdata,"",@progbits
; Kernel info:
; codeLenInByte = 0
; TotalNumSgprs: 0
; NumVgprs: 0
; ScratchSize: 0
; MemoryBound: 0
; FloatMode: 240
; IeeeMode: 1
; LDSByteSize: 0 bytes/workgroup (compile time only)
; SGPRBlocks: 0
; VGPRBlocks: 0
; NumSGPRsForWavesPerEU: 1
; NumVGPRsForWavesPerEU: 1
; Occupancy: 16
; WaveLimiterHint : 0
; COMPUTE_PGM_RSRC2:SCRATCH_EN: 0
; COMPUTE_PGM_RSRC2:USER_SGPR: 2
; COMPUTE_PGM_RSRC2:TRAP_HANDLER: 0
; COMPUTE_PGM_RSRC2:TGID_X_EN: 1
; COMPUTE_PGM_RSRC2:TGID_Y_EN: 0
; COMPUTE_PGM_RSRC2:TGID_Z_EN: 0
; COMPUTE_PGM_RSRC2:TIDIG_COMP_CNT: 0
	.section	.text._ZN7rocprim17ROCPRIM_400000_NS6detail17trampoline_kernelINS0_14default_configENS1_35radix_sort_onesweep_config_selectorIjN6thrust23THRUST_200600_302600_NS5tupleIffNS6_9null_typeES8_S8_S8_S8_S8_S8_S8_EEEEZNS1_34radix_sort_onesweep_global_offsetsIS3_Lb0ENS6_6detail15normal_iteratorINS6_10device_ptrIjEEEENSD_INSE_IS9_EEEEjNS0_19identity_decomposerEEE10hipError_tT1_T2_PT3_SN_jT4_jjP12ihipStream_tbEUlT_E0_NS1_11comp_targetILNS1_3genE2ELNS1_11target_archE906ELNS1_3gpuE6ELNS1_3repE0EEENS1_52radix_sort_onesweep_histogram_config_static_selectorELNS0_4arch9wavefront6targetE0EEEvSL_,"axG",@progbits,_ZN7rocprim17ROCPRIM_400000_NS6detail17trampoline_kernelINS0_14default_configENS1_35radix_sort_onesweep_config_selectorIjN6thrust23THRUST_200600_302600_NS5tupleIffNS6_9null_typeES8_S8_S8_S8_S8_S8_S8_EEEEZNS1_34radix_sort_onesweep_global_offsetsIS3_Lb0ENS6_6detail15normal_iteratorINS6_10device_ptrIjEEEENSD_INSE_IS9_EEEEjNS0_19identity_decomposerEEE10hipError_tT1_T2_PT3_SN_jT4_jjP12ihipStream_tbEUlT_E0_NS1_11comp_targetILNS1_3genE2ELNS1_11target_archE906ELNS1_3gpuE6ELNS1_3repE0EEENS1_52radix_sort_onesweep_histogram_config_static_selectorELNS0_4arch9wavefront6targetE0EEEvSL_,comdat
	.protected	_ZN7rocprim17ROCPRIM_400000_NS6detail17trampoline_kernelINS0_14default_configENS1_35radix_sort_onesweep_config_selectorIjN6thrust23THRUST_200600_302600_NS5tupleIffNS6_9null_typeES8_S8_S8_S8_S8_S8_S8_EEEEZNS1_34radix_sort_onesweep_global_offsetsIS3_Lb0ENS6_6detail15normal_iteratorINS6_10device_ptrIjEEEENSD_INSE_IS9_EEEEjNS0_19identity_decomposerEEE10hipError_tT1_T2_PT3_SN_jT4_jjP12ihipStream_tbEUlT_E0_NS1_11comp_targetILNS1_3genE2ELNS1_11target_archE906ELNS1_3gpuE6ELNS1_3repE0EEENS1_52radix_sort_onesweep_histogram_config_static_selectorELNS0_4arch9wavefront6targetE0EEEvSL_ ; -- Begin function _ZN7rocprim17ROCPRIM_400000_NS6detail17trampoline_kernelINS0_14default_configENS1_35radix_sort_onesweep_config_selectorIjN6thrust23THRUST_200600_302600_NS5tupleIffNS6_9null_typeES8_S8_S8_S8_S8_S8_S8_EEEEZNS1_34radix_sort_onesweep_global_offsetsIS3_Lb0ENS6_6detail15normal_iteratorINS6_10device_ptrIjEEEENSD_INSE_IS9_EEEEjNS0_19identity_decomposerEEE10hipError_tT1_T2_PT3_SN_jT4_jjP12ihipStream_tbEUlT_E0_NS1_11comp_targetILNS1_3genE2ELNS1_11target_archE906ELNS1_3gpuE6ELNS1_3repE0EEENS1_52radix_sort_onesweep_histogram_config_static_selectorELNS0_4arch9wavefront6targetE0EEEvSL_
	.globl	_ZN7rocprim17ROCPRIM_400000_NS6detail17trampoline_kernelINS0_14default_configENS1_35radix_sort_onesweep_config_selectorIjN6thrust23THRUST_200600_302600_NS5tupleIffNS6_9null_typeES8_S8_S8_S8_S8_S8_S8_EEEEZNS1_34radix_sort_onesweep_global_offsetsIS3_Lb0ENS6_6detail15normal_iteratorINS6_10device_ptrIjEEEENSD_INSE_IS9_EEEEjNS0_19identity_decomposerEEE10hipError_tT1_T2_PT3_SN_jT4_jjP12ihipStream_tbEUlT_E0_NS1_11comp_targetILNS1_3genE2ELNS1_11target_archE906ELNS1_3gpuE6ELNS1_3repE0EEENS1_52radix_sort_onesweep_histogram_config_static_selectorELNS0_4arch9wavefront6targetE0EEEvSL_
	.p2align	8
	.type	_ZN7rocprim17ROCPRIM_400000_NS6detail17trampoline_kernelINS0_14default_configENS1_35radix_sort_onesweep_config_selectorIjN6thrust23THRUST_200600_302600_NS5tupleIffNS6_9null_typeES8_S8_S8_S8_S8_S8_S8_EEEEZNS1_34radix_sort_onesweep_global_offsetsIS3_Lb0ENS6_6detail15normal_iteratorINS6_10device_ptrIjEEEENSD_INSE_IS9_EEEEjNS0_19identity_decomposerEEE10hipError_tT1_T2_PT3_SN_jT4_jjP12ihipStream_tbEUlT_E0_NS1_11comp_targetILNS1_3genE2ELNS1_11target_archE906ELNS1_3gpuE6ELNS1_3repE0EEENS1_52radix_sort_onesweep_histogram_config_static_selectorELNS0_4arch9wavefront6targetE0EEEvSL_,@function
_ZN7rocprim17ROCPRIM_400000_NS6detail17trampoline_kernelINS0_14default_configENS1_35radix_sort_onesweep_config_selectorIjN6thrust23THRUST_200600_302600_NS5tupleIffNS6_9null_typeES8_S8_S8_S8_S8_S8_S8_EEEEZNS1_34radix_sort_onesweep_global_offsetsIS3_Lb0ENS6_6detail15normal_iteratorINS6_10device_ptrIjEEEENSD_INSE_IS9_EEEEjNS0_19identity_decomposerEEE10hipError_tT1_T2_PT3_SN_jT4_jjP12ihipStream_tbEUlT_E0_NS1_11comp_targetILNS1_3genE2ELNS1_11target_archE906ELNS1_3gpuE6ELNS1_3repE0EEENS1_52radix_sort_onesweep_histogram_config_static_selectorELNS0_4arch9wavefront6targetE0EEEvSL_: ; @_ZN7rocprim17ROCPRIM_400000_NS6detail17trampoline_kernelINS0_14default_configENS1_35radix_sort_onesweep_config_selectorIjN6thrust23THRUST_200600_302600_NS5tupleIffNS6_9null_typeES8_S8_S8_S8_S8_S8_S8_EEEEZNS1_34radix_sort_onesweep_global_offsetsIS3_Lb0ENS6_6detail15normal_iteratorINS6_10device_ptrIjEEEENSD_INSE_IS9_EEEEjNS0_19identity_decomposerEEE10hipError_tT1_T2_PT3_SN_jT4_jjP12ihipStream_tbEUlT_E0_NS1_11comp_targetILNS1_3genE2ELNS1_11target_archE906ELNS1_3gpuE6ELNS1_3repE0EEENS1_52radix_sort_onesweep_histogram_config_static_selectorELNS0_4arch9wavefront6targetE0EEEvSL_
; %bb.0:
	.section	.rodata,"a",@progbits
	.p2align	6, 0x0
	.amdhsa_kernel _ZN7rocprim17ROCPRIM_400000_NS6detail17trampoline_kernelINS0_14default_configENS1_35radix_sort_onesweep_config_selectorIjN6thrust23THRUST_200600_302600_NS5tupleIffNS6_9null_typeES8_S8_S8_S8_S8_S8_S8_EEEEZNS1_34radix_sort_onesweep_global_offsetsIS3_Lb0ENS6_6detail15normal_iteratorINS6_10device_ptrIjEEEENSD_INSE_IS9_EEEEjNS0_19identity_decomposerEEE10hipError_tT1_T2_PT3_SN_jT4_jjP12ihipStream_tbEUlT_E0_NS1_11comp_targetILNS1_3genE2ELNS1_11target_archE906ELNS1_3gpuE6ELNS1_3repE0EEENS1_52radix_sort_onesweep_histogram_config_static_selectorELNS0_4arch9wavefront6targetE0EEEvSL_
		.amdhsa_group_segment_fixed_size 0
		.amdhsa_private_segment_fixed_size 0
		.amdhsa_kernarg_size 8
		.amdhsa_user_sgpr_count 2
		.amdhsa_user_sgpr_dispatch_ptr 0
		.amdhsa_user_sgpr_queue_ptr 0
		.amdhsa_user_sgpr_kernarg_segment_ptr 1
		.amdhsa_user_sgpr_dispatch_id 0
		.amdhsa_user_sgpr_private_segment_size 0
		.amdhsa_wavefront_size32 1
		.amdhsa_uses_dynamic_stack 0
		.amdhsa_enable_private_segment 0
		.amdhsa_system_sgpr_workgroup_id_x 1
		.amdhsa_system_sgpr_workgroup_id_y 0
		.amdhsa_system_sgpr_workgroup_id_z 0
		.amdhsa_system_sgpr_workgroup_info 0
		.amdhsa_system_vgpr_workitem_id 0
		.amdhsa_next_free_vgpr 1
		.amdhsa_next_free_sgpr 1
		.amdhsa_reserve_vcc 0
		.amdhsa_float_round_mode_32 0
		.amdhsa_float_round_mode_16_64 0
		.amdhsa_float_denorm_mode_32 3
		.amdhsa_float_denorm_mode_16_64 3
		.amdhsa_fp16_overflow 0
		.amdhsa_workgroup_processor_mode 1
		.amdhsa_memory_ordered 1
		.amdhsa_forward_progress 1
		.amdhsa_inst_pref_size 0
		.amdhsa_round_robin_scheduling 0
		.amdhsa_exception_fp_ieee_invalid_op 0
		.amdhsa_exception_fp_denorm_src 0
		.amdhsa_exception_fp_ieee_div_zero 0
		.amdhsa_exception_fp_ieee_overflow 0
		.amdhsa_exception_fp_ieee_underflow 0
		.amdhsa_exception_fp_ieee_inexact 0
		.amdhsa_exception_int_div_zero 0
	.end_amdhsa_kernel
	.section	.text._ZN7rocprim17ROCPRIM_400000_NS6detail17trampoline_kernelINS0_14default_configENS1_35radix_sort_onesweep_config_selectorIjN6thrust23THRUST_200600_302600_NS5tupleIffNS6_9null_typeES8_S8_S8_S8_S8_S8_S8_EEEEZNS1_34radix_sort_onesweep_global_offsetsIS3_Lb0ENS6_6detail15normal_iteratorINS6_10device_ptrIjEEEENSD_INSE_IS9_EEEEjNS0_19identity_decomposerEEE10hipError_tT1_T2_PT3_SN_jT4_jjP12ihipStream_tbEUlT_E0_NS1_11comp_targetILNS1_3genE2ELNS1_11target_archE906ELNS1_3gpuE6ELNS1_3repE0EEENS1_52radix_sort_onesweep_histogram_config_static_selectorELNS0_4arch9wavefront6targetE0EEEvSL_,"axG",@progbits,_ZN7rocprim17ROCPRIM_400000_NS6detail17trampoline_kernelINS0_14default_configENS1_35radix_sort_onesweep_config_selectorIjN6thrust23THRUST_200600_302600_NS5tupleIffNS6_9null_typeES8_S8_S8_S8_S8_S8_S8_EEEEZNS1_34radix_sort_onesweep_global_offsetsIS3_Lb0ENS6_6detail15normal_iteratorINS6_10device_ptrIjEEEENSD_INSE_IS9_EEEEjNS0_19identity_decomposerEEE10hipError_tT1_T2_PT3_SN_jT4_jjP12ihipStream_tbEUlT_E0_NS1_11comp_targetILNS1_3genE2ELNS1_11target_archE906ELNS1_3gpuE6ELNS1_3repE0EEENS1_52radix_sort_onesweep_histogram_config_static_selectorELNS0_4arch9wavefront6targetE0EEEvSL_,comdat
.Lfunc_end151:
	.size	_ZN7rocprim17ROCPRIM_400000_NS6detail17trampoline_kernelINS0_14default_configENS1_35radix_sort_onesweep_config_selectorIjN6thrust23THRUST_200600_302600_NS5tupleIffNS6_9null_typeES8_S8_S8_S8_S8_S8_S8_EEEEZNS1_34radix_sort_onesweep_global_offsetsIS3_Lb0ENS6_6detail15normal_iteratorINS6_10device_ptrIjEEEENSD_INSE_IS9_EEEEjNS0_19identity_decomposerEEE10hipError_tT1_T2_PT3_SN_jT4_jjP12ihipStream_tbEUlT_E0_NS1_11comp_targetILNS1_3genE2ELNS1_11target_archE906ELNS1_3gpuE6ELNS1_3repE0EEENS1_52radix_sort_onesweep_histogram_config_static_selectorELNS0_4arch9wavefront6targetE0EEEvSL_, .Lfunc_end151-_ZN7rocprim17ROCPRIM_400000_NS6detail17trampoline_kernelINS0_14default_configENS1_35radix_sort_onesweep_config_selectorIjN6thrust23THRUST_200600_302600_NS5tupleIffNS6_9null_typeES8_S8_S8_S8_S8_S8_S8_EEEEZNS1_34radix_sort_onesweep_global_offsetsIS3_Lb0ENS6_6detail15normal_iteratorINS6_10device_ptrIjEEEENSD_INSE_IS9_EEEEjNS0_19identity_decomposerEEE10hipError_tT1_T2_PT3_SN_jT4_jjP12ihipStream_tbEUlT_E0_NS1_11comp_targetILNS1_3genE2ELNS1_11target_archE906ELNS1_3gpuE6ELNS1_3repE0EEENS1_52radix_sort_onesweep_histogram_config_static_selectorELNS0_4arch9wavefront6targetE0EEEvSL_
                                        ; -- End function
	.set _ZN7rocprim17ROCPRIM_400000_NS6detail17trampoline_kernelINS0_14default_configENS1_35radix_sort_onesweep_config_selectorIjN6thrust23THRUST_200600_302600_NS5tupleIffNS6_9null_typeES8_S8_S8_S8_S8_S8_S8_EEEEZNS1_34radix_sort_onesweep_global_offsetsIS3_Lb0ENS6_6detail15normal_iteratorINS6_10device_ptrIjEEEENSD_INSE_IS9_EEEEjNS0_19identity_decomposerEEE10hipError_tT1_T2_PT3_SN_jT4_jjP12ihipStream_tbEUlT_E0_NS1_11comp_targetILNS1_3genE2ELNS1_11target_archE906ELNS1_3gpuE6ELNS1_3repE0EEENS1_52radix_sort_onesweep_histogram_config_static_selectorELNS0_4arch9wavefront6targetE0EEEvSL_.num_vgpr, 0
	.set _ZN7rocprim17ROCPRIM_400000_NS6detail17trampoline_kernelINS0_14default_configENS1_35radix_sort_onesweep_config_selectorIjN6thrust23THRUST_200600_302600_NS5tupleIffNS6_9null_typeES8_S8_S8_S8_S8_S8_S8_EEEEZNS1_34radix_sort_onesweep_global_offsetsIS3_Lb0ENS6_6detail15normal_iteratorINS6_10device_ptrIjEEEENSD_INSE_IS9_EEEEjNS0_19identity_decomposerEEE10hipError_tT1_T2_PT3_SN_jT4_jjP12ihipStream_tbEUlT_E0_NS1_11comp_targetILNS1_3genE2ELNS1_11target_archE906ELNS1_3gpuE6ELNS1_3repE0EEENS1_52radix_sort_onesweep_histogram_config_static_selectorELNS0_4arch9wavefront6targetE0EEEvSL_.num_agpr, 0
	.set _ZN7rocprim17ROCPRIM_400000_NS6detail17trampoline_kernelINS0_14default_configENS1_35radix_sort_onesweep_config_selectorIjN6thrust23THRUST_200600_302600_NS5tupleIffNS6_9null_typeES8_S8_S8_S8_S8_S8_S8_EEEEZNS1_34radix_sort_onesweep_global_offsetsIS3_Lb0ENS6_6detail15normal_iteratorINS6_10device_ptrIjEEEENSD_INSE_IS9_EEEEjNS0_19identity_decomposerEEE10hipError_tT1_T2_PT3_SN_jT4_jjP12ihipStream_tbEUlT_E0_NS1_11comp_targetILNS1_3genE2ELNS1_11target_archE906ELNS1_3gpuE6ELNS1_3repE0EEENS1_52radix_sort_onesweep_histogram_config_static_selectorELNS0_4arch9wavefront6targetE0EEEvSL_.numbered_sgpr, 0
	.set _ZN7rocprim17ROCPRIM_400000_NS6detail17trampoline_kernelINS0_14default_configENS1_35radix_sort_onesweep_config_selectorIjN6thrust23THRUST_200600_302600_NS5tupleIffNS6_9null_typeES8_S8_S8_S8_S8_S8_S8_EEEEZNS1_34radix_sort_onesweep_global_offsetsIS3_Lb0ENS6_6detail15normal_iteratorINS6_10device_ptrIjEEEENSD_INSE_IS9_EEEEjNS0_19identity_decomposerEEE10hipError_tT1_T2_PT3_SN_jT4_jjP12ihipStream_tbEUlT_E0_NS1_11comp_targetILNS1_3genE2ELNS1_11target_archE906ELNS1_3gpuE6ELNS1_3repE0EEENS1_52radix_sort_onesweep_histogram_config_static_selectorELNS0_4arch9wavefront6targetE0EEEvSL_.num_named_barrier, 0
	.set _ZN7rocprim17ROCPRIM_400000_NS6detail17trampoline_kernelINS0_14default_configENS1_35radix_sort_onesweep_config_selectorIjN6thrust23THRUST_200600_302600_NS5tupleIffNS6_9null_typeES8_S8_S8_S8_S8_S8_S8_EEEEZNS1_34radix_sort_onesweep_global_offsetsIS3_Lb0ENS6_6detail15normal_iteratorINS6_10device_ptrIjEEEENSD_INSE_IS9_EEEEjNS0_19identity_decomposerEEE10hipError_tT1_T2_PT3_SN_jT4_jjP12ihipStream_tbEUlT_E0_NS1_11comp_targetILNS1_3genE2ELNS1_11target_archE906ELNS1_3gpuE6ELNS1_3repE0EEENS1_52radix_sort_onesweep_histogram_config_static_selectorELNS0_4arch9wavefront6targetE0EEEvSL_.private_seg_size, 0
	.set _ZN7rocprim17ROCPRIM_400000_NS6detail17trampoline_kernelINS0_14default_configENS1_35radix_sort_onesweep_config_selectorIjN6thrust23THRUST_200600_302600_NS5tupleIffNS6_9null_typeES8_S8_S8_S8_S8_S8_S8_EEEEZNS1_34radix_sort_onesweep_global_offsetsIS3_Lb0ENS6_6detail15normal_iteratorINS6_10device_ptrIjEEEENSD_INSE_IS9_EEEEjNS0_19identity_decomposerEEE10hipError_tT1_T2_PT3_SN_jT4_jjP12ihipStream_tbEUlT_E0_NS1_11comp_targetILNS1_3genE2ELNS1_11target_archE906ELNS1_3gpuE6ELNS1_3repE0EEENS1_52radix_sort_onesweep_histogram_config_static_selectorELNS0_4arch9wavefront6targetE0EEEvSL_.uses_vcc, 0
	.set _ZN7rocprim17ROCPRIM_400000_NS6detail17trampoline_kernelINS0_14default_configENS1_35radix_sort_onesweep_config_selectorIjN6thrust23THRUST_200600_302600_NS5tupleIffNS6_9null_typeES8_S8_S8_S8_S8_S8_S8_EEEEZNS1_34radix_sort_onesweep_global_offsetsIS3_Lb0ENS6_6detail15normal_iteratorINS6_10device_ptrIjEEEENSD_INSE_IS9_EEEEjNS0_19identity_decomposerEEE10hipError_tT1_T2_PT3_SN_jT4_jjP12ihipStream_tbEUlT_E0_NS1_11comp_targetILNS1_3genE2ELNS1_11target_archE906ELNS1_3gpuE6ELNS1_3repE0EEENS1_52radix_sort_onesweep_histogram_config_static_selectorELNS0_4arch9wavefront6targetE0EEEvSL_.uses_flat_scratch, 0
	.set _ZN7rocprim17ROCPRIM_400000_NS6detail17trampoline_kernelINS0_14default_configENS1_35radix_sort_onesweep_config_selectorIjN6thrust23THRUST_200600_302600_NS5tupleIffNS6_9null_typeES8_S8_S8_S8_S8_S8_S8_EEEEZNS1_34radix_sort_onesweep_global_offsetsIS3_Lb0ENS6_6detail15normal_iteratorINS6_10device_ptrIjEEEENSD_INSE_IS9_EEEEjNS0_19identity_decomposerEEE10hipError_tT1_T2_PT3_SN_jT4_jjP12ihipStream_tbEUlT_E0_NS1_11comp_targetILNS1_3genE2ELNS1_11target_archE906ELNS1_3gpuE6ELNS1_3repE0EEENS1_52radix_sort_onesweep_histogram_config_static_selectorELNS0_4arch9wavefront6targetE0EEEvSL_.has_dyn_sized_stack, 0
	.set _ZN7rocprim17ROCPRIM_400000_NS6detail17trampoline_kernelINS0_14default_configENS1_35radix_sort_onesweep_config_selectorIjN6thrust23THRUST_200600_302600_NS5tupleIffNS6_9null_typeES8_S8_S8_S8_S8_S8_S8_EEEEZNS1_34radix_sort_onesweep_global_offsetsIS3_Lb0ENS6_6detail15normal_iteratorINS6_10device_ptrIjEEEENSD_INSE_IS9_EEEEjNS0_19identity_decomposerEEE10hipError_tT1_T2_PT3_SN_jT4_jjP12ihipStream_tbEUlT_E0_NS1_11comp_targetILNS1_3genE2ELNS1_11target_archE906ELNS1_3gpuE6ELNS1_3repE0EEENS1_52radix_sort_onesweep_histogram_config_static_selectorELNS0_4arch9wavefront6targetE0EEEvSL_.has_recursion, 0
	.set _ZN7rocprim17ROCPRIM_400000_NS6detail17trampoline_kernelINS0_14default_configENS1_35radix_sort_onesweep_config_selectorIjN6thrust23THRUST_200600_302600_NS5tupleIffNS6_9null_typeES8_S8_S8_S8_S8_S8_S8_EEEEZNS1_34radix_sort_onesweep_global_offsetsIS3_Lb0ENS6_6detail15normal_iteratorINS6_10device_ptrIjEEEENSD_INSE_IS9_EEEEjNS0_19identity_decomposerEEE10hipError_tT1_T2_PT3_SN_jT4_jjP12ihipStream_tbEUlT_E0_NS1_11comp_targetILNS1_3genE2ELNS1_11target_archE906ELNS1_3gpuE6ELNS1_3repE0EEENS1_52radix_sort_onesweep_histogram_config_static_selectorELNS0_4arch9wavefront6targetE0EEEvSL_.has_indirect_call, 0
	.section	.AMDGPU.csdata,"",@progbits
; Kernel info:
; codeLenInByte = 0
; TotalNumSgprs: 0
; NumVgprs: 0
; ScratchSize: 0
; MemoryBound: 0
; FloatMode: 240
; IeeeMode: 1
; LDSByteSize: 0 bytes/workgroup (compile time only)
; SGPRBlocks: 0
; VGPRBlocks: 0
; NumSGPRsForWavesPerEU: 1
; NumVGPRsForWavesPerEU: 1
; Occupancy: 16
; WaveLimiterHint : 0
; COMPUTE_PGM_RSRC2:SCRATCH_EN: 0
; COMPUTE_PGM_RSRC2:USER_SGPR: 2
; COMPUTE_PGM_RSRC2:TRAP_HANDLER: 0
; COMPUTE_PGM_RSRC2:TGID_X_EN: 1
; COMPUTE_PGM_RSRC2:TGID_Y_EN: 0
; COMPUTE_PGM_RSRC2:TGID_Z_EN: 0
; COMPUTE_PGM_RSRC2:TIDIG_COMP_CNT: 0
	.section	.text._ZN7rocprim17ROCPRIM_400000_NS6detail17trampoline_kernelINS0_14default_configENS1_35radix_sort_onesweep_config_selectorIjN6thrust23THRUST_200600_302600_NS5tupleIffNS6_9null_typeES8_S8_S8_S8_S8_S8_S8_EEEEZNS1_34radix_sort_onesweep_global_offsetsIS3_Lb0ENS6_6detail15normal_iteratorINS6_10device_ptrIjEEEENSD_INSE_IS9_EEEEjNS0_19identity_decomposerEEE10hipError_tT1_T2_PT3_SN_jT4_jjP12ihipStream_tbEUlT_E0_NS1_11comp_targetILNS1_3genE4ELNS1_11target_archE910ELNS1_3gpuE8ELNS1_3repE0EEENS1_52radix_sort_onesweep_histogram_config_static_selectorELNS0_4arch9wavefront6targetE0EEEvSL_,"axG",@progbits,_ZN7rocprim17ROCPRIM_400000_NS6detail17trampoline_kernelINS0_14default_configENS1_35radix_sort_onesweep_config_selectorIjN6thrust23THRUST_200600_302600_NS5tupleIffNS6_9null_typeES8_S8_S8_S8_S8_S8_S8_EEEEZNS1_34radix_sort_onesweep_global_offsetsIS3_Lb0ENS6_6detail15normal_iteratorINS6_10device_ptrIjEEEENSD_INSE_IS9_EEEEjNS0_19identity_decomposerEEE10hipError_tT1_T2_PT3_SN_jT4_jjP12ihipStream_tbEUlT_E0_NS1_11comp_targetILNS1_3genE4ELNS1_11target_archE910ELNS1_3gpuE8ELNS1_3repE0EEENS1_52radix_sort_onesweep_histogram_config_static_selectorELNS0_4arch9wavefront6targetE0EEEvSL_,comdat
	.protected	_ZN7rocprim17ROCPRIM_400000_NS6detail17trampoline_kernelINS0_14default_configENS1_35radix_sort_onesweep_config_selectorIjN6thrust23THRUST_200600_302600_NS5tupleIffNS6_9null_typeES8_S8_S8_S8_S8_S8_S8_EEEEZNS1_34radix_sort_onesweep_global_offsetsIS3_Lb0ENS6_6detail15normal_iteratorINS6_10device_ptrIjEEEENSD_INSE_IS9_EEEEjNS0_19identity_decomposerEEE10hipError_tT1_T2_PT3_SN_jT4_jjP12ihipStream_tbEUlT_E0_NS1_11comp_targetILNS1_3genE4ELNS1_11target_archE910ELNS1_3gpuE8ELNS1_3repE0EEENS1_52radix_sort_onesweep_histogram_config_static_selectorELNS0_4arch9wavefront6targetE0EEEvSL_ ; -- Begin function _ZN7rocprim17ROCPRIM_400000_NS6detail17trampoline_kernelINS0_14default_configENS1_35radix_sort_onesweep_config_selectorIjN6thrust23THRUST_200600_302600_NS5tupleIffNS6_9null_typeES8_S8_S8_S8_S8_S8_S8_EEEEZNS1_34radix_sort_onesweep_global_offsetsIS3_Lb0ENS6_6detail15normal_iteratorINS6_10device_ptrIjEEEENSD_INSE_IS9_EEEEjNS0_19identity_decomposerEEE10hipError_tT1_T2_PT3_SN_jT4_jjP12ihipStream_tbEUlT_E0_NS1_11comp_targetILNS1_3genE4ELNS1_11target_archE910ELNS1_3gpuE8ELNS1_3repE0EEENS1_52radix_sort_onesweep_histogram_config_static_selectorELNS0_4arch9wavefront6targetE0EEEvSL_
	.globl	_ZN7rocprim17ROCPRIM_400000_NS6detail17trampoline_kernelINS0_14default_configENS1_35radix_sort_onesweep_config_selectorIjN6thrust23THRUST_200600_302600_NS5tupleIffNS6_9null_typeES8_S8_S8_S8_S8_S8_S8_EEEEZNS1_34radix_sort_onesweep_global_offsetsIS3_Lb0ENS6_6detail15normal_iteratorINS6_10device_ptrIjEEEENSD_INSE_IS9_EEEEjNS0_19identity_decomposerEEE10hipError_tT1_T2_PT3_SN_jT4_jjP12ihipStream_tbEUlT_E0_NS1_11comp_targetILNS1_3genE4ELNS1_11target_archE910ELNS1_3gpuE8ELNS1_3repE0EEENS1_52radix_sort_onesweep_histogram_config_static_selectorELNS0_4arch9wavefront6targetE0EEEvSL_
	.p2align	8
	.type	_ZN7rocprim17ROCPRIM_400000_NS6detail17trampoline_kernelINS0_14default_configENS1_35radix_sort_onesweep_config_selectorIjN6thrust23THRUST_200600_302600_NS5tupleIffNS6_9null_typeES8_S8_S8_S8_S8_S8_S8_EEEEZNS1_34radix_sort_onesweep_global_offsetsIS3_Lb0ENS6_6detail15normal_iteratorINS6_10device_ptrIjEEEENSD_INSE_IS9_EEEEjNS0_19identity_decomposerEEE10hipError_tT1_T2_PT3_SN_jT4_jjP12ihipStream_tbEUlT_E0_NS1_11comp_targetILNS1_3genE4ELNS1_11target_archE910ELNS1_3gpuE8ELNS1_3repE0EEENS1_52radix_sort_onesweep_histogram_config_static_selectorELNS0_4arch9wavefront6targetE0EEEvSL_,@function
_ZN7rocprim17ROCPRIM_400000_NS6detail17trampoline_kernelINS0_14default_configENS1_35radix_sort_onesweep_config_selectorIjN6thrust23THRUST_200600_302600_NS5tupleIffNS6_9null_typeES8_S8_S8_S8_S8_S8_S8_EEEEZNS1_34radix_sort_onesweep_global_offsetsIS3_Lb0ENS6_6detail15normal_iteratorINS6_10device_ptrIjEEEENSD_INSE_IS9_EEEEjNS0_19identity_decomposerEEE10hipError_tT1_T2_PT3_SN_jT4_jjP12ihipStream_tbEUlT_E0_NS1_11comp_targetILNS1_3genE4ELNS1_11target_archE910ELNS1_3gpuE8ELNS1_3repE0EEENS1_52radix_sort_onesweep_histogram_config_static_selectorELNS0_4arch9wavefront6targetE0EEEvSL_: ; @_ZN7rocprim17ROCPRIM_400000_NS6detail17trampoline_kernelINS0_14default_configENS1_35radix_sort_onesweep_config_selectorIjN6thrust23THRUST_200600_302600_NS5tupleIffNS6_9null_typeES8_S8_S8_S8_S8_S8_S8_EEEEZNS1_34radix_sort_onesweep_global_offsetsIS3_Lb0ENS6_6detail15normal_iteratorINS6_10device_ptrIjEEEENSD_INSE_IS9_EEEEjNS0_19identity_decomposerEEE10hipError_tT1_T2_PT3_SN_jT4_jjP12ihipStream_tbEUlT_E0_NS1_11comp_targetILNS1_3genE4ELNS1_11target_archE910ELNS1_3gpuE8ELNS1_3repE0EEENS1_52radix_sort_onesweep_histogram_config_static_selectorELNS0_4arch9wavefront6targetE0EEEvSL_
; %bb.0:
	.section	.rodata,"a",@progbits
	.p2align	6, 0x0
	.amdhsa_kernel _ZN7rocprim17ROCPRIM_400000_NS6detail17trampoline_kernelINS0_14default_configENS1_35radix_sort_onesweep_config_selectorIjN6thrust23THRUST_200600_302600_NS5tupleIffNS6_9null_typeES8_S8_S8_S8_S8_S8_S8_EEEEZNS1_34radix_sort_onesweep_global_offsetsIS3_Lb0ENS6_6detail15normal_iteratorINS6_10device_ptrIjEEEENSD_INSE_IS9_EEEEjNS0_19identity_decomposerEEE10hipError_tT1_T2_PT3_SN_jT4_jjP12ihipStream_tbEUlT_E0_NS1_11comp_targetILNS1_3genE4ELNS1_11target_archE910ELNS1_3gpuE8ELNS1_3repE0EEENS1_52radix_sort_onesweep_histogram_config_static_selectorELNS0_4arch9wavefront6targetE0EEEvSL_
		.amdhsa_group_segment_fixed_size 0
		.amdhsa_private_segment_fixed_size 0
		.amdhsa_kernarg_size 8
		.amdhsa_user_sgpr_count 2
		.amdhsa_user_sgpr_dispatch_ptr 0
		.amdhsa_user_sgpr_queue_ptr 0
		.amdhsa_user_sgpr_kernarg_segment_ptr 1
		.amdhsa_user_sgpr_dispatch_id 0
		.amdhsa_user_sgpr_private_segment_size 0
		.amdhsa_wavefront_size32 1
		.amdhsa_uses_dynamic_stack 0
		.amdhsa_enable_private_segment 0
		.amdhsa_system_sgpr_workgroup_id_x 1
		.amdhsa_system_sgpr_workgroup_id_y 0
		.amdhsa_system_sgpr_workgroup_id_z 0
		.amdhsa_system_sgpr_workgroup_info 0
		.amdhsa_system_vgpr_workitem_id 0
		.amdhsa_next_free_vgpr 1
		.amdhsa_next_free_sgpr 1
		.amdhsa_reserve_vcc 0
		.amdhsa_float_round_mode_32 0
		.amdhsa_float_round_mode_16_64 0
		.amdhsa_float_denorm_mode_32 3
		.amdhsa_float_denorm_mode_16_64 3
		.amdhsa_fp16_overflow 0
		.amdhsa_workgroup_processor_mode 1
		.amdhsa_memory_ordered 1
		.amdhsa_forward_progress 1
		.amdhsa_inst_pref_size 0
		.amdhsa_round_robin_scheduling 0
		.amdhsa_exception_fp_ieee_invalid_op 0
		.amdhsa_exception_fp_denorm_src 0
		.amdhsa_exception_fp_ieee_div_zero 0
		.amdhsa_exception_fp_ieee_overflow 0
		.amdhsa_exception_fp_ieee_underflow 0
		.amdhsa_exception_fp_ieee_inexact 0
		.amdhsa_exception_int_div_zero 0
	.end_amdhsa_kernel
	.section	.text._ZN7rocprim17ROCPRIM_400000_NS6detail17trampoline_kernelINS0_14default_configENS1_35radix_sort_onesweep_config_selectorIjN6thrust23THRUST_200600_302600_NS5tupleIffNS6_9null_typeES8_S8_S8_S8_S8_S8_S8_EEEEZNS1_34radix_sort_onesweep_global_offsetsIS3_Lb0ENS6_6detail15normal_iteratorINS6_10device_ptrIjEEEENSD_INSE_IS9_EEEEjNS0_19identity_decomposerEEE10hipError_tT1_T2_PT3_SN_jT4_jjP12ihipStream_tbEUlT_E0_NS1_11comp_targetILNS1_3genE4ELNS1_11target_archE910ELNS1_3gpuE8ELNS1_3repE0EEENS1_52radix_sort_onesweep_histogram_config_static_selectorELNS0_4arch9wavefront6targetE0EEEvSL_,"axG",@progbits,_ZN7rocprim17ROCPRIM_400000_NS6detail17trampoline_kernelINS0_14default_configENS1_35radix_sort_onesweep_config_selectorIjN6thrust23THRUST_200600_302600_NS5tupleIffNS6_9null_typeES8_S8_S8_S8_S8_S8_S8_EEEEZNS1_34radix_sort_onesweep_global_offsetsIS3_Lb0ENS6_6detail15normal_iteratorINS6_10device_ptrIjEEEENSD_INSE_IS9_EEEEjNS0_19identity_decomposerEEE10hipError_tT1_T2_PT3_SN_jT4_jjP12ihipStream_tbEUlT_E0_NS1_11comp_targetILNS1_3genE4ELNS1_11target_archE910ELNS1_3gpuE8ELNS1_3repE0EEENS1_52radix_sort_onesweep_histogram_config_static_selectorELNS0_4arch9wavefront6targetE0EEEvSL_,comdat
.Lfunc_end152:
	.size	_ZN7rocprim17ROCPRIM_400000_NS6detail17trampoline_kernelINS0_14default_configENS1_35radix_sort_onesweep_config_selectorIjN6thrust23THRUST_200600_302600_NS5tupleIffNS6_9null_typeES8_S8_S8_S8_S8_S8_S8_EEEEZNS1_34radix_sort_onesweep_global_offsetsIS3_Lb0ENS6_6detail15normal_iteratorINS6_10device_ptrIjEEEENSD_INSE_IS9_EEEEjNS0_19identity_decomposerEEE10hipError_tT1_T2_PT3_SN_jT4_jjP12ihipStream_tbEUlT_E0_NS1_11comp_targetILNS1_3genE4ELNS1_11target_archE910ELNS1_3gpuE8ELNS1_3repE0EEENS1_52radix_sort_onesweep_histogram_config_static_selectorELNS0_4arch9wavefront6targetE0EEEvSL_, .Lfunc_end152-_ZN7rocprim17ROCPRIM_400000_NS6detail17trampoline_kernelINS0_14default_configENS1_35radix_sort_onesweep_config_selectorIjN6thrust23THRUST_200600_302600_NS5tupleIffNS6_9null_typeES8_S8_S8_S8_S8_S8_S8_EEEEZNS1_34radix_sort_onesweep_global_offsetsIS3_Lb0ENS6_6detail15normal_iteratorINS6_10device_ptrIjEEEENSD_INSE_IS9_EEEEjNS0_19identity_decomposerEEE10hipError_tT1_T2_PT3_SN_jT4_jjP12ihipStream_tbEUlT_E0_NS1_11comp_targetILNS1_3genE4ELNS1_11target_archE910ELNS1_3gpuE8ELNS1_3repE0EEENS1_52radix_sort_onesweep_histogram_config_static_selectorELNS0_4arch9wavefront6targetE0EEEvSL_
                                        ; -- End function
	.set _ZN7rocprim17ROCPRIM_400000_NS6detail17trampoline_kernelINS0_14default_configENS1_35radix_sort_onesweep_config_selectorIjN6thrust23THRUST_200600_302600_NS5tupleIffNS6_9null_typeES8_S8_S8_S8_S8_S8_S8_EEEEZNS1_34radix_sort_onesweep_global_offsetsIS3_Lb0ENS6_6detail15normal_iteratorINS6_10device_ptrIjEEEENSD_INSE_IS9_EEEEjNS0_19identity_decomposerEEE10hipError_tT1_T2_PT3_SN_jT4_jjP12ihipStream_tbEUlT_E0_NS1_11comp_targetILNS1_3genE4ELNS1_11target_archE910ELNS1_3gpuE8ELNS1_3repE0EEENS1_52radix_sort_onesweep_histogram_config_static_selectorELNS0_4arch9wavefront6targetE0EEEvSL_.num_vgpr, 0
	.set _ZN7rocprim17ROCPRIM_400000_NS6detail17trampoline_kernelINS0_14default_configENS1_35radix_sort_onesweep_config_selectorIjN6thrust23THRUST_200600_302600_NS5tupleIffNS6_9null_typeES8_S8_S8_S8_S8_S8_S8_EEEEZNS1_34radix_sort_onesweep_global_offsetsIS3_Lb0ENS6_6detail15normal_iteratorINS6_10device_ptrIjEEEENSD_INSE_IS9_EEEEjNS0_19identity_decomposerEEE10hipError_tT1_T2_PT3_SN_jT4_jjP12ihipStream_tbEUlT_E0_NS1_11comp_targetILNS1_3genE4ELNS1_11target_archE910ELNS1_3gpuE8ELNS1_3repE0EEENS1_52radix_sort_onesweep_histogram_config_static_selectorELNS0_4arch9wavefront6targetE0EEEvSL_.num_agpr, 0
	.set _ZN7rocprim17ROCPRIM_400000_NS6detail17trampoline_kernelINS0_14default_configENS1_35radix_sort_onesweep_config_selectorIjN6thrust23THRUST_200600_302600_NS5tupleIffNS6_9null_typeES8_S8_S8_S8_S8_S8_S8_EEEEZNS1_34radix_sort_onesweep_global_offsetsIS3_Lb0ENS6_6detail15normal_iteratorINS6_10device_ptrIjEEEENSD_INSE_IS9_EEEEjNS0_19identity_decomposerEEE10hipError_tT1_T2_PT3_SN_jT4_jjP12ihipStream_tbEUlT_E0_NS1_11comp_targetILNS1_3genE4ELNS1_11target_archE910ELNS1_3gpuE8ELNS1_3repE0EEENS1_52radix_sort_onesweep_histogram_config_static_selectorELNS0_4arch9wavefront6targetE0EEEvSL_.numbered_sgpr, 0
	.set _ZN7rocprim17ROCPRIM_400000_NS6detail17trampoline_kernelINS0_14default_configENS1_35radix_sort_onesweep_config_selectorIjN6thrust23THRUST_200600_302600_NS5tupleIffNS6_9null_typeES8_S8_S8_S8_S8_S8_S8_EEEEZNS1_34radix_sort_onesweep_global_offsetsIS3_Lb0ENS6_6detail15normal_iteratorINS6_10device_ptrIjEEEENSD_INSE_IS9_EEEEjNS0_19identity_decomposerEEE10hipError_tT1_T2_PT3_SN_jT4_jjP12ihipStream_tbEUlT_E0_NS1_11comp_targetILNS1_3genE4ELNS1_11target_archE910ELNS1_3gpuE8ELNS1_3repE0EEENS1_52radix_sort_onesweep_histogram_config_static_selectorELNS0_4arch9wavefront6targetE0EEEvSL_.num_named_barrier, 0
	.set _ZN7rocprim17ROCPRIM_400000_NS6detail17trampoline_kernelINS0_14default_configENS1_35radix_sort_onesweep_config_selectorIjN6thrust23THRUST_200600_302600_NS5tupleIffNS6_9null_typeES8_S8_S8_S8_S8_S8_S8_EEEEZNS1_34radix_sort_onesweep_global_offsetsIS3_Lb0ENS6_6detail15normal_iteratorINS6_10device_ptrIjEEEENSD_INSE_IS9_EEEEjNS0_19identity_decomposerEEE10hipError_tT1_T2_PT3_SN_jT4_jjP12ihipStream_tbEUlT_E0_NS1_11comp_targetILNS1_3genE4ELNS1_11target_archE910ELNS1_3gpuE8ELNS1_3repE0EEENS1_52radix_sort_onesweep_histogram_config_static_selectorELNS0_4arch9wavefront6targetE0EEEvSL_.private_seg_size, 0
	.set _ZN7rocprim17ROCPRIM_400000_NS6detail17trampoline_kernelINS0_14default_configENS1_35radix_sort_onesweep_config_selectorIjN6thrust23THRUST_200600_302600_NS5tupleIffNS6_9null_typeES8_S8_S8_S8_S8_S8_S8_EEEEZNS1_34radix_sort_onesweep_global_offsetsIS3_Lb0ENS6_6detail15normal_iteratorINS6_10device_ptrIjEEEENSD_INSE_IS9_EEEEjNS0_19identity_decomposerEEE10hipError_tT1_T2_PT3_SN_jT4_jjP12ihipStream_tbEUlT_E0_NS1_11comp_targetILNS1_3genE4ELNS1_11target_archE910ELNS1_3gpuE8ELNS1_3repE0EEENS1_52radix_sort_onesweep_histogram_config_static_selectorELNS0_4arch9wavefront6targetE0EEEvSL_.uses_vcc, 0
	.set _ZN7rocprim17ROCPRIM_400000_NS6detail17trampoline_kernelINS0_14default_configENS1_35radix_sort_onesweep_config_selectorIjN6thrust23THRUST_200600_302600_NS5tupleIffNS6_9null_typeES8_S8_S8_S8_S8_S8_S8_EEEEZNS1_34radix_sort_onesweep_global_offsetsIS3_Lb0ENS6_6detail15normal_iteratorINS6_10device_ptrIjEEEENSD_INSE_IS9_EEEEjNS0_19identity_decomposerEEE10hipError_tT1_T2_PT3_SN_jT4_jjP12ihipStream_tbEUlT_E0_NS1_11comp_targetILNS1_3genE4ELNS1_11target_archE910ELNS1_3gpuE8ELNS1_3repE0EEENS1_52radix_sort_onesweep_histogram_config_static_selectorELNS0_4arch9wavefront6targetE0EEEvSL_.uses_flat_scratch, 0
	.set _ZN7rocprim17ROCPRIM_400000_NS6detail17trampoline_kernelINS0_14default_configENS1_35radix_sort_onesweep_config_selectorIjN6thrust23THRUST_200600_302600_NS5tupleIffNS6_9null_typeES8_S8_S8_S8_S8_S8_S8_EEEEZNS1_34radix_sort_onesweep_global_offsetsIS3_Lb0ENS6_6detail15normal_iteratorINS6_10device_ptrIjEEEENSD_INSE_IS9_EEEEjNS0_19identity_decomposerEEE10hipError_tT1_T2_PT3_SN_jT4_jjP12ihipStream_tbEUlT_E0_NS1_11comp_targetILNS1_3genE4ELNS1_11target_archE910ELNS1_3gpuE8ELNS1_3repE0EEENS1_52radix_sort_onesweep_histogram_config_static_selectorELNS0_4arch9wavefront6targetE0EEEvSL_.has_dyn_sized_stack, 0
	.set _ZN7rocprim17ROCPRIM_400000_NS6detail17trampoline_kernelINS0_14default_configENS1_35radix_sort_onesweep_config_selectorIjN6thrust23THRUST_200600_302600_NS5tupleIffNS6_9null_typeES8_S8_S8_S8_S8_S8_S8_EEEEZNS1_34radix_sort_onesweep_global_offsetsIS3_Lb0ENS6_6detail15normal_iteratorINS6_10device_ptrIjEEEENSD_INSE_IS9_EEEEjNS0_19identity_decomposerEEE10hipError_tT1_T2_PT3_SN_jT4_jjP12ihipStream_tbEUlT_E0_NS1_11comp_targetILNS1_3genE4ELNS1_11target_archE910ELNS1_3gpuE8ELNS1_3repE0EEENS1_52radix_sort_onesweep_histogram_config_static_selectorELNS0_4arch9wavefront6targetE0EEEvSL_.has_recursion, 0
	.set _ZN7rocprim17ROCPRIM_400000_NS6detail17trampoline_kernelINS0_14default_configENS1_35radix_sort_onesweep_config_selectorIjN6thrust23THRUST_200600_302600_NS5tupleIffNS6_9null_typeES8_S8_S8_S8_S8_S8_S8_EEEEZNS1_34radix_sort_onesweep_global_offsetsIS3_Lb0ENS6_6detail15normal_iteratorINS6_10device_ptrIjEEEENSD_INSE_IS9_EEEEjNS0_19identity_decomposerEEE10hipError_tT1_T2_PT3_SN_jT4_jjP12ihipStream_tbEUlT_E0_NS1_11comp_targetILNS1_3genE4ELNS1_11target_archE910ELNS1_3gpuE8ELNS1_3repE0EEENS1_52radix_sort_onesweep_histogram_config_static_selectorELNS0_4arch9wavefront6targetE0EEEvSL_.has_indirect_call, 0
	.section	.AMDGPU.csdata,"",@progbits
; Kernel info:
; codeLenInByte = 0
; TotalNumSgprs: 0
; NumVgprs: 0
; ScratchSize: 0
; MemoryBound: 0
; FloatMode: 240
; IeeeMode: 1
; LDSByteSize: 0 bytes/workgroup (compile time only)
; SGPRBlocks: 0
; VGPRBlocks: 0
; NumSGPRsForWavesPerEU: 1
; NumVGPRsForWavesPerEU: 1
; Occupancy: 16
; WaveLimiterHint : 0
; COMPUTE_PGM_RSRC2:SCRATCH_EN: 0
; COMPUTE_PGM_RSRC2:USER_SGPR: 2
; COMPUTE_PGM_RSRC2:TRAP_HANDLER: 0
; COMPUTE_PGM_RSRC2:TGID_X_EN: 1
; COMPUTE_PGM_RSRC2:TGID_Y_EN: 0
; COMPUTE_PGM_RSRC2:TGID_Z_EN: 0
; COMPUTE_PGM_RSRC2:TIDIG_COMP_CNT: 0
	.section	.text._ZN7rocprim17ROCPRIM_400000_NS6detail17trampoline_kernelINS0_14default_configENS1_35radix_sort_onesweep_config_selectorIjN6thrust23THRUST_200600_302600_NS5tupleIffNS6_9null_typeES8_S8_S8_S8_S8_S8_S8_EEEEZNS1_34radix_sort_onesweep_global_offsetsIS3_Lb0ENS6_6detail15normal_iteratorINS6_10device_ptrIjEEEENSD_INSE_IS9_EEEEjNS0_19identity_decomposerEEE10hipError_tT1_T2_PT3_SN_jT4_jjP12ihipStream_tbEUlT_E0_NS1_11comp_targetILNS1_3genE3ELNS1_11target_archE908ELNS1_3gpuE7ELNS1_3repE0EEENS1_52radix_sort_onesweep_histogram_config_static_selectorELNS0_4arch9wavefront6targetE0EEEvSL_,"axG",@progbits,_ZN7rocprim17ROCPRIM_400000_NS6detail17trampoline_kernelINS0_14default_configENS1_35radix_sort_onesweep_config_selectorIjN6thrust23THRUST_200600_302600_NS5tupleIffNS6_9null_typeES8_S8_S8_S8_S8_S8_S8_EEEEZNS1_34radix_sort_onesweep_global_offsetsIS3_Lb0ENS6_6detail15normal_iteratorINS6_10device_ptrIjEEEENSD_INSE_IS9_EEEEjNS0_19identity_decomposerEEE10hipError_tT1_T2_PT3_SN_jT4_jjP12ihipStream_tbEUlT_E0_NS1_11comp_targetILNS1_3genE3ELNS1_11target_archE908ELNS1_3gpuE7ELNS1_3repE0EEENS1_52radix_sort_onesweep_histogram_config_static_selectorELNS0_4arch9wavefront6targetE0EEEvSL_,comdat
	.protected	_ZN7rocprim17ROCPRIM_400000_NS6detail17trampoline_kernelINS0_14default_configENS1_35radix_sort_onesweep_config_selectorIjN6thrust23THRUST_200600_302600_NS5tupleIffNS6_9null_typeES8_S8_S8_S8_S8_S8_S8_EEEEZNS1_34radix_sort_onesweep_global_offsetsIS3_Lb0ENS6_6detail15normal_iteratorINS6_10device_ptrIjEEEENSD_INSE_IS9_EEEEjNS0_19identity_decomposerEEE10hipError_tT1_T2_PT3_SN_jT4_jjP12ihipStream_tbEUlT_E0_NS1_11comp_targetILNS1_3genE3ELNS1_11target_archE908ELNS1_3gpuE7ELNS1_3repE0EEENS1_52radix_sort_onesweep_histogram_config_static_selectorELNS0_4arch9wavefront6targetE0EEEvSL_ ; -- Begin function _ZN7rocprim17ROCPRIM_400000_NS6detail17trampoline_kernelINS0_14default_configENS1_35radix_sort_onesweep_config_selectorIjN6thrust23THRUST_200600_302600_NS5tupleIffNS6_9null_typeES8_S8_S8_S8_S8_S8_S8_EEEEZNS1_34radix_sort_onesweep_global_offsetsIS3_Lb0ENS6_6detail15normal_iteratorINS6_10device_ptrIjEEEENSD_INSE_IS9_EEEEjNS0_19identity_decomposerEEE10hipError_tT1_T2_PT3_SN_jT4_jjP12ihipStream_tbEUlT_E0_NS1_11comp_targetILNS1_3genE3ELNS1_11target_archE908ELNS1_3gpuE7ELNS1_3repE0EEENS1_52radix_sort_onesweep_histogram_config_static_selectorELNS0_4arch9wavefront6targetE0EEEvSL_
	.globl	_ZN7rocprim17ROCPRIM_400000_NS6detail17trampoline_kernelINS0_14default_configENS1_35radix_sort_onesweep_config_selectorIjN6thrust23THRUST_200600_302600_NS5tupleIffNS6_9null_typeES8_S8_S8_S8_S8_S8_S8_EEEEZNS1_34radix_sort_onesweep_global_offsetsIS3_Lb0ENS6_6detail15normal_iteratorINS6_10device_ptrIjEEEENSD_INSE_IS9_EEEEjNS0_19identity_decomposerEEE10hipError_tT1_T2_PT3_SN_jT4_jjP12ihipStream_tbEUlT_E0_NS1_11comp_targetILNS1_3genE3ELNS1_11target_archE908ELNS1_3gpuE7ELNS1_3repE0EEENS1_52radix_sort_onesweep_histogram_config_static_selectorELNS0_4arch9wavefront6targetE0EEEvSL_
	.p2align	8
	.type	_ZN7rocprim17ROCPRIM_400000_NS6detail17trampoline_kernelINS0_14default_configENS1_35radix_sort_onesweep_config_selectorIjN6thrust23THRUST_200600_302600_NS5tupleIffNS6_9null_typeES8_S8_S8_S8_S8_S8_S8_EEEEZNS1_34radix_sort_onesweep_global_offsetsIS3_Lb0ENS6_6detail15normal_iteratorINS6_10device_ptrIjEEEENSD_INSE_IS9_EEEEjNS0_19identity_decomposerEEE10hipError_tT1_T2_PT3_SN_jT4_jjP12ihipStream_tbEUlT_E0_NS1_11comp_targetILNS1_3genE3ELNS1_11target_archE908ELNS1_3gpuE7ELNS1_3repE0EEENS1_52radix_sort_onesweep_histogram_config_static_selectorELNS0_4arch9wavefront6targetE0EEEvSL_,@function
_ZN7rocprim17ROCPRIM_400000_NS6detail17trampoline_kernelINS0_14default_configENS1_35radix_sort_onesweep_config_selectorIjN6thrust23THRUST_200600_302600_NS5tupleIffNS6_9null_typeES8_S8_S8_S8_S8_S8_S8_EEEEZNS1_34radix_sort_onesweep_global_offsetsIS3_Lb0ENS6_6detail15normal_iteratorINS6_10device_ptrIjEEEENSD_INSE_IS9_EEEEjNS0_19identity_decomposerEEE10hipError_tT1_T2_PT3_SN_jT4_jjP12ihipStream_tbEUlT_E0_NS1_11comp_targetILNS1_3genE3ELNS1_11target_archE908ELNS1_3gpuE7ELNS1_3repE0EEENS1_52radix_sort_onesweep_histogram_config_static_selectorELNS0_4arch9wavefront6targetE0EEEvSL_: ; @_ZN7rocprim17ROCPRIM_400000_NS6detail17trampoline_kernelINS0_14default_configENS1_35radix_sort_onesweep_config_selectorIjN6thrust23THRUST_200600_302600_NS5tupleIffNS6_9null_typeES8_S8_S8_S8_S8_S8_S8_EEEEZNS1_34radix_sort_onesweep_global_offsetsIS3_Lb0ENS6_6detail15normal_iteratorINS6_10device_ptrIjEEEENSD_INSE_IS9_EEEEjNS0_19identity_decomposerEEE10hipError_tT1_T2_PT3_SN_jT4_jjP12ihipStream_tbEUlT_E0_NS1_11comp_targetILNS1_3genE3ELNS1_11target_archE908ELNS1_3gpuE7ELNS1_3repE0EEENS1_52radix_sort_onesweep_histogram_config_static_selectorELNS0_4arch9wavefront6targetE0EEEvSL_
; %bb.0:
	.section	.rodata,"a",@progbits
	.p2align	6, 0x0
	.amdhsa_kernel _ZN7rocprim17ROCPRIM_400000_NS6detail17trampoline_kernelINS0_14default_configENS1_35radix_sort_onesweep_config_selectorIjN6thrust23THRUST_200600_302600_NS5tupleIffNS6_9null_typeES8_S8_S8_S8_S8_S8_S8_EEEEZNS1_34radix_sort_onesweep_global_offsetsIS3_Lb0ENS6_6detail15normal_iteratorINS6_10device_ptrIjEEEENSD_INSE_IS9_EEEEjNS0_19identity_decomposerEEE10hipError_tT1_T2_PT3_SN_jT4_jjP12ihipStream_tbEUlT_E0_NS1_11comp_targetILNS1_3genE3ELNS1_11target_archE908ELNS1_3gpuE7ELNS1_3repE0EEENS1_52radix_sort_onesweep_histogram_config_static_selectorELNS0_4arch9wavefront6targetE0EEEvSL_
		.amdhsa_group_segment_fixed_size 0
		.amdhsa_private_segment_fixed_size 0
		.amdhsa_kernarg_size 8
		.amdhsa_user_sgpr_count 2
		.amdhsa_user_sgpr_dispatch_ptr 0
		.amdhsa_user_sgpr_queue_ptr 0
		.amdhsa_user_sgpr_kernarg_segment_ptr 1
		.amdhsa_user_sgpr_dispatch_id 0
		.amdhsa_user_sgpr_private_segment_size 0
		.amdhsa_wavefront_size32 1
		.amdhsa_uses_dynamic_stack 0
		.amdhsa_enable_private_segment 0
		.amdhsa_system_sgpr_workgroup_id_x 1
		.amdhsa_system_sgpr_workgroup_id_y 0
		.amdhsa_system_sgpr_workgroup_id_z 0
		.amdhsa_system_sgpr_workgroup_info 0
		.amdhsa_system_vgpr_workitem_id 0
		.amdhsa_next_free_vgpr 1
		.amdhsa_next_free_sgpr 1
		.amdhsa_reserve_vcc 0
		.amdhsa_float_round_mode_32 0
		.amdhsa_float_round_mode_16_64 0
		.amdhsa_float_denorm_mode_32 3
		.amdhsa_float_denorm_mode_16_64 3
		.amdhsa_fp16_overflow 0
		.amdhsa_workgroup_processor_mode 1
		.amdhsa_memory_ordered 1
		.amdhsa_forward_progress 1
		.amdhsa_inst_pref_size 0
		.amdhsa_round_robin_scheduling 0
		.amdhsa_exception_fp_ieee_invalid_op 0
		.amdhsa_exception_fp_denorm_src 0
		.amdhsa_exception_fp_ieee_div_zero 0
		.amdhsa_exception_fp_ieee_overflow 0
		.amdhsa_exception_fp_ieee_underflow 0
		.amdhsa_exception_fp_ieee_inexact 0
		.amdhsa_exception_int_div_zero 0
	.end_amdhsa_kernel
	.section	.text._ZN7rocprim17ROCPRIM_400000_NS6detail17trampoline_kernelINS0_14default_configENS1_35radix_sort_onesweep_config_selectorIjN6thrust23THRUST_200600_302600_NS5tupleIffNS6_9null_typeES8_S8_S8_S8_S8_S8_S8_EEEEZNS1_34radix_sort_onesweep_global_offsetsIS3_Lb0ENS6_6detail15normal_iteratorINS6_10device_ptrIjEEEENSD_INSE_IS9_EEEEjNS0_19identity_decomposerEEE10hipError_tT1_T2_PT3_SN_jT4_jjP12ihipStream_tbEUlT_E0_NS1_11comp_targetILNS1_3genE3ELNS1_11target_archE908ELNS1_3gpuE7ELNS1_3repE0EEENS1_52radix_sort_onesweep_histogram_config_static_selectorELNS0_4arch9wavefront6targetE0EEEvSL_,"axG",@progbits,_ZN7rocprim17ROCPRIM_400000_NS6detail17trampoline_kernelINS0_14default_configENS1_35radix_sort_onesweep_config_selectorIjN6thrust23THRUST_200600_302600_NS5tupleIffNS6_9null_typeES8_S8_S8_S8_S8_S8_S8_EEEEZNS1_34radix_sort_onesweep_global_offsetsIS3_Lb0ENS6_6detail15normal_iteratorINS6_10device_ptrIjEEEENSD_INSE_IS9_EEEEjNS0_19identity_decomposerEEE10hipError_tT1_T2_PT3_SN_jT4_jjP12ihipStream_tbEUlT_E0_NS1_11comp_targetILNS1_3genE3ELNS1_11target_archE908ELNS1_3gpuE7ELNS1_3repE0EEENS1_52radix_sort_onesweep_histogram_config_static_selectorELNS0_4arch9wavefront6targetE0EEEvSL_,comdat
.Lfunc_end153:
	.size	_ZN7rocprim17ROCPRIM_400000_NS6detail17trampoline_kernelINS0_14default_configENS1_35radix_sort_onesweep_config_selectorIjN6thrust23THRUST_200600_302600_NS5tupleIffNS6_9null_typeES8_S8_S8_S8_S8_S8_S8_EEEEZNS1_34radix_sort_onesweep_global_offsetsIS3_Lb0ENS6_6detail15normal_iteratorINS6_10device_ptrIjEEEENSD_INSE_IS9_EEEEjNS0_19identity_decomposerEEE10hipError_tT1_T2_PT3_SN_jT4_jjP12ihipStream_tbEUlT_E0_NS1_11comp_targetILNS1_3genE3ELNS1_11target_archE908ELNS1_3gpuE7ELNS1_3repE0EEENS1_52radix_sort_onesweep_histogram_config_static_selectorELNS0_4arch9wavefront6targetE0EEEvSL_, .Lfunc_end153-_ZN7rocprim17ROCPRIM_400000_NS6detail17trampoline_kernelINS0_14default_configENS1_35radix_sort_onesweep_config_selectorIjN6thrust23THRUST_200600_302600_NS5tupleIffNS6_9null_typeES8_S8_S8_S8_S8_S8_S8_EEEEZNS1_34radix_sort_onesweep_global_offsetsIS3_Lb0ENS6_6detail15normal_iteratorINS6_10device_ptrIjEEEENSD_INSE_IS9_EEEEjNS0_19identity_decomposerEEE10hipError_tT1_T2_PT3_SN_jT4_jjP12ihipStream_tbEUlT_E0_NS1_11comp_targetILNS1_3genE3ELNS1_11target_archE908ELNS1_3gpuE7ELNS1_3repE0EEENS1_52radix_sort_onesweep_histogram_config_static_selectorELNS0_4arch9wavefront6targetE0EEEvSL_
                                        ; -- End function
	.set _ZN7rocprim17ROCPRIM_400000_NS6detail17trampoline_kernelINS0_14default_configENS1_35radix_sort_onesweep_config_selectorIjN6thrust23THRUST_200600_302600_NS5tupleIffNS6_9null_typeES8_S8_S8_S8_S8_S8_S8_EEEEZNS1_34radix_sort_onesweep_global_offsetsIS3_Lb0ENS6_6detail15normal_iteratorINS6_10device_ptrIjEEEENSD_INSE_IS9_EEEEjNS0_19identity_decomposerEEE10hipError_tT1_T2_PT3_SN_jT4_jjP12ihipStream_tbEUlT_E0_NS1_11comp_targetILNS1_3genE3ELNS1_11target_archE908ELNS1_3gpuE7ELNS1_3repE0EEENS1_52radix_sort_onesweep_histogram_config_static_selectorELNS0_4arch9wavefront6targetE0EEEvSL_.num_vgpr, 0
	.set _ZN7rocprim17ROCPRIM_400000_NS6detail17trampoline_kernelINS0_14default_configENS1_35radix_sort_onesweep_config_selectorIjN6thrust23THRUST_200600_302600_NS5tupleIffNS6_9null_typeES8_S8_S8_S8_S8_S8_S8_EEEEZNS1_34radix_sort_onesweep_global_offsetsIS3_Lb0ENS6_6detail15normal_iteratorINS6_10device_ptrIjEEEENSD_INSE_IS9_EEEEjNS0_19identity_decomposerEEE10hipError_tT1_T2_PT3_SN_jT4_jjP12ihipStream_tbEUlT_E0_NS1_11comp_targetILNS1_3genE3ELNS1_11target_archE908ELNS1_3gpuE7ELNS1_3repE0EEENS1_52radix_sort_onesweep_histogram_config_static_selectorELNS0_4arch9wavefront6targetE0EEEvSL_.num_agpr, 0
	.set _ZN7rocprim17ROCPRIM_400000_NS6detail17trampoline_kernelINS0_14default_configENS1_35radix_sort_onesweep_config_selectorIjN6thrust23THRUST_200600_302600_NS5tupleIffNS6_9null_typeES8_S8_S8_S8_S8_S8_S8_EEEEZNS1_34radix_sort_onesweep_global_offsetsIS3_Lb0ENS6_6detail15normal_iteratorINS6_10device_ptrIjEEEENSD_INSE_IS9_EEEEjNS0_19identity_decomposerEEE10hipError_tT1_T2_PT3_SN_jT4_jjP12ihipStream_tbEUlT_E0_NS1_11comp_targetILNS1_3genE3ELNS1_11target_archE908ELNS1_3gpuE7ELNS1_3repE0EEENS1_52radix_sort_onesweep_histogram_config_static_selectorELNS0_4arch9wavefront6targetE0EEEvSL_.numbered_sgpr, 0
	.set _ZN7rocprim17ROCPRIM_400000_NS6detail17trampoline_kernelINS0_14default_configENS1_35radix_sort_onesweep_config_selectorIjN6thrust23THRUST_200600_302600_NS5tupleIffNS6_9null_typeES8_S8_S8_S8_S8_S8_S8_EEEEZNS1_34radix_sort_onesweep_global_offsetsIS3_Lb0ENS6_6detail15normal_iteratorINS6_10device_ptrIjEEEENSD_INSE_IS9_EEEEjNS0_19identity_decomposerEEE10hipError_tT1_T2_PT3_SN_jT4_jjP12ihipStream_tbEUlT_E0_NS1_11comp_targetILNS1_3genE3ELNS1_11target_archE908ELNS1_3gpuE7ELNS1_3repE0EEENS1_52radix_sort_onesweep_histogram_config_static_selectorELNS0_4arch9wavefront6targetE0EEEvSL_.num_named_barrier, 0
	.set _ZN7rocprim17ROCPRIM_400000_NS6detail17trampoline_kernelINS0_14default_configENS1_35radix_sort_onesweep_config_selectorIjN6thrust23THRUST_200600_302600_NS5tupleIffNS6_9null_typeES8_S8_S8_S8_S8_S8_S8_EEEEZNS1_34radix_sort_onesweep_global_offsetsIS3_Lb0ENS6_6detail15normal_iteratorINS6_10device_ptrIjEEEENSD_INSE_IS9_EEEEjNS0_19identity_decomposerEEE10hipError_tT1_T2_PT3_SN_jT4_jjP12ihipStream_tbEUlT_E0_NS1_11comp_targetILNS1_3genE3ELNS1_11target_archE908ELNS1_3gpuE7ELNS1_3repE0EEENS1_52radix_sort_onesweep_histogram_config_static_selectorELNS0_4arch9wavefront6targetE0EEEvSL_.private_seg_size, 0
	.set _ZN7rocprim17ROCPRIM_400000_NS6detail17trampoline_kernelINS0_14default_configENS1_35radix_sort_onesweep_config_selectorIjN6thrust23THRUST_200600_302600_NS5tupleIffNS6_9null_typeES8_S8_S8_S8_S8_S8_S8_EEEEZNS1_34radix_sort_onesweep_global_offsetsIS3_Lb0ENS6_6detail15normal_iteratorINS6_10device_ptrIjEEEENSD_INSE_IS9_EEEEjNS0_19identity_decomposerEEE10hipError_tT1_T2_PT3_SN_jT4_jjP12ihipStream_tbEUlT_E0_NS1_11comp_targetILNS1_3genE3ELNS1_11target_archE908ELNS1_3gpuE7ELNS1_3repE0EEENS1_52radix_sort_onesweep_histogram_config_static_selectorELNS0_4arch9wavefront6targetE0EEEvSL_.uses_vcc, 0
	.set _ZN7rocprim17ROCPRIM_400000_NS6detail17trampoline_kernelINS0_14default_configENS1_35radix_sort_onesweep_config_selectorIjN6thrust23THRUST_200600_302600_NS5tupleIffNS6_9null_typeES8_S8_S8_S8_S8_S8_S8_EEEEZNS1_34radix_sort_onesweep_global_offsetsIS3_Lb0ENS6_6detail15normal_iteratorINS6_10device_ptrIjEEEENSD_INSE_IS9_EEEEjNS0_19identity_decomposerEEE10hipError_tT1_T2_PT3_SN_jT4_jjP12ihipStream_tbEUlT_E0_NS1_11comp_targetILNS1_3genE3ELNS1_11target_archE908ELNS1_3gpuE7ELNS1_3repE0EEENS1_52radix_sort_onesweep_histogram_config_static_selectorELNS0_4arch9wavefront6targetE0EEEvSL_.uses_flat_scratch, 0
	.set _ZN7rocprim17ROCPRIM_400000_NS6detail17trampoline_kernelINS0_14default_configENS1_35radix_sort_onesweep_config_selectorIjN6thrust23THRUST_200600_302600_NS5tupleIffNS6_9null_typeES8_S8_S8_S8_S8_S8_S8_EEEEZNS1_34radix_sort_onesweep_global_offsetsIS3_Lb0ENS6_6detail15normal_iteratorINS6_10device_ptrIjEEEENSD_INSE_IS9_EEEEjNS0_19identity_decomposerEEE10hipError_tT1_T2_PT3_SN_jT4_jjP12ihipStream_tbEUlT_E0_NS1_11comp_targetILNS1_3genE3ELNS1_11target_archE908ELNS1_3gpuE7ELNS1_3repE0EEENS1_52radix_sort_onesweep_histogram_config_static_selectorELNS0_4arch9wavefront6targetE0EEEvSL_.has_dyn_sized_stack, 0
	.set _ZN7rocprim17ROCPRIM_400000_NS6detail17trampoline_kernelINS0_14default_configENS1_35radix_sort_onesweep_config_selectorIjN6thrust23THRUST_200600_302600_NS5tupleIffNS6_9null_typeES8_S8_S8_S8_S8_S8_S8_EEEEZNS1_34radix_sort_onesweep_global_offsetsIS3_Lb0ENS6_6detail15normal_iteratorINS6_10device_ptrIjEEEENSD_INSE_IS9_EEEEjNS0_19identity_decomposerEEE10hipError_tT1_T2_PT3_SN_jT4_jjP12ihipStream_tbEUlT_E0_NS1_11comp_targetILNS1_3genE3ELNS1_11target_archE908ELNS1_3gpuE7ELNS1_3repE0EEENS1_52radix_sort_onesweep_histogram_config_static_selectorELNS0_4arch9wavefront6targetE0EEEvSL_.has_recursion, 0
	.set _ZN7rocprim17ROCPRIM_400000_NS6detail17trampoline_kernelINS0_14default_configENS1_35radix_sort_onesweep_config_selectorIjN6thrust23THRUST_200600_302600_NS5tupleIffNS6_9null_typeES8_S8_S8_S8_S8_S8_S8_EEEEZNS1_34radix_sort_onesweep_global_offsetsIS3_Lb0ENS6_6detail15normal_iteratorINS6_10device_ptrIjEEEENSD_INSE_IS9_EEEEjNS0_19identity_decomposerEEE10hipError_tT1_T2_PT3_SN_jT4_jjP12ihipStream_tbEUlT_E0_NS1_11comp_targetILNS1_3genE3ELNS1_11target_archE908ELNS1_3gpuE7ELNS1_3repE0EEENS1_52radix_sort_onesweep_histogram_config_static_selectorELNS0_4arch9wavefront6targetE0EEEvSL_.has_indirect_call, 0
	.section	.AMDGPU.csdata,"",@progbits
; Kernel info:
; codeLenInByte = 0
; TotalNumSgprs: 0
; NumVgprs: 0
; ScratchSize: 0
; MemoryBound: 0
; FloatMode: 240
; IeeeMode: 1
; LDSByteSize: 0 bytes/workgroup (compile time only)
; SGPRBlocks: 0
; VGPRBlocks: 0
; NumSGPRsForWavesPerEU: 1
; NumVGPRsForWavesPerEU: 1
; Occupancy: 16
; WaveLimiterHint : 0
; COMPUTE_PGM_RSRC2:SCRATCH_EN: 0
; COMPUTE_PGM_RSRC2:USER_SGPR: 2
; COMPUTE_PGM_RSRC2:TRAP_HANDLER: 0
; COMPUTE_PGM_RSRC2:TGID_X_EN: 1
; COMPUTE_PGM_RSRC2:TGID_Y_EN: 0
; COMPUTE_PGM_RSRC2:TGID_Z_EN: 0
; COMPUTE_PGM_RSRC2:TIDIG_COMP_CNT: 0
	.section	.text._ZN7rocprim17ROCPRIM_400000_NS6detail17trampoline_kernelINS0_14default_configENS1_35radix_sort_onesweep_config_selectorIjN6thrust23THRUST_200600_302600_NS5tupleIffNS6_9null_typeES8_S8_S8_S8_S8_S8_S8_EEEEZNS1_34radix_sort_onesweep_global_offsetsIS3_Lb0ENS6_6detail15normal_iteratorINS6_10device_ptrIjEEEENSD_INSE_IS9_EEEEjNS0_19identity_decomposerEEE10hipError_tT1_T2_PT3_SN_jT4_jjP12ihipStream_tbEUlT_E0_NS1_11comp_targetILNS1_3genE10ELNS1_11target_archE1201ELNS1_3gpuE5ELNS1_3repE0EEENS1_52radix_sort_onesweep_histogram_config_static_selectorELNS0_4arch9wavefront6targetE0EEEvSL_,"axG",@progbits,_ZN7rocprim17ROCPRIM_400000_NS6detail17trampoline_kernelINS0_14default_configENS1_35radix_sort_onesweep_config_selectorIjN6thrust23THRUST_200600_302600_NS5tupleIffNS6_9null_typeES8_S8_S8_S8_S8_S8_S8_EEEEZNS1_34radix_sort_onesweep_global_offsetsIS3_Lb0ENS6_6detail15normal_iteratorINS6_10device_ptrIjEEEENSD_INSE_IS9_EEEEjNS0_19identity_decomposerEEE10hipError_tT1_T2_PT3_SN_jT4_jjP12ihipStream_tbEUlT_E0_NS1_11comp_targetILNS1_3genE10ELNS1_11target_archE1201ELNS1_3gpuE5ELNS1_3repE0EEENS1_52radix_sort_onesweep_histogram_config_static_selectorELNS0_4arch9wavefront6targetE0EEEvSL_,comdat
	.protected	_ZN7rocprim17ROCPRIM_400000_NS6detail17trampoline_kernelINS0_14default_configENS1_35radix_sort_onesweep_config_selectorIjN6thrust23THRUST_200600_302600_NS5tupleIffNS6_9null_typeES8_S8_S8_S8_S8_S8_S8_EEEEZNS1_34radix_sort_onesweep_global_offsetsIS3_Lb0ENS6_6detail15normal_iteratorINS6_10device_ptrIjEEEENSD_INSE_IS9_EEEEjNS0_19identity_decomposerEEE10hipError_tT1_T2_PT3_SN_jT4_jjP12ihipStream_tbEUlT_E0_NS1_11comp_targetILNS1_3genE10ELNS1_11target_archE1201ELNS1_3gpuE5ELNS1_3repE0EEENS1_52radix_sort_onesweep_histogram_config_static_selectorELNS0_4arch9wavefront6targetE0EEEvSL_ ; -- Begin function _ZN7rocprim17ROCPRIM_400000_NS6detail17trampoline_kernelINS0_14default_configENS1_35radix_sort_onesweep_config_selectorIjN6thrust23THRUST_200600_302600_NS5tupleIffNS6_9null_typeES8_S8_S8_S8_S8_S8_S8_EEEEZNS1_34radix_sort_onesweep_global_offsetsIS3_Lb0ENS6_6detail15normal_iteratorINS6_10device_ptrIjEEEENSD_INSE_IS9_EEEEjNS0_19identity_decomposerEEE10hipError_tT1_T2_PT3_SN_jT4_jjP12ihipStream_tbEUlT_E0_NS1_11comp_targetILNS1_3genE10ELNS1_11target_archE1201ELNS1_3gpuE5ELNS1_3repE0EEENS1_52radix_sort_onesweep_histogram_config_static_selectorELNS0_4arch9wavefront6targetE0EEEvSL_
	.globl	_ZN7rocprim17ROCPRIM_400000_NS6detail17trampoline_kernelINS0_14default_configENS1_35radix_sort_onesweep_config_selectorIjN6thrust23THRUST_200600_302600_NS5tupleIffNS6_9null_typeES8_S8_S8_S8_S8_S8_S8_EEEEZNS1_34radix_sort_onesweep_global_offsetsIS3_Lb0ENS6_6detail15normal_iteratorINS6_10device_ptrIjEEEENSD_INSE_IS9_EEEEjNS0_19identity_decomposerEEE10hipError_tT1_T2_PT3_SN_jT4_jjP12ihipStream_tbEUlT_E0_NS1_11comp_targetILNS1_3genE10ELNS1_11target_archE1201ELNS1_3gpuE5ELNS1_3repE0EEENS1_52radix_sort_onesweep_histogram_config_static_selectorELNS0_4arch9wavefront6targetE0EEEvSL_
	.p2align	8
	.type	_ZN7rocprim17ROCPRIM_400000_NS6detail17trampoline_kernelINS0_14default_configENS1_35radix_sort_onesweep_config_selectorIjN6thrust23THRUST_200600_302600_NS5tupleIffNS6_9null_typeES8_S8_S8_S8_S8_S8_S8_EEEEZNS1_34radix_sort_onesweep_global_offsetsIS3_Lb0ENS6_6detail15normal_iteratorINS6_10device_ptrIjEEEENSD_INSE_IS9_EEEEjNS0_19identity_decomposerEEE10hipError_tT1_T2_PT3_SN_jT4_jjP12ihipStream_tbEUlT_E0_NS1_11comp_targetILNS1_3genE10ELNS1_11target_archE1201ELNS1_3gpuE5ELNS1_3repE0EEENS1_52radix_sort_onesweep_histogram_config_static_selectorELNS0_4arch9wavefront6targetE0EEEvSL_,@function
_ZN7rocprim17ROCPRIM_400000_NS6detail17trampoline_kernelINS0_14default_configENS1_35radix_sort_onesweep_config_selectorIjN6thrust23THRUST_200600_302600_NS5tupleIffNS6_9null_typeES8_S8_S8_S8_S8_S8_S8_EEEEZNS1_34radix_sort_onesweep_global_offsetsIS3_Lb0ENS6_6detail15normal_iteratorINS6_10device_ptrIjEEEENSD_INSE_IS9_EEEEjNS0_19identity_decomposerEEE10hipError_tT1_T2_PT3_SN_jT4_jjP12ihipStream_tbEUlT_E0_NS1_11comp_targetILNS1_3genE10ELNS1_11target_archE1201ELNS1_3gpuE5ELNS1_3repE0EEENS1_52radix_sort_onesweep_histogram_config_static_selectorELNS0_4arch9wavefront6targetE0EEEvSL_: ; @_ZN7rocprim17ROCPRIM_400000_NS6detail17trampoline_kernelINS0_14default_configENS1_35radix_sort_onesweep_config_selectorIjN6thrust23THRUST_200600_302600_NS5tupleIffNS6_9null_typeES8_S8_S8_S8_S8_S8_S8_EEEEZNS1_34radix_sort_onesweep_global_offsetsIS3_Lb0ENS6_6detail15normal_iteratorINS6_10device_ptrIjEEEENSD_INSE_IS9_EEEEjNS0_19identity_decomposerEEE10hipError_tT1_T2_PT3_SN_jT4_jjP12ihipStream_tbEUlT_E0_NS1_11comp_targetILNS1_3genE10ELNS1_11target_archE1201ELNS1_3gpuE5ELNS1_3repE0EEENS1_52radix_sort_onesweep_histogram_config_static_selectorELNS0_4arch9wavefront6targetE0EEEvSL_
; %bb.0:
	s_load_b64 s[0:1], s[0:1], 0x0
	s_lshl_b32 s2, ttmp9, 8
	s_mov_b32 s3, 0
	v_cmp_gt_u32_e32 vcc_lo, 0x100, v0
	v_lshlrev_b32_e32 v1, 2, v0
	s_lshl_b64 s[2:3], s[2:3], 2
                                        ; implicit-def: $vgpr3
	s_wait_kmcnt 0x0
	s_add_nc_u64 s[8:9], s[0:1], s[2:3]
	s_and_saveexec_b32 s0, vcc_lo
	s_cbranch_execz .LBB154_2
; %bb.1:
	global_load_b32 v3, v1, s[8:9]
.LBB154_2:
	s_or_b32 exec_lo, exec_lo, s0
	v_mbcnt_lo_u32_b32 v2, -1, 0
	s_wait_loadcnt 0x0
	v_mov_b32_dpp v5, v3 row_shr:1 row_mask:0xf bank_mask:0xf
	v_and_b32_e32 v7, 31, v0
	s_mov_b32 s6, exec_lo
	v_and_b32_e32 v4, 15, v2
	v_and_b32_e32 v6, 16, v2
	s_delay_alu instid0(VALU_DEP_2)
	v_cmp_eq_u32_e64 s0, 0, v4
	v_cmp_lt_u32_e64 s1, 1, v4
	v_cmp_lt_u32_e64 s2, 3, v4
	;; [unrolled: 1-line block ×3, first 2 shown]
	v_cmp_eq_u32_e64 s4, 0, v6
	v_cndmask_b32_e64 v5, v5, 0, s0
	s_delay_alu instid0(VALU_DEP_1) | instskip(NEXT) | instid1(VALU_DEP_1)
	v_add_nc_u32_e32 v3, v5, v3
	v_mov_b32_dpp v5, v3 row_shr:2 row_mask:0xf bank_mask:0xf
	s_delay_alu instid0(VALU_DEP_1) | instskip(NEXT) | instid1(VALU_DEP_1)
	v_cndmask_b32_e64 v5, 0, v5, s1
	v_add_nc_u32_e32 v3, v3, v5
	s_delay_alu instid0(VALU_DEP_1) | instskip(NEXT) | instid1(VALU_DEP_1)
	v_mov_b32_dpp v5, v3 row_shr:4 row_mask:0xf bank_mask:0xf
	v_cndmask_b32_e64 v5, 0, v5, s2
	s_delay_alu instid0(VALU_DEP_1) | instskip(NEXT) | instid1(VALU_DEP_1)
	v_add_nc_u32_e32 v3, v3, v5
	v_mov_b32_dpp v5, v3 row_shr:8 row_mask:0xf bank_mask:0xf
	s_delay_alu instid0(VALU_DEP_1) | instskip(SKIP_1) | instid1(VALU_DEP_2)
	v_cndmask_b32_e64 v4, 0, v5, s3
	v_bfe_i32 v5, v2, 4, 1
	v_add_nc_u32_e32 v3, v3, v4
	ds_swizzle_b32 v4, v3 offset:swizzle(BROADCAST,32,15)
	s_wait_dscnt 0x0
	v_and_b32_e32 v5, v5, v4
	v_lshrrev_b32_e32 v4, 5, v0
	s_delay_alu instid0(VALU_DEP_2)
	v_add_nc_u32_e32 v3, v3, v5
	v_cmpx_eq_u32_e32 31, v7
; %bb.3:
	s_delay_alu instid0(VALU_DEP_3)
	v_lshlrev_b32_e32 v5, 2, v4
	ds_store_b32 v5, v3
; %bb.4:
	s_or_b32 exec_lo, exec_lo, s6
	v_cmp_lt_u32_e64 s5, 31, v0
	s_mov_b32 s7, exec_lo
	s_wait_dscnt 0x0
	s_barrier_signal -1
	s_barrier_wait -1
	global_inv scope:SCOPE_SE
	v_cmpx_gt_u32_e32 32, v0
	s_cbranch_execz .LBB154_6
; %bb.5:
	ds_load_b32 v0, v1
	s_wait_dscnt 0x0
	v_mov_b32_dpp v5, v0 row_shr:1 row_mask:0xf bank_mask:0xf
	s_delay_alu instid0(VALU_DEP_1) | instskip(NEXT) | instid1(VALU_DEP_1)
	v_cndmask_b32_e64 v5, v5, 0, s0
	v_add_nc_u32_e32 v0, v5, v0
	s_delay_alu instid0(VALU_DEP_1) | instskip(NEXT) | instid1(VALU_DEP_1)
	v_mov_b32_dpp v5, v0 row_shr:2 row_mask:0xf bank_mask:0xf
	v_cndmask_b32_e64 v5, 0, v5, s1
	s_delay_alu instid0(VALU_DEP_1) | instskip(NEXT) | instid1(VALU_DEP_1)
	v_add_nc_u32_e32 v0, v0, v5
	v_mov_b32_dpp v5, v0 row_shr:4 row_mask:0xf bank_mask:0xf
	s_delay_alu instid0(VALU_DEP_1) | instskip(NEXT) | instid1(VALU_DEP_1)
	v_cndmask_b32_e64 v5, 0, v5, s2
	v_add_nc_u32_e32 v0, v0, v5
	s_delay_alu instid0(VALU_DEP_1) | instskip(NEXT) | instid1(VALU_DEP_1)
	v_mov_b32_dpp v5, v0 row_shr:8 row_mask:0xf bank_mask:0xf
	v_cndmask_b32_e64 v5, 0, v5, s3
	s_delay_alu instid0(VALU_DEP_1) | instskip(SKIP_3) | instid1(VALU_DEP_1)
	v_add_nc_u32_e32 v0, v0, v5
	ds_swizzle_b32 v5, v0 offset:swizzle(BROADCAST,32,15)
	s_wait_dscnt 0x0
	v_cndmask_b32_e64 v5, v5, 0, s4
	v_add_nc_u32_e32 v0, v0, v5
	ds_store_b32 v1, v0
.LBB154_6:
	s_or_b32 exec_lo, exec_lo, s7
	v_mov_b32_e32 v0, 0
	s_wait_loadcnt_dscnt 0x0
	s_barrier_signal -1
	s_barrier_wait -1
	global_inv scope:SCOPE_SE
	s_and_saveexec_b32 s0, s5
; %bb.7:
	v_lshl_add_u32 v0, v4, 2, -4
	ds_load_b32 v0, v0
; %bb.8:
	s_wait_alu 0xfffe
	s_or_b32 exec_lo, exec_lo, s0
	v_add_nc_u32_e32 v4, -1, v2
	s_wait_dscnt 0x0
	v_add_nc_u32_e32 v3, v0, v3
	s_delay_alu instid0(VALU_DEP_2) | instskip(SKIP_1) | instid1(VALU_DEP_1)
	v_cmp_gt_i32_e64 s0, 0, v4
	s_wait_alu 0xf1ff
	v_cndmask_b32_e64 v4, v4, v2, s0
	s_delay_alu instid0(VALU_DEP_1)
	v_lshlrev_b32_e32 v4, 2, v4
	ds_bpermute_b32 v3, v4, v3
	s_and_saveexec_b32 s0, vcc_lo
	s_cbranch_execz .LBB154_10
; %bb.9:
	v_cmp_eq_u32_e32 vcc_lo, 0, v2
	s_wait_dscnt 0x0
	v_cndmask_b32_e32 v0, v3, v0, vcc_lo
	global_store_b32 v1, v0, s[8:9]
.LBB154_10:
	s_endpgm
	.section	.rodata,"a",@progbits
	.p2align	6, 0x0
	.amdhsa_kernel _ZN7rocprim17ROCPRIM_400000_NS6detail17trampoline_kernelINS0_14default_configENS1_35radix_sort_onesweep_config_selectorIjN6thrust23THRUST_200600_302600_NS5tupleIffNS6_9null_typeES8_S8_S8_S8_S8_S8_S8_EEEEZNS1_34radix_sort_onesweep_global_offsetsIS3_Lb0ENS6_6detail15normal_iteratorINS6_10device_ptrIjEEEENSD_INSE_IS9_EEEEjNS0_19identity_decomposerEEE10hipError_tT1_T2_PT3_SN_jT4_jjP12ihipStream_tbEUlT_E0_NS1_11comp_targetILNS1_3genE10ELNS1_11target_archE1201ELNS1_3gpuE5ELNS1_3repE0EEENS1_52radix_sort_onesweep_histogram_config_static_selectorELNS0_4arch9wavefront6targetE0EEEvSL_
		.amdhsa_group_segment_fixed_size 128
		.amdhsa_private_segment_fixed_size 0
		.amdhsa_kernarg_size 8
		.amdhsa_user_sgpr_count 2
		.amdhsa_user_sgpr_dispatch_ptr 0
		.amdhsa_user_sgpr_queue_ptr 0
		.amdhsa_user_sgpr_kernarg_segment_ptr 1
		.amdhsa_user_sgpr_dispatch_id 0
		.amdhsa_user_sgpr_private_segment_size 0
		.amdhsa_wavefront_size32 1
		.amdhsa_uses_dynamic_stack 0
		.amdhsa_enable_private_segment 0
		.amdhsa_system_sgpr_workgroup_id_x 1
		.amdhsa_system_sgpr_workgroup_id_y 0
		.amdhsa_system_sgpr_workgroup_id_z 0
		.amdhsa_system_sgpr_workgroup_info 0
		.amdhsa_system_vgpr_workitem_id 0
		.amdhsa_next_free_vgpr 8
		.amdhsa_next_free_sgpr 10
		.amdhsa_reserve_vcc 1
		.amdhsa_float_round_mode_32 0
		.amdhsa_float_round_mode_16_64 0
		.amdhsa_float_denorm_mode_32 3
		.amdhsa_float_denorm_mode_16_64 3
		.amdhsa_fp16_overflow 0
		.amdhsa_workgroup_processor_mode 1
		.amdhsa_memory_ordered 1
		.amdhsa_forward_progress 1
		.amdhsa_inst_pref_size 5
		.amdhsa_round_robin_scheduling 0
		.amdhsa_exception_fp_ieee_invalid_op 0
		.amdhsa_exception_fp_denorm_src 0
		.amdhsa_exception_fp_ieee_div_zero 0
		.amdhsa_exception_fp_ieee_overflow 0
		.amdhsa_exception_fp_ieee_underflow 0
		.amdhsa_exception_fp_ieee_inexact 0
		.amdhsa_exception_int_div_zero 0
	.end_amdhsa_kernel
	.section	.text._ZN7rocprim17ROCPRIM_400000_NS6detail17trampoline_kernelINS0_14default_configENS1_35radix_sort_onesweep_config_selectorIjN6thrust23THRUST_200600_302600_NS5tupleIffNS6_9null_typeES8_S8_S8_S8_S8_S8_S8_EEEEZNS1_34radix_sort_onesweep_global_offsetsIS3_Lb0ENS6_6detail15normal_iteratorINS6_10device_ptrIjEEEENSD_INSE_IS9_EEEEjNS0_19identity_decomposerEEE10hipError_tT1_T2_PT3_SN_jT4_jjP12ihipStream_tbEUlT_E0_NS1_11comp_targetILNS1_3genE10ELNS1_11target_archE1201ELNS1_3gpuE5ELNS1_3repE0EEENS1_52radix_sort_onesweep_histogram_config_static_selectorELNS0_4arch9wavefront6targetE0EEEvSL_,"axG",@progbits,_ZN7rocprim17ROCPRIM_400000_NS6detail17trampoline_kernelINS0_14default_configENS1_35radix_sort_onesweep_config_selectorIjN6thrust23THRUST_200600_302600_NS5tupleIffNS6_9null_typeES8_S8_S8_S8_S8_S8_S8_EEEEZNS1_34radix_sort_onesweep_global_offsetsIS3_Lb0ENS6_6detail15normal_iteratorINS6_10device_ptrIjEEEENSD_INSE_IS9_EEEEjNS0_19identity_decomposerEEE10hipError_tT1_T2_PT3_SN_jT4_jjP12ihipStream_tbEUlT_E0_NS1_11comp_targetILNS1_3genE10ELNS1_11target_archE1201ELNS1_3gpuE5ELNS1_3repE0EEENS1_52radix_sort_onesweep_histogram_config_static_selectorELNS0_4arch9wavefront6targetE0EEEvSL_,comdat
.Lfunc_end154:
	.size	_ZN7rocprim17ROCPRIM_400000_NS6detail17trampoline_kernelINS0_14default_configENS1_35radix_sort_onesweep_config_selectorIjN6thrust23THRUST_200600_302600_NS5tupleIffNS6_9null_typeES8_S8_S8_S8_S8_S8_S8_EEEEZNS1_34radix_sort_onesweep_global_offsetsIS3_Lb0ENS6_6detail15normal_iteratorINS6_10device_ptrIjEEEENSD_INSE_IS9_EEEEjNS0_19identity_decomposerEEE10hipError_tT1_T2_PT3_SN_jT4_jjP12ihipStream_tbEUlT_E0_NS1_11comp_targetILNS1_3genE10ELNS1_11target_archE1201ELNS1_3gpuE5ELNS1_3repE0EEENS1_52radix_sort_onesweep_histogram_config_static_selectorELNS0_4arch9wavefront6targetE0EEEvSL_, .Lfunc_end154-_ZN7rocprim17ROCPRIM_400000_NS6detail17trampoline_kernelINS0_14default_configENS1_35radix_sort_onesweep_config_selectorIjN6thrust23THRUST_200600_302600_NS5tupleIffNS6_9null_typeES8_S8_S8_S8_S8_S8_S8_EEEEZNS1_34radix_sort_onesweep_global_offsetsIS3_Lb0ENS6_6detail15normal_iteratorINS6_10device_ptrIjEEEENSD_INSE_IS9_EEEEjNS0_19identity_decomposerEEE10hipError_tT1_T2_PT3_SN_jT4_jjP12ihipStream_tbEUlT_E0_NS1_11comp_targetILNS1_3genE10ELNS1_11target_archE1201ELNS1_3gpuE5ELNS1_3repE0EEENS1_52radix_sort_onesweep_histogram_config_static_selectorELNS0_4arch9wavefront6targetE0EEEvSL_
                                        ; -- End function
	.set _ZN7rocprim17ROCPRIM_400000_NS6detail17trampoline_kernelINS0_14default_configENS1_35radix_sort_onesweep_config_selectorIjN6thrust23THRUST_200600_302600_NS5tupleIffNS6_9null_typeES8_S8_S8_S8_S8_S8_S8_EEEEZNS1_34radix_sort_onesweep_global_offsetsIS3_Lb0ENS6_6detail15normal_iteratorINS6_10device_ptrIjEEEENSD_INSE_IS9_EEEEjNS0_19identity_decomposerEEE10hipError_tT1_T2_PT3_SN_jT4_jjP12ihipStream_tbEUlT_E0_NS1_11comp_targetILNS1_3genE10ELNS1_11target_archE1201ELNS1_3gpuE5ELNS1_3repE0EEENS1_52radix_sort_onesweep_histogram_config_static_selectorELNS0_4arch9wavefront6targetE0EEEvSL_.num_vgpr, 8
	.set _ZN7rocprim17ROCPRIM_400000_NS6detail17trampoline_kernelINS0_14default_configENS1_35radix_sort_onesweep_config_selectorIjN6thrust23THRUST_200600_302600_NS5tupleIffNS6_9null_typeES8_S8_S8_S8_S8_S8_S8_EEEEZNS1_34radix_sort_onesweep_global_offsetsIS3_Lb0ENS6_6detail15normal_iteratorINS6_10device_ptrIjEEEENSD_INSE_IS9_EEEEjNS0_19identity_decomposerEEE10hipError_tT1_T2_PT3_SN_jT4_jjP12ihipStream_tbEUlT_E0_NS1_11comp_targetILNS1_3genE10ELNS1_11target_archE1201ELNS1_3gpuE5ELNS1_3repE0EEENS1_52radix_sort_onesweep_histogram_config_static_selectorELNS0_4arch9wavefront6targetE0EEEvSL_.num_agpr, 0
	.set _ZN7rocprim17ROCPRIM_400000_NS6detail17trampoline_kernelINS0_14default_configENS1_35radix_sort_onesweep_config_selectorIjN6thrust23THRUST_200600_302600_NS5tupleIffNS6_9null_typeES8_S8_S8_S8_S8_S8_S8_EEEEZNS1_34radix_sort_onesweep_global_offsetsIS3_Lb0ENS6_6detail15normal_iteratorINS6_10device_ptrIjEEEENSD_INSE_IS9_EEEEjNS0_19identity_decomposerEEE10hipError_tT1_T2_PT3_SN_jT4_jjP12ihipStream_tbEUlT_E0_NS1_11comp_targetILNS1_3genE10ELNS1_11target_archE1201ELNS1_3gpuE5ELNS1_3repE0EEENS1_52radix_sort_onesweep_histogram_config_static_selectorELNS0_4arch9wavefront6targetE0EEEvSL_.numbered_sgpr, 10
	.set _ZN7rocprim17ROCPRIM_400000_NS6detail17trampoline_kernelINS0_14default_configENS1_35radix_sort_onesweep_config_selectorIjN6thrust23THRUST_200600_302600_NS5tupleIffNS6_9null_typeES8_S8_S8_S8_S8_S8_S8_EEEEZNS1_34radix_sort_onesweep_global_offsetsIS3_Lb0ENS6_6detail15normal_iteratorINS6_10device_ptrIjEEEENSD_INSE_IS9_EEEEjNS0_19identity_decomposerEEE10hipError_tT1_T2_PT3_SN_jT4_jjP12ihipStream_tbEUlT_E0_NS1_11comp_targetILNS1_3genE10ELNS1_11target_archE1201ELNS1_3gpuE5ELNS1_3repE0EEENS1_52radix_sort_onesweep_histogram_config_static_selectorELNS0_4arch9wavefront6targetE0EEEvSL_.num_named_barrier, 0
	.set _ZN7rocprim17ROCPRIM_400000_NS6detail17trampoline_kernelINS0_14default_configENS1_35radix_sort_onesweep_config_selectorIjN6thrust23THRUST_200600_302600_NS5tupleIffNS6_9null_typeES8_S8_S8_S8_S8_S8_S8_EEEEZNS1_34radix_sort_onesweep_global_offsetsIS3_Lb0ENS6_6detail15normal_iteratorINS6_10device_ptrIjEEEENSD_INSE_IS9_EEEEjNS0_19identity_decomposerEEE10hipError_tT1_T2_PT3_SN_jT4_jjP12ihipStream_tbEUlT_E0_NS1_11comp_targetILNS1_3genE10ELNS1_11target_archE1201ELNS1_3gpuE5ELNS1_3repE0EEENS1_52radix_sort_onesweep_histogram_config_static_selectorELNS0_4arch9wavefront6targetE0EEEvSL_.private_seg_size, 0
	.set _ZN7rocprim17ROCPRIM_400000_NS6detail17trampoline_kernelINS0_14default_configENS1_35radix_sort_onesweep_config_selectorIjN6thrust23THRUST_200600_302600_NS5tupleIffNS6_9null_typeES8_S8_S8_S8_S8_S8_S8_EEEEZNS1_34radix_sort_onesweep_global_offsetsIS3_Lb0ENS6_6detail15normal_iteratorINS6_10device_ptrIjEEEENSD_INSE_IS9_EEEEjNS0_19identity_decomposerEEE10hipError_tT1_T2_PT3_SN_jT4_jjP12ihipStream_tbEUlT_E0_NS1_11comp_targetILNS1_3genE10ELNS1_11target_archE1201ELNS1_3gpuE5ELNS1_3repE0EEENS1_52radix_sort_onesweep_histogram_config_static_selectorELNS0_4arch9wavefront6targetE0EEEvSL_.uses_vcc, 1
	.set _ZN7rocprim17ROCPRIM_400000_NS6detail17trampoline_kernelINS0_14default_configENS1_35radix_sort_onesweep_config_selectorIjN6thrust23THRUST_200600_302600_NS5tupleIffNS6_9null_typeES8_S8_S8_S8_S8_S8_S8_EEEEZNS1_34radix_sort_onesweep_global_offsetsIS3_Lb0ENS6_6detail15normal_iteratorINS6_10device_ptrIjEEEENSD_INSE_IS9_EEEEjNS0_19identity_decomposerEEE10hipError_tT1_T2_PT3_SN_jT4_jjP12ihipStream_tbEUlT_E0_NS1_11comp_targetILNS1_3genE10ELNS1_11target_archE1201ELNS1_3gpuE5ELNS1_3repE0EEENS1_52radix_sort_onesweep_histogram_config_static_selectorELNS0_4arch9wavefront6targetE0EEEvSL_.uses_flat_scratch, 0
	.set _ZN7rocprim17ROCPRIM_400000_NS6detail17trampoline_kernelINS0_14default_configENS1_35radix_sort_onesweep_config_selectorIjN6thrust23THRUST_200600_302600_NS5tupleIffNS6_9null_typeES8_S8_S8_S8_S8_S8_S8_EEEEZNS1_34radix_sort_onesweep_global_offsetsIS3_Lb0ENS6_6detail15normal_iteratorINS6_10device_ptrIjEEEENSD_INSE_IS9_EEEEjNS0_19identity_decomposerEEE10hipError_tT1_T2_PT3_SN_jT4_jjP12ihipStream_tbEUlT_E0_NS1_11comp_targetILNS1_3genE10ELNS1_11target_archE1201ELNS1_3gpuE5ELNS1_3repE0EEENS1_52radix_sort_onesweep_histogram_config_static_selectorELNS0_4arch9wavefront6targetE0EEEvSL_.has_dyn_sized_stack, 0
	.set _ZN7rocprim17ROCPRIM_400000_NS6detail17trampoline_kernelINS0_14default_configENS1_35radix_sort_onesweep_config_selectorIjN6thrust23THRUST_200600_302600_NS5tupleIffNS6_9null_typeES8_S8_S8_S8_S8_S8_S8_EEEEZNS1_34radix_sort_onesweep_global_offsetsIS3_Lb0ENS6_6detail15normal_iteratorINS6_10device_ptrIjEEEENSD_INSE_IS9_EEEEjNS0_19identity_decomposerEEE10hipError_tT1_T2_PT3_SN_jT4_jjP12ihipStream_tbEUlT_E0_NS1_11comp_targetILNS1_3genE10ELNS1_11target_archE1201ELNS1_3gpuE5ELNS1_3repE0EEENS1_52radix_sort_onesweep_histogram_config_static_selectorELNS0_4arch9wavefront6targetE0EEEvSL_.has_recursion, 0
	.set _ZN7rocprim17ROCPRIM_400000_NS6detail17trampoline_kernelINS0_14default_configENS1_35radix_sort_onesweep_config_selectorIjN6thrust23THRUST_200600_302600_NS5tupleIffNS6_9null_typeES8_S8_S8_S8_S8_S8_S8_EEEEZNS1_34radix_sort_onesweep_global_offsetsIS3_Lb0ENS6_6detail15normal_iteratorINS6_10device_ptrIjEEEENSD_INSE_IS9_EEEEjNS0_19identity_decomposerEEE10hipError_tT1_T2_PT3_SN_jT4_jjP12ihipStream_tbEUlT_E0_NS1_11comp_targetILNS1_3genE10ELNS1_11target_archE1201ELNS1_3gpuE5ELNS1_3repE0EEENS1_52radix_sort_onesweep_histogram_config_static_selectorELNS0_4arch9wavefront6targetE0EEEvSL_.has_indirect_call, 0
	.section	.AMDGPU.csdata,"",@progbits
; Kernel info:
; codeLenInByte = 636
; TotalNumSgprs: 12
; NumVgprs: 8
; ScratchSize: 0
; MemoryBound: 0
; FloatMode: 240
; IeeeMode: 1
; LDSByteSize: 128 bytes/workgroup (compile time only)
; SGPRBlocks: 0
; VGPRBlocks: 0
; NumSGPRsForWavesPerEU: 12
; NumVGPRsForWavesPerEU: 8
; Occupancy: 16
; WaveLimiterHint : 0
; COMPUTE_PGM_RSRC2:SCRATCH_EN: 0
; COMPUTE_PGM_RSRC2:USER_SGPR: 2
; COMPUTE_PGM_RSRC2:TRAP_HANDLER: 0
; COMPUTE_PGM_RSRC2:TGID_X_EN: 1
; COMPUTE_PGM_RSRC2:TGID_Y_EN: 0
; COMPUTE_PGM_RSRC2:TGID_Z_EN: 0
; COMPUTE_PGM_RSRC2:TIDIG_COMP_CNT: 0
	.section	.text._ZN7rocprim17ROCPRIM_400000_NS6detail17trampoline_kernelINS0_14default_configENS1_35radix_sort_onesweep_config_selectorIjN6thrust23THRUST_200600_302600_NS5tupleIffNS6_9null_typeES8_S8_S8_S8_S8_S8_S8_EEEEZNS1_34radix_sort_onesweep_global_offsetsIS3_Lb0ENS6_6detail15normal_iteratorINS6_10device_ptrIjEEEENSD_INSE_IS9_EEEEjNS0_19identity_decomposerEEE10hipError_tT1_T2_PT3_SN_jT4_jjP12ihipStream_tbEUlT_E0_NS1_11comp_targetILNS1_3genE9ELNS1_11target_archE1100ELNS1_3gpuE3ELNS1_3repE0EEENS1_52radix_sort_onesweep_histogram_config_static_selectorELNS0_4arch9wavefront6targetE0EEEvSL_,"axG",@progbits,_ZN7rocprim17ROCPRIM_400000_NS6detail17trampoline_kernelINS0_14default_configENS1_35radix_sort_onesweep_config_selectorIjN6thrust23THRUST_200600_302600_NS5tupleIffNS6_9null_typeES8_S8_S8_S8_S8_S8_S8_EEEEZNS1_34radix_sort_onesweep_global_offsetsIS3_Lb0ENS6_6detail15normal_iteratorINS6_10device_ptrIjEEEENSD_INSE_IS9_EEEEjNS0_19identity_decomposerEEE10hipError_tT1_T2_PT3_SN_jT4_jjP12ihipStream_tbEUlT_E0_NS1_11comp_targetILNS1_3genE9ELNS1_11target_archE1100ELNS1_3gpuE3ELNS1_3repE0EEENS1_52radix_sort_onesweep_histogram_config_static_selectorELNS0_4arch9wavefront6targetE0EEEvSL_,comdat
	.protected	_ZN7rocprim17ROCPRIM_400000_NS6detail17trampoline_kernelINS0_14default_configENS1_35radix_sort_onesweep_config_selectorIjN6thrust23THRUST_200600_302600_NS5tupleIffNS6_9null_typeES8_S8_S8_S8_S8_S8_S8_EEEEZNS1_34radix_sort_onesweep_global_offsetsIS3_Lb0ENS6_6detail15normal_iteratorINS6_10device_ptrIjEEEENSD_INSE_IS9_EEEEjNS0_19identity_decomposerEEE10hipError_tT1_T2_PT3_SN_jT4_jjP12ihipStream_tbEUlT_E0_NS1_11comp_targetILNS1_3genE9ELNS1_11target_archE1100ELNS1_3gpuE3ELNS1_3repE0EEENS1_52radix_sort_onesweep_histogram_config_static_selectorELNS0_4arch9wavefront6targetE0EEEvSL_ ; -- Begin function _ZN7rocprim17ROCPRIM_400000_NS6detail17trampoline_kernelINS0_14default_configENS1_35radix_sort_onesweep_config_selectorIjN6thrust23THRUST_200600_302600_NS5tupleIffNS6_9null_typeES8_S8_S8_S8_S8_S8_S8_EEEEZNS1_34radix_sort_onesweep_global_offsetsIS3_Lb0ENS6_6detail15normal_iteratorINS6_10device_ptrIjEEEENSD_INSE_IS9_EEEEjNS0_19identity_decomposerEEE10hipError_tT1_T2_PT3_SN_jT4_jjP12ihipStream_tbEUlT_E0_NS1_11comp_targetILNS1_3genE9ELNS1_11target_archE1100ELNS1_3gpuE3ELNS1_3repE0EEENS1_52radix_sort_onesweep_histogram_config_static_selectorELNS0_4arch9wavefront6targetE0EEEvSL_
	.globl	_ZN7rocprim17ROCPRIM_400000_NS6detail17trampoline_kernelINS0_14default_configENS1_35radix_sort_onesweep_config_selectorIjN6thrust23THRUST_200600_302600_NS5tupleIffNS6_9null_typeES8_S8_S8_S8_S8_S8_S8_EEEEZNS1_34radix_sort_onesweep_global_offsetsIS3_Lb0ENS6_6detail15normal_iteratorINS6_10device_ptrIjEEEENSD_INSE_IS9_EEEEjNS0_19identity_decomposerEEE10hipError_tT1_T2_PT3_SN_jT4_jjP12ihipStream_tbEUlT_E0_NS1_11comp_targetILNS1_3genE9ELNS1_11target_archE1100ELNS1_3gpuE3ELNS1_3repE0EEENS1_52radix_sort_onesweep_histogram_config_static_selectorELNS0_4arch9wavefront6targetE0EEEvSL_
	.p2align	8
	.type	_ZN7rocprim17ROCPRIM_400000_NS6detail17trampoline_kernelINS0_14default_configENS1_35radix_sort_onesweep_config_selectorIjN6thrust23THRUST_200600_302600_NS5tupleIffNS6_9null_typeES8_S8_S8_S8_S8_S8_S8_EEEEZNS1_34radix_sort_onesweep_global_offsetsIS3_Lb0ENS6_6detail15normal_iteratorINS6_10device_ptrIjEEEENSD_INSE_IS9_EEEEjNS0_19identity_decomposerEEE10hipError_tT1_T2_PT3_SN_jT4_jjP12ihipStream_tbEUlT_E0_NS1_11comp_targetILNS1_3genE9ELNS1_11target_archE1100ELNS1_3gpuE3ELNS1_3repE0EEENS1_52radix_sort_onesweep_histogram_config_static_selectorELNS0_4arch9wavefront6targetE0EEEvSL_,@function
_ZN7rocprim17ROCPRIM_400000_NS6detail17trampoline_kernelINS0_14default_configENS1_35radix_sort_onesweep_config_selectorIjN6thrust23THRUST_200600_302600_NS5tupleIffNS6_9null_typeES8_S8_S8_S8_S8_S8_S8_EEEEZNS1_34radix_sort_onesweep_global_offsetsIS3_Lb0ENS6_6detail15normal_iteratorINS6_10device_ptrIjEEEENSD_INSE_IS9_EEEEjNS0_19identity_decomposerEEE10hipError_tT1_T2_PT3_SN_jT4_jjP12ihipStream_tbEUlT_E0_NS1_11comp_targetILNS1_3genE9ELNS1_11target_archE1100ELNS1_3gpuE3ELNS1_3repE0EEENS1_52radix_sort_onesweep_histogram_config_static_selectorELNS0_4arch9wavefront6targetE0EEEvSL_: ; @_ZN7rocprim17ROCPRIM_400000_NS6detail17trampoline_kernelINS0_14default_configENS1_35radix_sort_onesweep_config_selectorIjN6thrust23THRUST_200600_302600_NS5tupleIffNS6_9null_typeES8_S8_S8_S8_S8_S8_S8_EEEEZNS1_34radix_sort_onesweep_global_offsetsIS3_Lb0ENS6_6detail15normal_iteratorINS6_10device_ptrIjEEEENSD_INSE_IS9_EEEEjNS0_19identity_decomposerEEE10hipError_tT1_T2_PT3_SN_jT4_jjP12ihipStream_tbEUlT_E0_NS1_11comp_targetILNS1_3genE9ELNS1_11target_archE1100ELNS1_3gpuE3ELNS1_3repE0EEENS1_52radix_sort_onesweep_histogram_config_static_selectorELNS0_4arch9wavefront6targetE0EEEvSL_
; %bb.0:
	.section	.rodata,"a",@progbits
	.p2align	6, 0x0
	.amdhsa_kernel _ZN7rocprim17ROCPRIM_400000_NS6detail17trampoline_kernelINS0_14default_configENS1_35radix_sort_onesweep_config_selectorIjN6thrust23THRUST_200600_302600_NS5tupleIffNS6_9null_typeES8_S8_S8_S8_S8_S8_S8_EEEEZNS1_34radix_sort_onesweep_global_offsetsIS3_Lb0ENS6_6detail15normal_iteratorINS6_10device_ptrIjEEEENSD_INSE_IS9_EEEEjNS0_19identity_decomposerEEE10hipError_tT1_T2_PT3_SN_jT4_jjP12ihipStream_tbEUlT_E0_NS1_11comp_targetILNS1_3genE9ELNS1_11target_archE1100ELNS1_3gpuE3ELNS1_3repE0EEENS1_52radix_sort_onesweep_histogram_config_static_selectorELNS0_4arch9wavefront6targetE0EEEvSL_
		.amdhsa_group_segment_fixed_size 0
		.amdhsa_private_segment_fixed_size 0
		.amdhsa_kernarg_size 8
		.amdhsa_user_sgpr_count 2
		.amdhsa_user_sgpr_dispatch_ptr 0
		.amdhsa_user_sgpr_queue_ptr 0
		.amdhsa_user_sgpr_kernarg_segment_ptr 1
		.amdhsa_user_sgpr_dispatch_id 0
		.amdhsa_user_sgpr_private_segment_size 0
		.amdhsa_wavefront_size32 1
		.amdhsa_uses_dynamic_stack 0
		.amdhsa_enable_private_segment 0
		.amdhsa_system_sgpr_workgroup_id_x 1
		.amdhsa_system_sgpr_workgroup_id_y 0
		.amdhsa_system_sgpr_workgroup_id_z 0
		.amdhsa_system_sgpr_workgroup_info 0
		.amdhsa_system_vgpr_workitem_id 0
		.amdhsa_next_free_vgpr 1
		.amdhsa_next_free_sgpr 1
		.amdhsa_reserve_vcc 0
		.amdhsa_float_round_mode_32 0
		.amdhsa_float_round_mode_16_64 0
		.amdhsa_float_denorm_mode_32 3
		.amdhsa_float_denorm_mode_16_64 3
		.amdhsa_fp16_overflow 0
		.amdhsa_workgroup_processor_mode 1
		.amdhsa_memory_ordered 1
		.amdhsa_forward_progress 1
		.amdhsa_inst_pref_size 0
		.amdhsa_round_robin_scheduling 0
		.amdhsa_exception_fp_ieee_invalid_op 0
		.amdhsa_exception_fp_denorm_src 0
		.amdhsa_exception_fp_ieee_div_zero 0
		.amdhsa_exception_fp_ieee_overflow 0
		.amdhsa_exception_fp_ieee_underflow 0
		.amdhsa_exception_fp_ieee_inexact 0
		.amdhsa_exception_int_div_zero 0
	.end_amdhsa_kernel
	.section	.text._ZN7rocprim17ROCPRIM_400000_NS6detail17trampoline_kernelINS0_14default_configENS1_35radix_sort_onesweep_config_selectorIjN6thrust23THRUST_200600_302600_NS5tupleIffNS6_9null_typeES8_S8_S8_S8_S8_S8_S8_EEEEZNS1_34radix_sort_onesweep_global_offsetsIS3_Lb0ENS6_6detail15normal_iteratorINS6_10device_ptrIjEEEENSD_INSE_IS9_EEEEjNS0_19identity_decomposerEEE10hipError_tT1_T2_PT3_SN_jT4_jjP12ihipStream_tbEUlT_E0_NS1_11comp_targetILNS1_3genE9ELNS1_11target_archE1100ELNS1_3gpuE3ELNS1_3repE0EEENS1_52radix_sort_onesweep_histogram_config_static_selectorELNS0_4arch9wavefront6targetE0EEEvSL_,"axG",@progbits,_ZN7rocprim17ROCPRIM_400000_NS6detail17trampoline_kernelINS0_14default_configENS1_35radix_sort_onesweep_config_selectorIjN6thrust23THRUST_200600_302600_NS5tupleIffNS6_9null_typeES8_S8_S8_S8_S8_S8_S8_EEEEZNS1_34radix_sort_onesweep_global_offsetsIS3_Lb0ENS6_6detail15normal_iteratorINS6_10device_ptrIjEEEENSD_INSE_IS9_EEEEjNS0_19identity_decomposerEEE10hipError_tT1_T2_PT3_SN_jT4_jjP12ihipStream_tbEUlT_E0_NS1_11comp_targetILNS1_3genE9ELNS1_11target_archE1100ELNS1_3gpuE3ELNS1_3repE0EEENS1_52radix_sort_onesweep_histogram_config_static_selectorELNS0_4arch9wavefront6targetE0EEEvSL_,comdat
.Lfunc_end155:
	.size	_ZN7rocprim17ROCPRIM_400000_NS6detail17trampoline_kernelINS0_14default_configENS1_35radix_sort_onesweep_config_selectorIjN6thrust23THRUST_200600_302600_NS5tupleIffNS6_9null_typeES8_S8_S8_S8_S8_S8_S8_EEEEZNS1_34radix_sort_onesweep_global_offsetsIS3_Lb0ENS6_6detail15normal_iteratorINS6_10device_ptrIjEEEENSD_INSE_IS9_EEEEjNS0_19identity_decomposerEEE10hipError_tT1_T2_PT3_SN_jT4_jjP12ihipStream_tbEUlT_E0_NS1_11comp_targetILNS1_3genE9ELNS1_11target_archE1100ELNS1_3gpuE3ELNS1_3repE0EEENS1_52radix_sort_onesweep_histogram_config_static_selectorELNS0_4arch9wavefront6targetE0EEEvSL_, .Lfunc_end155-_ZN7rocprim17ROCPRIM_400000_NS6detail17trampoline_kernelINS0_14default_configENS1_35radix_sort_onesweep_config_selectorIjN6thrust23THRUST_200600_302600_NS5tupleIffNS6_9null_typeES8_S8_S8_S8_S8_S8_S8_EEEEZNS1_34radix_sort_onesweep_global_offsetsIS3_Lb0ENS6_6detail15normal_iteratorINS6_10device_ptrIjEEEENSD_INSE_IS9_EEEEjNS0_19identity_decomposerEEE10hipError_tT1_T2_PT3_SN_jT4_jjP12ihipStream_tbEUlT_E0_NS1_11comp_targetILNS1_3genE9ELNS1_11target_archE1100ELNS1_3gpuE3ELNS1_3repE0EEENS1_52radix_sort_onesweep_histogram_config_static_selectorELNS0_4arch9wavefront6targetE0EEEvSL_
                                        ; -- End function
	.set _ZN7rocprim17ROCPRIM_400000_NS6detail17trampoline_kernelINS0_14default_configENS1_35radix_sort_onesweep_config_selectorIjN6thrust23THRUST_200600_302600_NS5tupleIffNS6_9null_typeES8_S8_S8_S8_S8_S8_S8_EEEEZNS1_34radix_sort_onesweep_global_offsetsIS3_Lb0ENS6_6detail15normal_iteratorINS6_10device_ptrIjEEEENSD_INSE_IS9_EEEEjNS0_19identity_decomposerEEE10hipError_tT1_T2_PT3_SN_jT4_jjP12ihipStream_tbEUlT_E0_NS1_11comp_targetILNS1_3genE9ELNS1_11target_archE1100ELNS1_3gpuE3ELNS1_3repE0EEENS1_52radix_sort_onesweep_histogram_config_static_selectorELNS0_4arch9wavefront6targetE0EEEvSL_.num_vgpr, 0
	.set _ZN7rocprim17ROCPRIM_400000_NS6detail17trampoline_kernelINS0_14default_configENS1_35radix_sort_onesweep_config_selectorIjN6thrust23THRUST_200600_302600_NS5tupleIffNS6_9null_typeES8_S8_S8_S8_S8_S8_S8_EEEEZNS1_34radix_sort_onesweep_global_offsetsIS3_Lb0ENS6_6detail15normal_iteratorINS6_10device_ptrIjEEEENSD_INSE_IS9_EEEEjNS0_19identity_decomposerEEE10hipError_tT1_T2_PT3_SN_jT4_jjP12ihipStream_tbEUlT_E0_NS1_11comp_targetILNS1_3genE9ELNS1_11target_archE1100ELNS1_3gpuE3ELNS1_3repE0EEENS1_52radix_sort_onesweep_histogram_config_static_selectorELNS0_4arch9wavefront6targetE0EEEvSL_.num_agpr, 0
	.set _ZN7rocprim17ROCPRIM_400000_NS6detail17trampoline_kernelINS0_14default_configENS1_35radix_sort_onesweep_config_selectorIjN6thrust23THRUST_200600_302600_NS5tupleIffNS6_9null_typeES8_S8_S8_S8_S8_S8_S8_EEEEZNS1_34radix_sort_onesweep_global_offsetsIS3_Lb0ENS6_6detail15normal_iteratorINS6_10device_ptrIjEEEENSD_INSE_IS9_EEEEjNS0_19identity_decomposerEEE10hipError_tT1_T2_PT3_SN_jT4_jjP12ihipStream_tbEUlT_E0_NS1_11comp_targetILNS1_3genE9ELNS1_11target_archE1100ELNS1_3gpuE3ELNS1_3repE0EEENS1_52radix_sort_onesweep_histogram_config_static_selectorELNS0_4arch9wavefront6targetE0EEEvSL_.numbered_sgpr, 0
	.set _ZN7rocprim17ROCPRIM_400000_NS6detail17trampoline_kernelINS0_14default_configENS1_35radix_sort_onesweep_config_selectorIjN6thrust23THRUST_200600_302600_NS5tupleIffNS6_9null_typeES8_S8_S8_S8_S8_S8_S8_EEEEZNS1_34radix_sort_onesweep_global_offsetsIS3_Lb0ENS6_6detail15normal_iteratorINS6_10device_ptrIjEEEENSD_INSE_IS9_EEEEjNS0_19identity_decomposerEEE10hipError_tT1_T2_PT3_SN_jT4_jjP12ihipStream_tbEUlT_E0_NS1_11comp_targetILNS1_3genE9ELNS1_11target_archE1100ELNS1_3gpuE3ELNS1_3repE0EEENS1_52radix_sort_onesweep_histogram_config_static_selectorELNS0_4arch9wavefront6targetE0EEEvSL_.num_named_barrier, 0
	.set _ZN7rocprim17ROCPRIM_400000_NS6detail17trampoline_kernelINS0_14default_configENS1_35radix_sort_onesweep_config_selectorIjN6thrust23THRUST_200600_302600_NS5tupleIffNS6_9null_typeES8_S8_S8_S8_S8_S8_S8_EEEEZNS1_34radix_sort_onesweep_global_offsetsIS3_Lb0ENS6_6detail15normal_iteratorINS6_10device_ptrIjEEEENSD_INSE_IS9_EEEEjNS0_19identity_decomposerEEE10hipError_tT1_T2_PT3_SN_jT4_jjP12ihipStream_tbEUlT_E0_NS1_11comp_targetILNS1_3genE9ELNS1_11target_archE1100ELNS1_3gpuE3ELNS1_3repE0EEENS1_52radix_sort_onesweep_histogram_config_static_selectorELNS0_4arch9wavefront6targetE0EEEvSL_.private_seg_size, 0
	.set _ZN7rocprim17ROCPRIM_400000_NS6detail17trampoline_kernelINS0_14default_configENS1_35radix_sort_onesweep_config_selectorIjN6thrust23THRUST_200600_302600_NS5tupleIffNS6_9null_typeES8_S8_S8_S8_S8_S8_S8_EEEEZNS1_34radix_sort_onesweep_global_offsetsIS3_Lb0ENS6_6detail15normal_iteratorINS6_10device_ptrIjEEEENSD_INSE_IS9_EEEEjNS0_19identity_decomposerEEE10hipError_tT1_T2_PT3_SN_jT4_jjP12ihipStream_tbEUlT_E0_NS1_11comp_targetILNS1_3genE9ELNS1_11target_archE1100ELNS1_3gpuE3ELNS1_3repE0EEENS1_52radix_sort_onesweep_histogram_config_static_selectorELNS0_4arch9wavefront6targetE0EEEvSL_.uses_vcc, 0
	.set _ZN7rocprim17ROCPRIM_400000_NS6detail17trampoline_kernelINS0_14default_configENS1_35radix_sort_onesweep_config_selectorIjN6thrust23THRUST_200600_302600_NS5tupleIffNS6_9null_typeES8_S8_S8_S8_S8_S8_S8_EEEEZNS1_34radix_sort_onesweep_global_offsetsIS3_Lb0ENS6_6detail15normal_iteratorINS6_10device_ptrIjEEEENSD_INSE_IS9_EEEEjNS0_19identity_decomposerEEE10hipError_tT1_T2_PT3_SN_jT4_jjP12ihipStream_tbEUlT_E0_NS1_11comp_targetILNS1_3genE9ELNS1_11target_archE1100ELNS1_3gpuE3ELNS1_3repE0EEENS1_52radix_sort_onesweep_histogram_config_static_selectorELNS0_4arch9wavefront6targetE0EEEvSL_.uses_flat_scratch, 0
	.set _ZN7rocprim17ROCPRIM_400000_NS6detail17trampoline_kernelINS0_14default_configENS1_35radix_sort_onesweep_config_selectorIjN6thrust23THRUST_200600_302600_NS5tupleIffNS6_9null_typeES8_S8_S8_S8_S8_S8_S8_EEEEZNS1_34radix_sort_onesweep_global_offsetsIS3_Lb0ENS6_6detail15normal_iteratorINS6_10device_ptrIjEEEENSD_INSE_IS9_EEEEjNS0_19identity_decomposerEEE10hipError_tT1_T2_PT3_SN_jT4_jjP12ihipStream_tbEUlT_E0_NS1_11comp_targetILNS1_3genE9ELNS1_11target_archE1100ELNS1_3gpuE3ELNS1_3repE0EEENS1_52radix_sort_onesweep_histogram_config_static_selectorELNS0_4arch9wavefront6targetE0EEEvSL_.has_dyn_sized_stack, 0
	.set _ZN7rocprim17ROCPRIM_400000_NS6detail17trampoline_kernelINS0_14default_configENS1_35radix_sort_onesweep_config_selectorIjN6thrust23THRUST_200600_302600_NS5tupleIffNS6_9null_typeES8_S8_S8_S8_S8_S8_S8_EEEEZNS1_34radix_sort_onesweep_global_offsetsIS3_Lb0ENS6_6detail15normal_iteratorINS6_10device_ptrIjEEEENSD_INSE_IS9_EEEEjNS0_19identity_decomposerEEE10hipError_tT1_T2_PT3_SN_jT4_jjP12ihipStream_tbEUlT_E0_NS1_11comp_targetILNS1_3genE9ELNS1_11target_archE1100ELNS1_3gpuE3ELNS1_3repE0EEENS1_52radix_sort_onesweep_histogram_config_static_selectorELNS0_4arch9wavefront6targetE0EEEvSL_.has_recursion, 0
	.set _ZN7rocprim17ROCPRIM_400000_NS6detail17trampoline_kernelINS0_14default_configENS1_35radix_sort_onesweep_config_selectorIjN6thrust23THRUST_200600_302600_NS5tupleIffNS6_9null_typeES8_S8_S8_S8_S8_S8_S8_EEEEZNS1_34radix_sort_onesweep_global_offsetsIS3_Lb0ENS6_6detail15normal_iteratorINS6_10device_ptrIjEEEENSD_INSE_IS9_EEEEjNS0_19identity_decomposerEEE10hipError_tT1_T2_PT3_SN_jT4_jjP12ihipStream_tbEUlT_E0_NS1_11comp_targetILNS1_3genE9ELNS1_11target_archE1100ELNS1_3gpuE3ELNS1_3repE0EEENS1_52radix_sort_onesweep_histogram_config_static_selectorELNS0_4arch9wavefront6targetE0EEEvSL_.has_indirect_call, 0
	.section	.AMDGPU.csdata,"",@progbits
; Kernel info:
; codeLenInByte = 0
; TotalNumSgprs: 0
; NumVgprs: 0
; ScratchSize: 0
; MemoryBound: 0
; FloatMode: 240
; IeeeMode: 1
; LDSByteSize: 0 bytes/workgroup (compile time only)
; SGPRBlocks: 0
; VGPRBlocks: 0
; NumSGPRsForWavesPerEU: 1
; NumVGPRsForWavesPerEU: 1
; Occupancy: 16
; WaveLimiterHint : 0
; COMPUTE_PGM_RSRC2:SCRATCH_EN: 0
; COMPUTE_PGM_RSRC2:USER_SGPR: 2
; COMPUTE_PGM_RSRC2:TRAP_HANDLER: 0
; COMPUTE_PGM_RSRC2:TGID_X_EN: 1
; COMPUTE_PGM_RSRC2:TGID_Y_EN: 0
; COMPUTE_PGM_RSRC2:TGID_Z_EN: 0
; COMPUTE_PGM_RSRC2:TIDIG_COMP_CNT: 0
	.section	.text._ZN7rocprim17ROCPRIM_400000_NS6detail17trampoline_kernelINS0_14default_configENS1_35radix_sort_onesweep_config_selectorIjN6thrust23THRUST_200600_302600_NS5tupleIffNS6_9null_typeES8_S8_S8_S8_S8_S8_S8_EEEEZNS1_34radix_sort_onesweep_global_offsetsIS3_Lb0ENS6_6detail15normal_iteratorINS6_10device_ptrIjEEEENSD_INSE_IS9_EEEEjNS0_19identity_decomposerEEE10hipError_tT1_T2_PT3_SN_jT4_jjP12ihipStream_tbEUlT_E0_NS1_11comp_targetILNS1_3genE8ELNS1_11target_archE1030ELNS1_3gpuE2ELNS1_3repE0EEENS1_52radix_sort_onesweep_histogram_config_static_selectorELNS0_4arch9wavefront6targetE0EEEvSL_,"axG",@progbits,_ZN7rocprim17ROCPRIM_400000_NS6detail17trampoline_kernelINS0_14default_configENS1_35radix_sort_onesweep_config_selectorIjN6thrust23THRUST_200600_302600_NS5tupleIffNS6_9null_typeES8_S8_S8_S8_S8_S8_S8_EEEEZNS1_34radix_sort_onesweep_global_offsetsIS3_Lb0ENS6_6detail15normal_iteratorINS6_10device_ptrIjEEEENSD_INSE_IS9_EEEEjNS0_19identity_decomposerEEE10hipError_tT1_T2_PT3_SN_jT4_jjP12ihipStream_tbEUlT_E0_NS1_11comp_targetILNS1_3genE8ELNS1_11target_archE1030ELNS1_3gpuE2ELNS1_3repE0EEENS1_52radix_sort_onesweep_histogram_config_static_selectorELNS0_4arch9wavefront6targetE0EEEvSL_,comdat
	.protected	_ZN7rocprim17ROCPRIM_400000_NS6detail17trampoline_kernelINS0_14default_configENS1_35radix_sort_onesweep_config_selectorIjN6thrust23THRUST_200600_302600_NS5tupleIffNS6_9null_typeES8_S8_S8_S8_S8_S8_S8_EEEEZNS1_34radix_sort_onesweep_global_offsetsIS3_Lb0ENS6_6detail15normal_iteratorINS6_10device_ptrIjEEEENSD_INSE_IS9_EEEEjNS0_19identity_decomposerEEE10hipError_tT1_T2_PT3_SN_jT4_jjP12ihipStream_tbEUlT_E0_NS1_11comp_targetILNS1_3genE8ELNS1_11target_archE1030ELNS1_3gpuE2ELNS1_3repE0EEENS1_52radix_sort_onesweep_histogram_config_static_selectorELNS0_4arch9wavefront6targetE0EEEvSL_ ; -- Begin function _ZN7rocprim17ROCPRIM_400000_NS6detail17trampoline_kernelINS0_14default_configENS1_35radix_sort_onesweep_config_selectorIjN6thrust23THRUST_200600_302600_NS5tupleIffNS6_9null_typeES8_S8_S8_S8_S8_S8_S8_EEEEZNS1_34radix_sort_onesweep_global_offsetsIS3_Lb0ENS6_6detail15normal_iteratorINS6_10device_ptrIjEEEENSD_INSE_IS9_EEEEjNS0_19identity_decomposerEEE10hipError_tT1_T2_PT3_SN_jT4_jjP12ihipStream_tbEUlT_E0_NS1_11comp_targetILNS1_3genE8ELNS1_11target_archE1030ELNS1_3gpuE2ELNS1_3repE0EEENS1_52radix_sort_onesweep_histogram_config_static_selectorELNS0_4arch9wavefront6targetE0EEEvSL_
	.globl	_ZN7rocprim17ROCPRIM_400000_NS6detail17trampoline_kernelINS0_14default_configENS1_35radix_sort_onesweep_config_selectorIjN6thrust23THRUST_200600_302600_NS5tupleIffNS6_9null_typeES8_S8_S8_S8_S8_S8_S8_EEEEZNS1_34radix_sort_onesweep_global_offsetsIS3_Lb0ENS6_6detail15normal_iteratorINS6_10device_ptrIjEEEENSD_INSE_IS9_EEEEjNS0_19identity_decomposerEEE10hipError_tT1_T2_PT3_SN_jT4_jjP12ihipStream_tbEUlT_E0_NS1_11comp_targetILNS1_3genE8ELNS1_11target_archE1030ELNS1_3gpuE2ELNS1_3repE0EEENS1_52radix_sort_onesweep_histogram_config_static_selectorELNS0_4arch9wavefront6targetE0EEEvSL_
	.p2align	8
	.type	_ZN7rocprim17ROCPRIM_400000_NS6detail17trampoline_kernelINS0_14default_configENS1_35radix_sort_onesweep_config_selectorIjN6thrust23THRUST_200600_302600_NS5tupleIffNS6_9null_typeES8_S8_S8_S8_S8_S8_S8_EEEEZNS1_34radix_sort_onesweep_global_offsetsIS3_Lb0ENS6_6detail15normal_iteratorINS6_10device_ptrIjEEEENSD_INSE_IS9_EEEEjNS0_19identity_decomposerEEE10hipError_tT1_T2_PT3_SN_jT4_jjP12ihipStream_tbEUlT_E0_NS1_11comp_targetILNS1_3genE8ELNS1_11target_archE1030ELNS1_3gpuE2ELNS1_3repE0EEENS1_52radix_sort_onesweep_histogram_config_static_selectorELNS0_4arch9wavefront6targetE0EEEvSL_,@function
_ZN7rocprim17ROCPRIM_400000_NS6detail17trampoline_kernelINS0_14default_configENS1_35radix_sort_onesweep_config_selectorIjN6thrust23THRUST_200600_302600_NS5tupleIffNS6_9null_typeES8_S8_S8_S8_S8_S8_S8_EEEEZNS1_34radix_sort_onesweep_global_offsetsIS3_Lb0ENS6_6detail15normal_iteratorINS6_10device_ptrIjEEEENSD_INSE_IS9_EEEEjNS0_19identity_decomposerEEE10hipError_tT1_T2_PT3_SN_jT4_jjP12ihipStream_tbEUlT_E0_NS1_11comp_targetILNS1_3genE8ELNS1_11target_archE1030ELNS1_3gpuE2ELNS1_3repE0EEENS1_52radix_sort_onesweep_histogram_config_static_selectorELNS0_4arch9wavefront6targetE0EEEvSL_: ; @_ZN7rocprim17ROCPRIM_400000_NS6detail17trampoline_kernelINS0_14default_configENS1_35radix_sort_onesweep_config_selectorIjN6thrust23THRUST_200600_302600_NS5tupleIffNS6_9null_typeES8_S8_S8_S8_S8_S8_S8_EEEEZNS1_34radix_sort_onesweep_global_offsetsIS3_Lb0ENS6_6detail15normal_iteratorINS6_10device_ptrIjEEEENSD_INSE_IS9_EEEEjNS0_19identity_decomposerEEE10hipError_tT1_T2_PT3_SN_jT4_jjP12ihipStream_tbEUlT_E0_NS1_11comp_targetILNS1_3genE8ELNS1_11target_archE1030ELNS1_3gpuE2ELNS1_3repE0EEENS1_52radix_sort_onesweep_histogram_config_static_selectorELNS0_4arch9wavefront6targetE0EEEvSL_
; %bb.0:
	.section	.rodata,"a",@progbits
	.p2align	6, 0x0
	.amdhsa_kernel _ZN7rocprim17ROCPRIM_400000_NS6detail17trampoline_kernelINS0_14default_configENS1_35radix_sort_onesweep_config_selectorIjN6thrust23THRUST_200600_302600_NS5tupleIffNS6_9null_typeES8_S8_S8_S8_S8_S8_S8_EEEEZNS1_34radix_sort_onesweep_global_offsetsIS3_Lb0ENS6_6detail15normal_iteratorINS6_10device_ptrIjEEEENSD_INSE_IS9_EEEEjNS0_19identity_decomposerEEE10hipError_tT1_T2_PT3_SN_jT4_jjP12ihipStream_tbEUlT_E0_NS1_11comp_targetILNS1_3genE8ELNS1_11target_archE1030ELNS1_3gpuE2ELNS1_3repE0EEENS1_52radix_sort_onesweep_histogram_config_static_selectorELNS0_4arch9wavefront6targetE0EEEvSL_
		.amdhsa_group_segment_fixed_size 0
		.amdhsa_private_segment_fixed_size 0
		.amdhsa_kernarg_size 8
		.amdhsa_user_sgpr_count 2
		.amdhsa_user_sgpr_dispatch_ptr 0
		.amdhsa_user_sgpr_queue_ptr 0
		.amdhsa_user_sgpr_kernarg_segment_ptr 1
		.amdhsa_user_sgpr_dispatch_id 0
		.amdhsa_user_sgpr_private_segment_size 0
		.amdhsa_wavefront_size32 1
		.amdhsa_uses_dynamic_stack 0
		.amdhsa_enable_private_segment 0
		.amdhsa_system_sgpr_workgroup_id_x 1
		.amdhsa_system_sgpr_workgroup_id_y 0
		.amdhsa_system_sgpr_workgroup_id_z 0
		.amdhsa_system_sgpr_workgroup_info 0
		.amdhsa_system_vgpr_workitem_id 0
		.amdhsa_next_free_vgpr 1
		.amdhsa_next_free_sgpr 1
		.amdhsa_reserve_vcc 0
		.amdhsa_float_round_mode_32 0
		.amdhsa_float_round_mode_16_64 0
		.amdhsa_float_denorm_mode_32 3
		.amdhsa_float_denorm_mode_16_64 3
		.amdhsa_fp16_overflow 0
		.amdhsa_workgroup_processor_mode 1
		.amdhsa_memory_ordered 1
		.amdhsa_forward_progress 1
		.amdhsa_inst_pref_size 0
		.amdhsa_round_robin_scheduling 0
		.amdhsa_exception_fp_ieee_invalid_op 0
		.amdhsa_exception_fp_denorm_src 0
		.amdhsa_exception_fp_ieee_div_zero 0
		.amdhsa_exception_fp_ieee_overflow 0
		.amdhsa_exception_fp_ieee_underflow 0
		.amdhsa_exception_fp_ieee_inexact 0
		.amdhsa_exception_int_div_zero 0
	.end_amdhsa_kernel
	.section	.text._ZN7rocprim17ROCPRIM_400000_NS6detail17trampoline_kernelINS0_14default_configENS1_35radix_sort_onesweep_config_selectorIjN6thrust23THRUST_200600_302600_NS5tupleIffNS6_9null_typeES8_S8_S8_S8_S8_S8_S8_EEEEZNS1_34radix_sort_onesweep_global_offsetsIS3_Lb0ENS6_6detail15normal_iteratorINS6_10device_ptrIjEEEENSD_INSE_IS9_EEEEjNS0_19identity_decomposerEEE10hipError_tT1_T2_PT3_SN_jT4_jjP12ihipStream_tbEUlT_E0_NS1_11comp_targetILNS1_3genE8ELNS1_11target_archE1030ELNS1_3gpuE2ELNS1_3repE0EEENS1_52radix_sort_onesweep_histogram_config_static_selectorELNS0_4arch9wavefront6targetE0EEEvSL_,"axG",@progbits,_ZN7rocprim17ROCPRIM_400000_NS6detail17trampoline_kernelINS0_14default_configENS1_35radix_sort_onesweep_config_selectorIjN6thrust23THRUST_200600_302600_NS5tupleIffNS6_9null_typeES8_S8_S8_S8_S8_S8_S8_EEEEZNS1_34radix_sort_onesweep_global_offsetsIS3_Lb0ENS6_6detail15normal_iteratorINS6_10device_ptrIjEEEENSD_INSE_IS9_EEEEjNS0_19identity_decomposerEEE10hipError_tT1_T2_PT3_SN_jT4_jjP12ihipStream_tbEUlT_E0_NS1_11comp_targetILNS1_3genE8ELNS1_11target_archE1030ELNS1_3gpuE2ELNS1_3repE0EEENS1_52radix_sort_onesweep_histogram_config_static_selectorELNS0_4arch9wavefront6targetE0EEEvSL_,comdat
.Lfunc_end156:
	.size	_ZN7rocprim17ROCPRIM_400000_NS6detail17trampoline_kernelINS0_14default_configENS1_35radix_sort_onesweep_config_selectorIjN6thrust23THRUST_200600_302600_NS5tupleIffNS6_9null_typeES8_S8_S8_S8_S8_S8_S8_EEEEZNS1_34radix_sort_onesweep_global_offsetsIS3_Lb0ENS6_6detail15normal_iteratorINS6_10device_ptrIjEEEENSD_INSE_IS9_EEEEjNS0_19identity_decomposerEEE10hipError_tT1_T2_PT3_SN_jT4_jjP12ihipStream_tbEUlT_E0_NS1_11comp_targetILNS1_3genE8ELNS1_11target_archE1030ELNS1_3gpuE2ELNS1_3repE0EEENS1_52radix_sort_onesweep_histogram_config_static_selectorELNS0_4arch9wavefront6targetE0EEEvSL_, .Lfunc_end156-_ZN7rocprim17ROCPRIM_400000_NS6detail17trampoline_kernelINS0_14default_configENS1_35radix_sort_onesweep_config_selectorIjN6thrust23THRUST_200600_302600_NS5tupleIffNS6_9null_typeES8_S8_S8_S8_S8_S8_S8_EEEEZNS1_34radix_sort_onesweep_global_offsetsIS3_Lb0ENS6_6detail15normal_iteratorINS6_10device_ptrIjEEEENSD_INSE_IS9_EEEEjNS0_19identity_decomposerEEE10hipError_tT1_T2_PT3_SN_jT4_jjP12ihipStream_tbEUlT_E0_NS1_11comp_targetILNS1_3genE8ELNS1_11target_archE1030ELNS1_3gpuE2ELNS1_3repE0EEENS1_52radix_sort_onesweep_histogram_config_static_selectorELNS0_4arch9wavefront6targetE0EEEvSL_
                                        ; -- End function
	.set _ZN7rocprim17ROCPRIM_400000_NS6detail17trampoline_kernelINS0_14default_configENS1_35radix_sort_onesweep_config_selectorIjN6thrust23THRUST_200600_302600_NS5tupleIffNS6_9null_typeES8_S8_S8_S8_S8_S8_S8_EEEEZNS1_34radix_sort_onesweep_global_offsetsIS3_Lb0ENS6_6detail15normal_iteratorINS6_10device_ptrIjEEEENSD_INSE_IS9_EEEEjNS0_19identity_decomposerEEE10hipError_tT1_T2_PT3_SN_jT4_jjP12ihipStream_tbEUlT_E0_NS1_11comp_targetILNS1_3genE8ELNS1_11target_archE1030ELNS1_3gpuE2ELNS1_3repE0EEENS1_52radix_sort_onesweep_histogram_config_static_selectorELNS0_4arch9wavefront6targetE0EEEvSL_.num_vgpr, 0
	.set _ZN7rocprim17ROCPRIM_400000_NS6detail17trampoline_kernelINS0_14default_configENS1_35radix_sort_onesweep_config_selectorIjN6thrust23THRUST_200600_302600_NS5tupleIffNS6_9null_typeES8_S8_S8_S8_S8_S8_S8_EEEEZNS1_34radix_sort_onesweep_global_offsetsIS3_Lb0ENS6_6detail15normal_iteratorINS6_10device_ptrIjEEEENSD_INSE_IS9_EEEEjNS0_19identity_decomposerEEE10hipError_tT1_T2_PT3_SN_jT4_jjP12ihipStream_tbEUlT_E0_NS1_11comp_targetILNS1_3genE8ELNS1_11target_archE1030ELNS1_3gpuE2ELNS1_3repE0EEENS1_52radix_sort_onesweep_histogram_config_static_selectorELNS0_4arch9wavefront6targetE0EEEvSL_.num_agpr, 0
	.set _ZN7rocprim17ROCPRIM_400000_NS6detail17trampoline_kernelINS0_14default_configENS1_35radix_sort_onesweep_config_selectorIjN6thrust23THRUST_200600_302600_NS5tupleIffNS6_9null_typeES8_S8_S8_S8_S8_S8_S8_EEEEZNS1_34radix_sort_onesweep_global_offsetsIS3_Lb0ENS6_6detail15normal_iteratorINS6_10device_ptrIjEEEENSD_INSE_IS9_EEEEjNS0_19identity_decomposerEEE10hipError_tT1_T2_PT3_SN_jT4_jjP12ihipStream_tbEUlT_E0_NS1_11comp_targetILNS1_3genE8ELNS1_11target_archE1030ELNS1_3gpuE2ELNS1_3repE0EEENS1_52radix_sort_onesweep_histogram_config_static_selectorELNS0_4arch9wavefront6targetE0EEEvSL_.numbered_sgpr, 0
	.set _ZN7rocprim17ROCPRIM_400000_NS6detail17trampoline_kernelINS0_14default_configENS1_35radix_sort_onesweep_config_selectorIjN6thrust23THRUST_200600_302600_NS5tupleIffNS6_9null_typeES8_S8_S8_S8_S8_S8_S8_EEEEZNS1_34radix_sort_onesweep_global_offsetsIS3_Lb0ENS6_6detail15normal_iteratorINS6_10device_ptrIjEEEENSD_INSE_IS9_EEEEjNS0_19identity_decomposerEEE10hipError_tT1_T2_PT3_SN_jT4_jjP12ihipStream_tbEUlT_E0_NS1_11comp_targetILNS1_3genE8ELNS1_11target_archE1030ELNS1_3gpuE2ELNS1_3repE0EEENS1_52radix_sort_onesweep_histogram_config_static_selectorELNS0_4arch9wavefront6targetE0EEEvSL_.num_named_barrier, 0
	.set _ZN7rocprim17ROCPRIM_400000_NS6detail17trampoline_kernelINS0_14default_configENS1_35radix_sort_onesweep_config_selectorIjN6thrust23THRUST_200600_302600_NS5tupleIffNS6_9null_typeES8_S8_S8_S8_S8_S8_S8_EEEEZNS1_34radix_sort_onesweep_global_offsetsIS3_Lb0ENS6_6detail15normal_iteratorINS6_10device_ptrIjEEEENSD_INSE_IS9_EEEEjNS0_19identity_decomposerEEE10hipError_tT1_T2_PT3_SN_jT4_jjP12ihipStream_tbEUlT_E0_NS1_11comp_targetILNS1_3genE8ELNS1_11target_archE1030ELNS1_3gpuE2ELNS1_3repE0EEENS1_52radix_sort_onesweep_histogram_config_static_selectorELNS0_4arch9wavefront6targetE0EEEvSL_.private_seg_size, 0
	.set _ZN7rocprim17ROCPRIM_400000_NS6detail17trampoline_kernelINS0_14default_configENS1_35radix_sort_onesweep_config_selectorIjN6thrust23THRUST_200600_302600_NS5tupleIffNS6_9null_typeES8_S8_S8_S8_S8_S8_S8_EEEEZNS1_34radix_sort_onesweep_global_offsetsIS3_Lb0ENS6_6detail15normal_iteratorINS6_10device_ptrIjEEEENSD_INSE_IS9_EEEEjNS0_19identity_decomposerEEE10hipError_tT1_T2_PT3_SN_jT4_jjP12ihipStream_tbEUlT_E0_NS1_11comp_targetILNS1_3genE8ELNS1_11target_archE1030ELNS1_3gpuE2ELNS1_3repE0EEENS1_52radix_sort_onesweep_histogram_config_static_selectorELNS0_4arch9wavefront6targetE0EEEvSL_.uses_vcc, 0
	.set _ZN7rocprim17ROCPRIM_400000_NS6detail17trampoline_kernelINS0_14default_configENS1_35radix_sort_onesweep_config_selectorIjN6thrust23THRUST_200600_302600_NS5tupleIffNS6_9null_typeES8_S8_S8_S8_S8_S8_S8_EEEEZNS1_34radix_sort_onesweep_global_offsetsIS3_Lb0ENS6_6detail15normal_iteratorINS6_10device_ptrIjEEEENSD_INSE_IS9_EEEEjNS0_19identity_decomposerEEE10hipError_tT1_T2_PT3_SN_jT4_jjP12ihipStream_tbEUlT_E0_NS1_11comp_targetILNS1_3genE8ELNS1_11target_archE1030ELNS1_3gpuE2ELNS1_3repE0EEENS1_52radix_sort_onesweep_histogram_config_static_selectorELNS0_4arch9wavefront6targetE0EEEvSL_.uses_flat_scratch, 0
	.set _ZN7rocprim17ROCPRIM_400000_NS6detail17trampoline_kernelINS0_14default_configENS1_35radix_sort_onesweep_config_selectorIjN6thrust23THRUST_200600_302600_NS5tupleIffNS6_9null_typeES8_S8_S8_S8_S8_S8_S8_EEEEZNS1_34radix_sort_onesweep_global_offsetsIS3_Lb0ENS6_6detail15normal_iteratorINS6_10device_ptrIjEEEENSD_INSE_IS9_EEEEjNS0_19identity_decomposerEEE10hipError_tT1_T2_PT3_SN_jT4_jjP12ihipStream_tbEUlT_E0_NS1_11comp_targetILNS1_3genE8ELNS1_11target_archE1030ELNS1_3gpuE2ELNS1_3repE0EEENS1_52radix_sort_onesweep_histogram_config_static_selectorELNS0_4arch9wavefront6targetE0EEEvSL_.has_dyn_sized_stack, 0
	.set _ZN7rocprim17ROCPRIM_400000_NS6detail17trampoline_kernelINS0_14default_configENS1_35radix_sort_onesweep_config_selectorIjN6thrust23THRUST_200600_302600_NS5tupleIffNS6_9null_typeES8_S8_S8_S8_S8_S8_S8_EEEEZNS1_34radix_sort_onesweep_global_offsetsIS3_Lb0ENS6_6detail15normal_iteratorINS6_10device_ptrIjEEEENSD_INSE_IS9_EEEEjNS0_19identity_decomposerEEE10hipError_tT1_T2_PT3_SN_jT4_jjP12ihipStream_tbEUlT_E0_NS1_11comp_targetILNS1_3genE8ELNS1_11target_archE1030ELNS1_3gpuE2ELNS1_3repE0EEENS1_52radix_sort_onesweep_histogram_config_static_selectorELNS0_4arch9wavefront6targetE0EEEvSL_.has_recursion, 0
	.set _ZN7rocprim17ROCPRIM_400000_NS6detail17trampoline_kernelINS0_14default_configENS1_35radix_sort_onesweep_config_selectorIjN6thrust23THRUST_200600_302600_NS5tupleIffNS6_9null_typeES8_S8_S8_S8_S8_S8_S8_EEEEZNS1_34radix_sort_onesweep_global_offsetsIS3_Lb0ENS6_6detail15normal_iteratorINS6_10device_ptrIjEEEENSD_INSE_IS9_EEEEjNS0_19identity_decomposerEEE10hipError_tT1_T2_PT3_SN_jT4_jjP12ihipStream_tbEUlT_E0_NS1_11comp_targetILNS1_3genE8ELNS1_11target_archE1030ELNS1_3gpuE2ELNS1_3repE0EEENS1_52radix_sort_onesweep_histogram_config_static_selectorELNS0_4arch9wavefront6targetE0EEEvSL_.has_indirect_call, 0
	.section	.AMDGPU.csdata,"",@progbits
; Kernel info:
; codeLenInByte = 0
; TotalNumSgprs: 0
; NumVgprs: 0
; ScratchSize: 0
; MemoryBound: 0
; FloatMode: 240
; IeeeMode: 1
; LDSByteSize: 0 bytes/workgroup (compile time only)
; SGPRBlocks: 0
; VGPRBlocks: 0
; NumSGPRsForWavesPerEU: 1
; NumVGPRsForWavesPerEU: 1
; Occupancy: 16
; WaveLimiterHint : 0
; COMPUTE_PGM_RSRC2:SCRATCH_EN: 0
; COMPUTE_PGM_RSRC2:USER_SGPR: 2
; COMPUTE_PGM_RSRC2:TRAP_HANDLER: 0
; COMPUTE_PGM_RSRC2:TGID_X_EN: 1
; COMPUTE_PGM_RSRC2:TGID_Y_EN: 0
; COMPUTE_PGM_RSRC2:TGID_Z_EN: 0
; COMPUTE_PGM_RSRC2:TIDIG_COMP_CNT: 0
	.section	.text._ZN7rocprim17ROCPRIM_400000_NS6detail17trampoline_kernelINS0_14default_configENS1_25transform_config_selectorIjLb0EEEZNS1_14transform_implILb0ES3_S5_N6thrust23THRUST_200600_302600_NS6detail15normal_iteratorINS8_10device_ptrIjEEEEPjNS0_8identityIjEEEE10hipError_tT2_T3_mT4_P12ihipStream_tbEUlT_E_NS1_11comp_targetILNS1_3genE0ELNS1_11target_archE4294967295ELNS1_3gpuE0ELNS1_3repE0EEENS1_30default_config_static_selectorELNS0_4arch9wavefront6targetE0EEEvT1_,"axG",@progbits,_ZN7rocprim17ROCPRIM_400000_NS6detail17trampoline_kernelINS0_14default_configENS1_25transform_config_selectorIjLb0EEEZNS1_14transform_implILb0ES3_S5_N6thrust23THRUST_200600_302600_NS6detail15normal_iteratorINS8_10device_ptrIjEEEEPjNS0_8identityIjEEEE10hipError_tT2_T3_mT4_P12ihipStream_tbEUlT_E_NS1_11comp_targetILNS1_3genE0ELNS1_11target_archE4294967295ELNS1_3gpuE0ELNS1_3repE0EEENS1_30default_config_static_selectorELNS0_4arch9wavefront6targetE0EEEvT1_,comdat
	.protected	_ZN7rocprim17ROCPRIM_400000_NS6detail17trampoline_kernelINS0_14default_configENS1_25transform_config_selectorIjLb0EEEZNS1_14transform_implILb0ES3_S5_N6thrust23THRUST_200600_302600_NS6detail15normal_iteratorINS8_10device_ptrIjEEEEPjNS0_8identityIjEEEE10hipError_tT2_T3_mT4_P12ihipStream_tbEUlT_E_NS1_11comp_targetILNS1_3genE0ELNS1_11target_archE4294967295ELNS1_3gpuE0ELNS1_3repE0EEENS1_30default_config_static_selectorELNS0_4arch9wavefront6targetE0EEEvT1_ ; -- Begin function _ZN7rocprim17ROCPRIM_400000_NS6detail17trampoline_kernelINS0_14default_configENS1_25transform_config_selectorIjLb0EEEZNS1_14transform_implILb0ES3_S5_N6thrust23THRUST_200600_302600_NS6detail15normal_iteratorINS8_10device_ptrIjEEEEPjNS0_8identityIjEEEE10hipError_tT2_T3_mT4_P12ihipStream_tbEUlT_E_NS1_11comp_targetILNS1_3genE0ELNS1_11target_archE4294967295ELNS1_3gpuE0ELNS1_3repE0EEENS1_30default_config_static_selectorELNS0_4arch9wavefront6targetE0EEEvT1_
	.globl	_ZN7rocprim17ROCPRIM_400000_NS6detail17trampoline_kernelINS0_14default_configENS1_25transform_config_selectorIjLb0EEEZNS1_14transform_implILb0ES3_S5_N6thrust23THRUST_200600_302600_NS6detail15normal_iteratorINS8_10device_ptrIjEEEEPjNS0_8identityIjEEEE10hipError_tT2_T3_mT4_P12ihipStream_tbEUlT_E_NS1_11comp_targetILNS1_3genE0ELNS1_11target_archE4294967295ELNS1_3gpuE0ELNS1_3repE0EEENS1_30default_config_static_selectorELNS0_4arch9wavefront6targetE0EEEvT1_
	.p2align	8
	.type	_ZN7rocprim17ROCPRIM_400000_NS6detail17trampoline_kernelINS0_14default_configENS1_25transform_config_selectorIjLb0EEEZNS1_14transform_implILb0ES3_S5_N6thrust23THRUST_200600_302600_NS6detail15normal_iteratorINS8_10device_ptrIjEEEEPjNS0_8identityIjEEEE10hipError_tT2_T3_mT4_P12ihipStream_tbEUlT_E_NS1_11comp_targetILNS1_3genE0ELNS1_11target_archE4294967295ELNS1_3gpuE0ELNS1_3repE0EEENS1_30default_config_static_selectorELNS0_4arch9wavefront6targetE0EEEvT1_,@function
_ZN7rocprim17ROCPRIM_400000_NS6detail17trampoline_kernelINS0_14default_configENS1_25transform_config_selectorIjLb0EEEZNS1_14transform_implILb0ES3_S5_N6thrust23THRUST_200600_302600_NS6detail15normal_iteratorINS8_10device_ptrIjEEEEPjNS0_8identityIjEEEE10hipError_tT2_T3_mT4_P12ihipStream_tbEUlT_E_NS1_11comp_targetILNS1_3genE0ELNS1_11target_archE4294967295ELNS1_3gpuE0ELNS1_3repE0EEENS1_30default_config_static_selectorELNS0_4arch9wavefront6targetE0EEEvT1_: ; @_ZN7rocprim17ROCPRIM_400000_NS6detail17trampoline_kernelINS0_14default_configENS1_25transform_config_selectorIjLb0EEEZNS1_14transform_implILb0ES3_S5_N6thrust23THRUST_200600_302600_NS6detail15normal_iteratorINS8_10device_ptrIjEEEEPjNS0_8identityIjEEEE10hipError_tT2_T3_mT4_P12ihipStream_tbEUlT_E_NS1_11comp_targetILNS1_3genE0ELNS1_11target_archE4294967295ELNS1_3gpuE0ELNS1_3repE0EEENS1_30default_config_static_selectorELNS0_4arch9wavefront6targetE0EEEvT1_
; %bb.0:
	.section	.rodata,"a",@progbits
	.p2align	6, 0x0
	.amdhsa_kernel _ZN7rocprim17ROCPRIM_400000_NS6detail17trampoline_kernelINS0_14default_configENS1_25transform_config_selectorIjLb0EEEZNS1_14transform_implILb0ES3_S5_N6thrust23THRUST_200600_302600_NS6detail15normal_iteratorINS8_10device_ptrIjEEEEPjNS0_8identityIjEEEE10hipError_tT2_T3_mT4_P12ihipStream_tbEUlT_E_NS1_11comp_targetILNS1_3genE0ELNS1_11target_archE4294967295ELNS1_3gpuE0ELNS1_3repE0EEENS1_30default_config_static_selectorELNS0_4arch9wavefront6targetE0EEEvT1_
		.amdhsa_group_segment_fixed_size 0
		.amdhsa_private_segment_fixed_size 0
		.amdhsa_kernarg_size 40
		.amdhsa_user_sgpr_count 2
		.amdhsa_user_sgpr_dispatch_ptr 0
		.amdhsa_user_sgpr_queue_ptr 0
		.amdhsa_user_sgpr_kernarg_segment_ptr 1
		.amdhsa_user_sgpr_dispatch_id 0
		.amdhsa_user_sgpr_private_segment_size 0
		.amdhsa_wavefront_size32 1
		.amdhsa_uses_dynamic_stack 0
		.amdhsa_enable_private_segment 0
		.amdhsa_system_sgpr_workgroup_id_x 1
		.amdhsa_system_sgpr_workgroup_id_y 0
		.amdhsa_system_sgpr_workgroup_id_z 0
		.amdhsa_system_sgpr_workgroup_info 0
		.amdhsa_system_vgpr_workitem_id 0
		.amdhsa_next_free_vgpr 1
		.amdhsa_next_free_sgpr 1
		.amdhsa_reserve_vcc 0
		.amdhsa_float_round_mode_32 0
		.amdhsa_float_round_mode_16_64 0
		.amdhsa_float_denorm_mode_32 3
		.amdhsa_float_denorm_mode_16_64 3
		.amdhsa_fp16_overflow 0
		.amdhsa_workgroup_processor_mode 1
		.amdhsa_memory_ordered 1
		.amdhsa_forward_progress 1
		.amdhsa_inst_pref_size 0
		.amdhsa_round_robin_scheduling 0
		.amdhsa_exception_fp_ieee_invalid_op 0
		.amdhsa_exception_fp_denorm_src 0
		.amdhsa_exception_fp_ieee_div_zero 0
		.amdhsa_exception_fp_ieee_overflow 0
		.amdhsa_exception_fp_ieee_underflow 0
		.amdhsa_exception_fp_ieee_inexact 0
		.amdhsa_exception_int_div_zero 0
	.end_amdhsa_kernel
	.section	.text._ZN7rocprim17ROCPRIM_400000_NS6detail17trampoline_kernelINS0_14default_configENS1_25transform_config_selectorIjLb0EEEZNS1_14transform_implILb0ES3_S5_N6thrust23THRUST_200600_302600_NS6detail15normal_iteratorINS8_10device_ptrIjEEEEPjNS0_8identityIjEEEE10hipError_tT2_T3_mT4_P12ihipStream_tbEUlT_E_NS1_11comp_targetILNS1_3genE0ELNS1_11target_archE4294967295ELNS1_3gpuE0ELNS1_3repE0EEENS1_30default_config_static_selectorELNS0_4arch9wavefront6targetE0EEEvT1_,"axG",@progbits,_ZN7rocprim17ROCPRIM_400000_NS6detail17trampoline_kernelINS0_14default_configENS1_25transform_config_selectorIjLb0EEEZNS1_14transform_implILb0ES3_S5_N6thrust23THRUST_200600_302600_NS6detail15normal_iteratorINS8_10device_ptrIjEEEEPjNS0_8identityIjEEEE10hipError_tT2_T3_mT4_P12ihipStream_tbEUlT_E_NS1_11comp_targetILNS1_3genE0ELNS1_11target_archE4294967295ELNS1_3gpuE0ELNS1_3repE0EEENS1_30default_config_static_selectorELNS0_4arch9wavefront6targetE0EEEvT1_,comdat
.Lfunc_end157:
	.size	_ZN7rocprim17ROCPRIM_400000_NS6detail17trampoline_kernelINS0_14default_configENS1_25transform_config_selectorIjLb0EEEZNS1_14transform_implILb0ES3_S5_N6thrust23THRUST_200600_302600_NS6detail15normal_iteratorINS8_10device_ptrIjEEEEPjNS0_8identityIjEEEE10hipError_tT2_T3_mT4_P12ihipStream_tbEUlT_E_NS1_11comp_targetILNS1_3genE0ELNS1_11target_archE4294967295ELNS1_3gpuE0ELNS1_3repE0EEENS1_30default_config_static_selectorELNS0_4arch9wavefront6targetE0EEEvT1_, .Lfunc_end157-_ZN7rocprim17ROCPRIM_400000_NS6detail17trampoline_kernelINS0_14default_configENS1_25transform_config_selectorIjLb0EEEZNS1_14transform_implILb0ES3_S5_N6thrust23THRUST_200600_302600_NS6detail15normal_iteratorINS8_10device_ptrIjEEEEPjNS0_8identityIjEEEE10hipError_tT2_T3_mT4_P12ihipStream_tbEUlT_E_NS1_11comp_targetILNS1_3genE0ELNS1_11target_archE4294967295ELNS1_3gpuE0ELNS1_3repE0EEENS1_30default_config_static_selectorELNS0_4arch9wavefront6targetE0EEEvT1_
                                        ; -- End function
	.set _ZN7rocprim17ROCPRIM_400000_NS6detail17trampoline_kernelINS0_14default_configENS1_25transform_config_selectorIjLb0EEEZNS1_14transform_implILb0ES3_S5_N6thrust23THRUST_200600_302600_NS6detail15normal_iteratorINS8_10device_ptrIjEEEEPjNS0_8identityIjEEEE10hipError_tT2_T3_mT4_P12ihipStream_tbEUlT_E_NS1_11comp_targetILNS1_3genE0ELNS1_11target_archE4294967295ELNS1_3gpuE0ELNS1_3repE0EEENS1_30default_config_static_selectorELNS0_4arch9wavefront6targetE0EEEvT1_.num_vgpr, 0
	.set _ZN7rocprim17ROCPRIM_400000_NS6detail17trampoline_kernelINS0_14default_configENS1_25transform_config_selectorIjLb0EEEZNS1_14transform_implILb0ES3_S5_N6thrust23THRUST_200600_302600_NS6detail15normal_iteratorINS8_10device_ptrIjEEEEPjNS0_8identityIjEEEE10hipError_tT2_T3_mT4_P12ihipStream_tbEUlT_E_NS1_11comp_targetILNS1_3genE0ELNS1_11target_archE4294967295ELNS1_3gpuE0ELNS1_3repE0EEENS1_30default_config_static_selectorELNS0_4arch9wavefront6targetE0EEEvT1_.num_agpr, 0
	.set _ZN7rocprim17ROCPRIM_400000_NS6detail17trampoline_kernelINS0_14default_configENS1_25transform_config_selectorIjLb0EEEZNS1_14transform_implILb0ES3_S5_N6thrust23THRUST_200600_302600_NS6detail15normal_iteratorINS8_10device_ptrIjEEEEPjNS0_8identityIjEEEE10hipError_tT2_T3_mT4_P12ihipStream_tbEUlT_E_NS1_11comp_targetILNS1_3genE0ELNS1_11target_archE4294967295ELNS1_3gpuE0ELNS1_3repE0EEENS1_30default_config_static_selectorELNS0_4arch9wavefront6targetE0EEEvT1_.numbered_sgpr, 0
	.set _ZN7rocprim17ROCPRIM_400000_NS6detail17trampoline_kernelINS0_14default_configENS1_25transform_config_selectorIjLb0EEEZNS1_14transform_implILb0ES3_S5_N6thrust23THRUST_200600_302600_NS6detail15normal_iteratorINS8_10device_ptrIjEEEEPjNS0_8identityIjEEEE10hipError_tT2_T3_mT4_P12ihipStream_tbEUlT_E_NS1_11comp_targetILNS1_3genE0ELNS1_11target_archE4294967295ELNS1_3gpuE0ELNS1_3repE0EEENS1_30default_config_static_selectorELNS0_4arch9wavefront6targetE0EEEvT1_.num_named_barrier, 0
	.set _ZN7rocprim17ROCPRIM_400000_NS6detail17trampoline_kernelINS0_14default_configENS1_25transform_config_selectorIjLb0EEEZNS1_14transform_implILb0ES3_S5_N6thrust23THRUST_200600_302600_NS6detail15normal_iteratorINS8_10device_ptrIjEEEEPjNS0_8identityIjEEEE10hipError_tT2_T3_mT4_P12ihipStream_tbEUlT_E_NS1_11comp_targetILNS1_3genE0ELNS1_11target_archE4294967295ELNS1_3gpuE0ELNS1_3repE0EEENS1_30default_config_static_selectorELNS0_4arch9wavefront6targetE0EEEvT1_.private_seg_size, 0
	.set _ZN7rocprim17ROCPRIM_400000_NS6detail17trampoline_kernelINS0_14default_configENS1_25transform_config_selectorIjLb0EEEZNS1_14transform_implILb0ES3_S5_N6thrust23THRUST_200600_302600_NS6detail15normal_iteratorINS8_10device_ptrIjEEEEPjNS0_8identityIjEEEE10hipError_tT2_T3_mT4_P12ihipStream_tbEUlT_E_NS1_11comp_targetILNS1_3genE0ELNS1_11target_archE4294967295ELNS1_3gpuE0ELNS1_3repE0EEENS1_30default_config_static_selectorELNS0_4arch9wavefront6targetE0EEEvT1_.uses_vcc, 0
	.set _ZN7rocprim17ROCPRIM_400000_NS6detail17trampoline_kernelINS0_14default_configENS1_25transform_config_selectorIjLb0EEEZNS1_14transform_implILb0ES3_S5_N6thrust23THRUST_200600_302600_NS6detail15normal_iteratorINS8_10device_ptrIjEEEEPjNS0_8identityIjEEEE10hipError_tT2_T3_mT4_P12ihipStream_tbEUlT_E_NS1_11comp_targetILNS1_3genE0ELNS1_11target_archE4294967295ELNS1_3gpuE0ELNS1_3repE0EEENS1_30default_config_static_selectorELNS0_4arch9wavefront6targetE0EEEvT1_.uses_flat_scratch, 0
	.set _ZN7rocprim17ROCPRIM_400000_NS6detail17trampoline_kernelINS0_14default_configENS1_25transform_config_selectorIjLb0EEEZNS1_14transform_implILb0ES3_S5_N6thrust23THRUST_200600_302600_NS6detail15normal_iteratorINS8_10device_ptrIjEEEEPjNS0_8identityIjEEEE10hipError_tT2_T3_mT4_P12ihipStream_tbEUlT_E_NS1_11comp_targetILNS1_3genE0ELNS1_11target_archE4294967295ELNS1_3gpuE0ELNS1_3repE0EEENS1_30default_config_static_selectorELNS0_4arch9wavefront6targetE0EEEvT1_.has_dyn_sized_stack, 0
	.set _ZN7rocprim17ROCPRIM_400000_NS6detail17trampoline_kernelINS0_14default_configENS1_25transform_config_selectorIjLb0EEEZNS1_14transform_implILb0ES3_S5_N6thrust23THRUST_200600_302600_NS6detail15normal_iteratorINS8_10device_ptrIjEEEEPjNS0_8identityIjEEEE10hipError_tT2_T3_mT4_P12ihipStream_tbEUlT_E_NS1_11comp_targetILNS1_3genE0ELNS1_11target_archE4294967295ELNS1_3gpuE0ELNS1_3repE0EEENS1_30default_config_static_selectorELNS0_4arch9wavefront6targetE0EEEvT1_.has_recursion, 0
	.set _ZN7rocprim17ROCPRIM_400000_NS6detail17trampoline_kernelINS0_14default_configENS1_25transform_config_selectorIjLb0EEEZNS1_14transform_implILb0ES3_S5_N6thrust23THRUST_200600_302600_NS6detail15normal_iteratorINS8_10device_ptrIjEEEEPjNS0_8identityIjEEEE10hipError_tT2_T3_mT4_P12ihipStream_tbEUlT_E_NS1_11comp_targetILNS1_3genE0ELNS1_11target_archE4294967295ELNS1_3gpuE0ELNS1_3repE0EEENS1_30default_config_static_selectorELNS0_4arch9wavefront6targetE0EEEvT1_.has_indirect_call, 0
	.section	.AMDGPU.csdata,"",@progbits
; Kernel info:
; codeLenInByte = 0
; TotalNumSgprs: 0
; NumVgprs: 0
; ScratchSize: 0
; MemoryBound: 0
; FloatMode: 240
; IeeeMode: 1
; LDSByteSize: 0 bytes/workgroup (compile time only)
; SGPRBlocks: 0
; VGPRBlocks: 0
; NumSGPRsForWavesPerEU: 1
; NumVGPRsForWavesPerEU: 1
; Occupancy: 16
; WaveLimiterHint : 0
; COMPUTE_PGM_RSRC2:SCRATCH_EN: 0
; COMPUTE_PGM_RSRC2:USER_SGPR: 2
; COMPUTE_PGM_RSRC2:TRAP_HANDLER: 0
; COMPUTE_PGM_RSRC2:TGID_X_EN: 1
; COMPUTE_PGM_RSRC2:TGID_Y_EN: 0
; COMPUTE_PGM_RSRC2:TGID_Z_EN: 0
; COMPUTE_PGM_RSRC2:TIDIG_COMP_CNT: 0
	.section	.text._ZN7rocprim17ROCPRIM_400000_NS6detail17trampoline_kernelINS0_14default_configENS1_25transform_config_selectorIjLb0EEEZNS1_14transform_implILb0ES3_S5_N6thrust23THRUST_200600_302600_NS6detail15normal_iteratorINS8_10device_ptrIjEEEEPjNS0_8identityIjEEEE10hipError_tT2_T3_mT4_P12ihipStream_tbEUlT_E_NS1_11comp_targetILNS1_3genE5ELNS1_11target_archE942ELNS1_3gpuE9ELNS1_3repE0EEENS1_30default_config_static_selectorELNS0_4arch9wavefront6targetE0EEEvT1_,"axG",@progbits,_ZN7rocprim17ROCPRIM_400000_NS6detail17trampoline_kernelINS0_14default_configENS1_25transform_config_selectorIjLb0EEEZNS1_14transform_implILb0ES3_S5_N6thrust23THRUST_200600_302600_NS6detail15normal_iteratorINS8_10device_ptrIjEEEEPjNS0_8identityIjEEEE10hipError_tT2_T3_mT4_P12ihipStream_tbEUlT_E_NS1_11comp_targetILNS1_3genE5ELNS1_11target_archE942ELNS1_3gpuE9ELNS1_3repE0EEENS1_30default_config_static_selectorELNS0_4arch9wavefront6targetE0EEEvT1_,comdat
	.protected	_ZN7rocprim17ROCPRIM_400000_NS6detail17trampoline_kernelINS0_14default_configENS1_25transform_config_selectorIjLb0EEEZNS1_14transform_implILb0ES3_S5_N6thrust23THRUST_200600_302600_NS6detail15normal_iteratorINS8_10device_ptrIjEEEEPjNS0_8identityIjEEEE10hipError_tT2_T3_mT4_P12ihipStream_tbEUlT_E_NS1_11comp_targetILNS1_3genE5ELNS1_11target_archE942ELNS1_3gpuE9ELNS1_3repE0EEENS1_30default_config_static_selectorELNS0_4arch9wavefront6targetE0EEEvT1_ ; -- Begin function _ZN7rocprim17ROCPRIM_400000_NS6detail17trampoline_kernelINS0_14default_configENS1_25transform_config_selectorIjLb0EEEZNS1_14transform_implILb0ES3_S5_N6thrust23THRUST_200600_302600_NS6detail15normal_iteratorINS8_10device_ptrIjEEEEPjNS0_8identityIjEEEE10hipError_tT2_T3_mT4_P12ihipStream_tbEUlT_E_NS1_11comp_targetILNS1_3genE5ELNS1_11target_archE942ELNS1_3gpuE9ELNS1_3repE0EEENS1_30default_config_static_selectorELNS0_4arch9wavefront6targetE0EEEvT1_
	.globl	_ZN7rocprim17ROCPRIM_400000_NS6detail17trampoline_kernelINS0_14default_configENS1_25transform_config_selectorIjLb0EEEZNS1_14transform_implILb0ES3_S5_N6thrust23THRUST_200600_302600_NS6detail15normal_iteratorINS8_10device_ptrIjEEEEPjNS0_8identityIjEEEE10hipError_tT2_T3_mT4_P12ihipStream_tbEUlT_E_NS1_11comp_targetILNS1_3genE5ELNS1_11target_archE942ELNS1_3gpuE9ELNS1_3repE0EEENS1_30default_config_static_selectorELNS0_4arch9wavefront6targetE0EEEvT1_
	.p2align	8
	.type	_ZN7rocprim17ROCPRIM_400000_NS6detail17trampoline_kernelINS0_14default_configENS1_25transform_config_selectorIjLb0EEEZNS1_14transform_implILb0ES3_S5_N6thrust23THRUST_200600_302600_NS6detail15normal_iteratorINS8_10device_ptrIjEEEEPjNS0_8identityIjEEEE10hipError_tT2_T3_mT4_P12ihipStream_tbEUlT_E_NS1_11comp_targetILNS1_3genE5ELNS1_11target_archE942ELNS1_3gpuE9ELNS1_3repE0EEENS1_30default_config_static_selectorELNS0_4arch9wavefront6targetE0EEEvT1_,@function
_ZN7rocprim17ROCPRIM_400000_NS6detail17trampoline_kernelINS0_14default_configENS1_25transform_config_selectorIjLb0EEEZNS1_14transform_implILb0ES3_S5_N6thrust23THRUST_200600_302600_NS6detail15normal_iteratorINS8_10device_ptrIjEEEEPjNS0_8identityIjEEEE10hipError_tT2_T3_mT4_P12ihipStream_tbEUlT_E_NS1_11comp_targetILNS1_3genE5ELNS1_11target_archE942ELNS1_3gpuE9ELNS1_3repE0EEENS1_30default_config_static_selectorELNS0_4arch9wavefront6targetE0EEEvT1_: ; @_ZN7rocprim17ROCPRIM_400000_NS6detail17trampoline_kernelINS0_14default_configENS1_25transform_config_selectorIjLb0EEEZNS1_14transform_implILb0ES3_S5_N6thrust23THRUST_200600_302600_NS6detail15normal_iteratorINS8_10device_ptrIjEEEEPjNS0_8identityIjEEEE10hipError_tT2_T3_mT4_P12ihipStream_tbEUlT_E_NS1_11comp_targetILNS1_3genE5ELNS1_11target_archE942ELNS1_3gpuE9ELNS1_3repE0EEENS1_30default_config_static_selectorELNS0_4arch9wavefront6targetE0EEEvT1_
; %bb.0:
	.section	.rodata,"a",@progbits
	.p2align	6, 0x0
	.amdhsa_kernel _ZN7rocprim17ROCPRIM_400000_NS6detail17trampoline_kernelINS0_14default_configENS1_25transform_config_selectorIjLb0EEEZNS1_14transform_implILb0ES3_S5_N6thrust23THRUST_200600_302600_NS6detail15normal_iteratorINS8_10device_ptrIjEEEEPjNS0_8identityIjEEEE10hipError_tT2_T3_mT4_P12ihipStream_tbEUlT_E_NS1_11comp_targetILNS1_3genE5ELNS1_11target_archE942ELNS1_3gpuE9ELNS1_3repE0EEENS1_30default_config_static_selectorELNS0_4arch9wavefront6targetE0EEEvT1_
		.amdhsa_group_segment_fixed_size 0
		.amdhsa_private_segment_fixed_size 0
		.amdhsa_kernarg_size 40
		.amdhsa_user_sgpr_count 2
		.amdhsa_user_sgpr_dispatch_ptr 0
		.amdhsa_user_sgpr_queue_ptr 0
		.amdhsa_user_sgpr_kernarg_segment_ptr 1
		.amdhsa_user_sgpr_dispatch_id 0
		.amdhsa_user_sgpr_private_segment_size 0
		.amdhsa_wavefront_size32 1
		.amdhsa_uses_dynamic_stack 0
		.amdhsa_enable_private_segment 0
		.amdhsa_system_sgpr_workgroup_id_x 1
		.amdhsa_system_sgpr_workgroup_id_y 0
		.amdhsa_system_sgpr_workgroup_id_z 0
		.amdhsa_system_sgpr_workgroup_info 0
		.amdhsa_system_vgpr_workitem_id 0
		.amdhsa_next_free_vgpr 1
		.amdhsa_next_free_sgpr 1
		.amdhsa_reserve_vcc 0
		.amdhsa_float_round_mode_32 0
		.amdhsa_float_round_mode_16_64 0
		.amdhsa_float_denorm_mode_32 3
		.amdhsa_float_denorm_mode_16_64 3
		.amdhsa_fp16_overflow 0
		.amdhsa_workgroup_processor_mode 1
		.amdhsa_memory_ordered 1
		.amdhsa_forward_progress 1
		.amdhsa_inst_pref_size 0
		.amdhsa_round_robin_scheduling 0
		.amdhsa_exception_fp_ieee_invalid_op 0
		.amdhsa_exception_fp_denorm_src 0
		.amdhsa_exception_fp_ieee_div_zero 0
		.amdhsa_exception_fp_ieee_overflow 0
		.amdhsa_exception_fp_ieee_underflow 0
		.amdhsa_exception_fp_ieee_inexact 0
		.amdhsa_exception_int_div_zero 0
	.end_amdhsa_kernel
	.section	.text._ZN7rocprim17ROCPRIM_400000_NS6detail17trampoline_kernelINS0_14default_configENS1_25transform_config_selectorIjLb0EEEZNS1_14transform_implILb0ES3_S5_N6thrust23THRUST_200600_302600_NS6detail15normal_iteratorINS8_10device_ptrIjEEEEPjNS0_8identityIjEEEE10hipError_tT2_T3_mT4_P12ihipStream_tbEUlT_E_NS1_11comp_targetILNS1_3genE5ELNS1_11target_archE942ELNS1_3gpuE9ELNS1_3repE0EEENS1_30default_config_static_selectorELNS0_4arch9wavefront6targetE0EEEvT1_,"axG",@progbits,_ZN7rocprim17ROCPRIM_400000_NS6detail17trampoline_kernelINS0_14default_configENS1_25transform_config_selectorIjLb0EEEZNS1_14transform_implILb0ES3_S5_N6thrust23THRUST_200600_302600_NS6detail15normal_iteratorINS8_10device_ptrIjEEEEPjNS0_8identityIjEEEE10hipError_tT2_T3_mT4_P12ihipStream_tbEUlT_E_NS1_11comp_targetILNS1_3genE5ELNS1_11target_archE942ELNS1_3gpuE9ELNS1_3repE0EEENS1_30default_config_static_selectorELNS0_4arch9wavefront6targetE0EEEvT1_,comdat
.Lfunc_end158:
	.size	_ZN7rocprim17ROCPRIM_400000_NS6detail17trampoline_kernelINS0_14default_configENS1_25transform_config_selectorIjLb0EEEZNS1_14transform_implILb0ES3_S5_N6thrust23THRUST_200600_302600_NS6detail15normal_iteratorINS8_10device_ptrIjEEEEPjNS0_8identityIjEEEE10hipError_tT2_T3_mT4_P12ihipStream_tbEUlT_E_NS1_11comp_targetILNS1_3genE5ELNS1_11target_archE942ELNS1_3gpuE9ELNS1_3repE0EEENS1_30default_config_static_selectorELNS0_4arch9wavefront6targetE0EEEvT1_, .Lfunc_end158-_ZN7rocprim17ROCPRIM_400000_NS6detail17trampoline_kernelINS0_14default_configENS1_25transform_config_selectorIjLb0EEEZNS1_14transform_implILb0ES3_S5_N6thrust23THRUST_200600_302600_NS6detail15normal_iteratorINS8_10device_ptrIjEEEEPjNS0_8identityIjEEEE10hipError_tT2_T3_mT4_P12ihipStream_tbEUlT_E_NS1_11comp_targetILNS1_3genE5ELNS1_11target_archE942ELNS1_3gpuE9ELNS1_3repE0EEENS1_30default_config_static_selectorELNS0_4arch9wavefront6targetE0EEEvT1_
                                        ; -- End function
	.set _ZN7rocprim17ROCPRIM_400000_NS6detail17trampoline_kernelINS0_14default_configENS1_25transform_config_selectorIjLb0EEEZNS1_14transform_implILb0ES3_S5_N6thrust23THRUST_200600_302600_NS6detail15normal_iteratorINS8_10device_ptrIjEEEEPjNS0_8identityIjEEEE10hipError_tT2_T3_mT4_P12ihipStream_tbEUlT_E_NS1_11comp_targetILNS1_3genE5ELNS1_11target_archE942ELNS1_3gpuE9ELNS1_3repE0EEENS1_30default_config_static_selectorELNS0_4arch9wavefront6targetE0EEEvT1_.num_vgpr, 0
	.set _ZN7rocprim17ROCPRIM_400000_NS6detail17trampoline_kernelINS0_14default_configENS1_25transform_config_selectorIjLb0EEEZNS1_14transform_implILb0ES3_S5_N6thrust23THRUST_200600_302600_NS6detail15normal_iteratorINS8_10device_ptrIjEEEEPjNS0_8identityIjEEEE10hipError_tT2_T3_mT4_P12ihipStream_tbEUlT_E_NS1_11comp_targetILNS1_3genE5ELNS1_11target_archE942ELNS1_3gpuE9ELNS1_3repE0EEENS1_30default_config_static_selectorELNS0_4arch9wavefront6targetE0EEEvT1_.num_agpr, 0
	.set _ZN7rocprim17ROCPRIM_400000_NS6detail17trampoline_kernelINS0_14default_configENS1_25transform_config_selectorIjLb0EEEZNS1_14transform_implILb0ES3_S5_N6thrust23THRUST_200600_302600_NS6detail15normal_iteratorINS8_10device_ptrIjEEEEPjNS0_8identityIjEEEE10hipError_tT2_T3_mT4_P12ihipStream_tbEUlT_E_NS1_11comp_targetILNS1_3genE5ELNS1_11target_archE942ELNS1_3gpuE9ELNS1_3repE0EEENS1_30default_config_static_selectorELNS0_4arch9wavefront6targetE0EEEvT1_.numbered_sgpr, 0
	.set _ZN7rocprim17ROCPRIM_400000_NS6detail17trampoline_kernelINS0_14default_configENS1_25transform_config_selectorIjLb0EEEZNS1_14transform_implILb0ES3_S5_N6thrust23THRUST_200600_302600_NS6detail15normal_iteratorINS8_10device_ptrIjEEEEPjNS0_8identityIjEEEE10hipError_tT2_T3_mT4_P12ihipStream_tbEUlT_E_NS1_11comp_targetILNS1_3genE5ELNS1_11target_archE942ELNS1_3gpuE9ELNS1_3repE0EEENS1_30default_config_static_selectorELNS0_4arch9wavefront6targetE0EEEvT1_.num_named_barrier, 0
	.set _ZN7rocprim17ROCPRIM_400000_NS6detail17trampoline_kernelINS0_14default_configENS1_25transform_config_selectorIjLb0EEEZNS1_14transform_implILb0ES3_S5_N6thrust23THRUST_200600_302600_NS6detail15normal_iteratorINS8_10device_ptrIjEEEEPjNS0_8identityIjEEEE10hipError_tT2_T3_mT4_P12ihipStream_tbEUlT_E_NS1_11comp_targetILNS1_3genE5ELNS1_11target_archE942ELNS1_3gpuE9ELNS1_3repE0EEENS1_30default_config_static_selectorELNS0_4arch9wavefront6targetE0EEEvT1_.private_seg_size, 0
	.set _ZN7rocprim17ROCPRIM_400000_NS6detail17trampoline_kernelINS0_14default_configENS1_25transform_config_selectorIjLb0EEEZNS1_14transform_implILb0ES3_S5_N6thrust23THRUST_200600_302600_NS6detail15normal_iteratorINS8_10device_ptrIjEEEEPjNS0_8identityIjEEEE10hipError_tT2_T3_mT4_P12ihipStream_tbEUlT_E_NS1_11comp_targetILNS1_3genE5ELNS1_11target_archE942ELNS1_3gpuE9ELNS1_3repE0EEENS1_30default_config_static_selectorELNS0_4arch9wavefront6targetE0EEEvT1_.uses_vcc, 0
	.set _ZN7rocprim17ROCPRIM_400000_NS6detail17trampoline_kernelINS0_14default_configENS1_25transform_config_selectorIjLb0EEEZNS1_14transform_implILb0ES3_S5_N6thrust23THRUST_200600_302600_NS6detail15normal_iteratorINS8_10device_ptrIjEEEEPjNS0_8identityIjEEEE10hipError_tT2_T3_mT4_P12ihipStream_tbEUlT_E_NS1_11comp_targetILNS1_3genE5ELNS1_11target_archE942ELNS1_3gpuE9ELNS1_3repE0EEENS1_30default_config_static_selectorELNS0_4arch9wavefront6targetE0EEEvT1_.uses_flat_scratch, 0
	.set _ZN7rocprim17ROCPRIM_400000_NS6detail17trampoline_kernelINS0_14default_configENS1_25transform_config_selectorIjLb0EEEZNS1_14transform_implILb0ES3_S5_N6thrust23THRUST_200600_302600_NS6detail15normal_iteratorINS8_10device_ptrIjEEEEPjNS0_8identityIjEEEE10hipError_tT2_T3_mT4_P12ihipStream_tbEUlT_E_NS1_11comp_targetILNS1_3genE5ELNS1_11target_archE942ELNS1_3gpuE9ELNS1_3repE0EEENS1_30default_config_static_selectorELNS0_4arch9wavefront6targetE0EEEvT1_.has_dyn_sized_stack, 0
	.set _ZN7rocprim17ROCPRIM_400000_NS6detail17trampoline_kernelINS0_14default_configENS1_25transform_config_selectorIjLb0EEEZNS1_14transform_implILb0ES3_S5_N6thrust23THRUST_200600_302600_NS6detail15normal_iteratorINS8_10device_ptrIjEEEEPjNS0_8identityIjEEEE10hipError_tT2_T3_mT4_P12ihipStream_tbEUlT_E_NS1_11comp_targetILNS1_3genE5ELNS1_11target_archE942ELNS1_3gpuE9ELNS1_3repE0EEENS1_30default_config_static_selectorELNS0_4arch9wavefront6targetE0EEEvT1_.has_recursion, 0
	.set _ZN7rocprim17ROCPRIM_400000_NS6detail17trampoline_kernelINS0_14default_configENS1_25transform_config_selectorIjLb0EEEZNS1_14transform_implILb0ES3_S5_N6thrust23THRUST_200600_302600_NS6detail15normal_iteratorINS8_10device_ptrIjEEEEPjNS0_8identityIjEEEE10hipError_tT2_T3_mT4_P12ihipStream_tbEUlT_E_NS1_11comp_targetILNS1_3genE5ELNS1_11target_archE942ELNS1_3gpuE9ELNS1_3repE0EEENS1_30default_config_static_selectorELNS0_4arch9wavefront6targetE0EEEvT1_.has_indirect_call, 0
	.section	.AMDGPU.csdata,"",@progbits
; Kernel info:
; codeLenInByte = 0
; TotalNumSgprs: 0
; NumVgprs: 0
; ScratchSize: 0
; MemoryBound: 0
; FloatMode: 240
; IeeeMode: 1
; LDSByteSize: 0 bytes/workgroup (compile time only)
; SGPRBlocks: 0
; VGPRBlocks: 0
; NumSGPRsForWavesPerEU: 1
; NumVGPRsForWavesPerEU: 1
; Occupancy: 16
; WaveLimiterHint : 0
; COMPUTE_PGM_RSRC2:SCRATCH_EN: 0
; COMPUTE_PGM_RSRC2:USER_SGPR: 2
; COMPUTE_PGM_RSRC2:TRAP_HANDLER: 0
; COMPUTE_PGM_RSRC2:TGID_X_EN: 1
; COMPUTE_PGM_RSRC2:TGID_Y_EN: 0
; COMPUTE_PGM_RSRC2:TGID_Z_EN: 0
; COMPUTE_PGM_RSRC2:TIDIG_COMP_CNT: 0
	.section	.text._ZN7rocprim17ROCPRIM_400000_NS6detail17trampoline_kernelINS0_14default_configENS1_25transform_config_selectorIjLb0EEEZNS1_14transform_implILb0ES3_S5_N6thrust23THRUST_200600_302600_NS6detail15normal_iteratorINS8_10device_ptrIjEEEEPjNS0_8identityIjEEEE10hipError_tT2_T3_mT4_P12ihipStream_tbEUlT_E_NS1_11comp_targetILNS1_3genE4ELNS1_11target_archE910ELNS1_3gpuE8ELNS1_3repE0EEENS1_30default_config_static_selectorELNS0_4arch9wavefront6targetE0EEEvT1_,"axG",@progbits,_ZN7rocprim17ROCPRIM_400000_NS6detail17trampoline_kernelINS0_14default_configENS1_25transform_config_selectorIjLb0EEEZNS1_14transform_implILb0ES3_S5_N6thrust23THRUST_200600_302600_NS6detail15normal_iteratorINS8_10device_ptrIjEEEEPjNS0_8identityIjEEEE10hipError_tT2_T3_mT4_P12ihipStream_tbEUlT_E_NS1_11comp_targetILNS1_3genE4ELNS1_11target_archE910ELNS1_3gpuE8ELNS1_3repE0EEENS1_30default_config_static_selectorELNS0_4arch9wavefront6targetE0EEEvT1_,comdat
	.protected	_ZN7rocprim17ROCPRIM_400000_NS6detail17trampoline_kernelINS0_14default_configENS1_25transform_config_selectorIjLb0EEEZNS1_14transform_implILb0ES3_S5_N6thrust23THRUST_200600_302600_NS6detail15normal_iteratorINS8_10device_ptrIjEEEEPjNS0_8identityIjEEEE10hipError_tT2_T3_mT4_P12ihipStream_tbEUlT_E_NS1_11comp_targetILNS1_3genE4ELNS1_11target_archE910ELNS1_3gpuE8ELNS1_3repE0EEENS1_30default_config_static_selectorELNS0_4arch9wavefront6targetE0EEEvT1_ ; -- Begin function _ZN7rocprim17ROCPRIM_400000_NS6detail17trampoline_kernelINS0_14default_configENS1_25transform_config_selectorIjLb0EEEZNS1_14transform_implILb0ES3_S5_N6thrust23THRUST_200600_302600_NS6detail15normal_iteratorINS8_10device_ptrIjEEEEPjNS0_8identityIjEEEE10hipError_tT2_T3_mT4_P12ihipStream_tbEUlT_E_NS1_11comp_targetILNS1_3genE4ELNS1_11target_archE910ELNS1_3gpuE8ELNS1_3repE0EEENS1_30default_config_static_selectorELNS0_4arch9wavefront6targetE0EEEvT1_
	.globl	_ZN7rocprim17ROCPRIM_400000_NS6detail17trampoline_kernelINS0_14default_configENS1_25transform_config_selectorIjLb0EEEZNS1_14transform_implILb0ES3_S5_N6thrust23THRUST_200600_302600_NS6detail15normal_iteratorINS8_10device_ptrIjEEEEPjNS0_8identityIjEEEE10hipError_tT2_T3_mT4_P12ihipStream_tbEUlT_E_NS1_11comp_targetILNS1_3genE4ELNS1_11target_archE910ELNS1_3gpuE8ELNS1_3repE0EEENS1_30default_config_static_selectorELNS0_4arch9wavefront6targetE0EEEvT1_
	.p2align	8
	.type	_ZN7rocprim17ROCPRIM_400000_NS6detail17trampoline_kernelINS0_14default_configENS1_25transform_config_selectorIjLb0EEEZNS1_14transform_implILb0ES3_S5_N6thrust23THRUST_200600_302600_NS6detail15normal_iteratorINS8_10device_ptrIjEEEEPjNS0_8identityIjEEEE10hipError_tT2_T3_mT4_P12ihipStream_tbEUlT_E_NS1_11comp_targetILNS1_3genE4ELNS1_11target_archE910ELNS1_3gpuE8ELNS1_3repE0EEENS1_30default_config_static_selectorELNS0_4arch9wavefront6targetE0EEEvT1_,@function
_ZN7rocprim17ROCPRIM_400000_NS6detail17trampoline_kernelINS0_14default_configENS1_25transform_config_selectorIjLb0EEEZNS1_14transform_implILb0ES3_S5_N6thrust23THRUST_200600_302600_NS6detail15normal_iteratorINS8_10device_ptrIjEEEEPjNS0_8identityIjEEEE10hipError_tT2_T3_mT4_P12ihipStream_tbEUlT_E_NS1_11comp_targetILNS1_3genE4ELNS1_11target_archE910ELNS1_3gpuE8ELNS1_3repE0EEENS1_30default_config_static_selectorELNS0_4arch9wavefront6targetE0EEEvT1_: ; @_ZN7rocprim17ROCPRIM_400000_NS6detail17trampoline_kernelINS0_14default_configENS1_25transform_config_selectorIjLb0EEEZNS1_14transform_implILb0ES3_S5_N6thrust23THRUST_200600_302600_NS6detail15normal_iteratorINS8_10device_ptrIjEEEEPjNS0_8identityIjEEEE10hipError_tT2_T3_mT4_P12ihipStream_tbEUlT_E_NS1_11comp_targetILNS1_3genE4ELNS1_11target_archE910ELNS1_3gpuE8ELNS1_3repE0EEENS1_30default_config_static_selectorELNS0_4arch9wavefront6targetE0EEEvT1_
; %bb.0:
	.section	.rodata,"a",@progbits
	.p2align	6, 0x0
	.amdhsa_kernel _ZN7rocprim17ROCPRIM_400000_NS6detail17trampoline_kernelINS0_14default_configENS1_25transform_config_selectorIjLb0EEEZNS1_14transform_implILb0ES3_S5_N6thrust23THRUST_200600_302600_NS6detail15normal_iteratorINS8_10device_ptrIjEEEEPjNS0_8identityIjEEEE10hipError_tT2_T3_mT4_P12ihipStream_tbEUlT_E_NS1_11comp_targetILNS1_3genE4ELNS1_11target_archE910ELNS1_3gpuE8ELNS1_3repE0EEENS1_30default_config_static_selectorELNS0_4arch9wavefront6targetE0EEEvT1_
		.amdhsa_group_segment_fixed_size 0
		.amdhsa_private_segment_fixed_size 0
		.amdhsa_kernarg_size 40
		.amdhsa_user_sgpr_count 2
		.amdhsa_user_sgpr_dispatch_ptr 0
		.amdhsa_user_sgpr_queue_ptr 0
		.amdhsa_user_sgpr_kernarg_segment_ptr 1
		.amdhsa_user_sgpr_dispatch_id 0
		.amdhsa_user_sgpr_private_segment_size 0
		.amdhsa_wavefront_size32 1
		.amdhsa_uses_dynamic_stack 0
		.amdhsa_enable_private_segment 0
		.amdhsa_system_sgpr_workgroup_id_x 1
		.amdhsa_system_sgpr_workgroup_id_y 0
		.amdhsa_system_sgpr_workgroup_id_z 0
		.amdhsa_system_sgpr_workgroup_info 0
		.amdhsa_system_vgpr_workitem_id 0
		.amdhsa_next_free_vgpr 1
		.amdhsa_next_free_sgpr 1
		.amdhsa_reserve_vcc 0
		.amdhsa_float_round_mode_32 0
		.amdhsa_float_round_mode_16_64 0
		.amdhsa_float_denorm_mode_32 3
		.amdhsa_float_denorm_mode_16_64 3
		.amdhsa_fp16_overflow 0
		.amdhsa_workgroup_processor_mode 1
		.amdhsa_memory_ordered 1
		.amdhsa_forward_progress 1
		.amdhsa_inst_pref_size 0
		.amdhsa_round_robin_scheduling 0
		.amdhsa_exception_fp_ieee_invalid_op 0
		.amdhsa_exception_fp_denorm_src 0
		.amdhsa_exception_fp_ieee_div_zero 0
		.amdhsa_exception_fp_ieee_overflow 0
		.amdhsa_exception_fp_ieee_underflow 0
		.amdhsa_exception_fp_ieee_inexact 0
		.amdhsa_exception_int_div_zero 0
	.end_amdhsa_kernel
	.section	.text._ZN7rocprim17ROCPRIM_400000_NS6detail17trampoline_kernelINS0_14default_configENS1_25transform_config_selectorIjLb0EEEZNS1_14transform_implILb0ES3_S5_N6thrust23THRUST_200600_302600_NS6detail15normal_iteratorINS8_10device_ptrIjEEEEPjNS0_8identityIjEEEE10hipError_tT2_T3_mT4_P12ihipStream_tbEUlT_E_NS1_11comp_targetILNS1_3genE4ELNS1_11target_archE910ELNS1_3gpuE8ELNS1_3repE0EEENS1_30default_config_static_selectorELNS0_4arch9wavefront6targetE0EEEvT1_,"axG",@progbits,_ZN7rocprim17ROCPRIM_400000_NS6detail17trampoline_kernelINS0_14default_configENS1_25transform_config_selectorIjLb0EEEZNS1_14transform_implILb0ES3_S5_N6thrust23THRUST_200600_302600_NS6detail15normal_iteratorINS8_10device_ptrIjEEEEPjNS0_8identityIjEEEE10hipError_tT2_T3_mT4_P12ihipStream_tbEUlT_E_NS1_11comp_targetILNS1_3genE4ELNS1_11target_archE910ELNS1_3gpuE8ELNS1_3repE0EEENS1_30default_config_static_selectorELNS0_4arch9wavefront6targetE0EEEvT1_,comdat
.Lfunc_end159:
	.size	_ZN7rocprim17ROCPRIM_400000_NS6detail17trampoline_kernelINS0_14default_configENS1_25transform_config_selectorIjLb0EEEZNS1_14transform_implILb0ES3_S5_N6thrust23THRUST_200600_302600_NS6detail15normal_iteratorINS8_10device_ptrIjEEEEPjNS0_8identityIjEEEE10hipError_tT2_T3_mT4_P12ihipStream_tbEUlT_E_NS1_11comp_targetILNS1_3genE4ELNS1_11target_archE910ELNS1_3gpuE8ELNS1_3repE0EEENS1_30default_config_static_selectorELNS0_4arch9wavefront6targetE0EEEvT1_, .Lfunc_end159-_ZN7rocprim17ROCPRIM_400000_NS6detail17trampoline_kernelINS0_14default_configENS1_25transform_config_selectorIjLb0EEEZNS1_14transform_implILb0ES3_S5_N6thrust23THRUST_200600_302600_NS6detail15normal_iteratorINS8_10device_ptrIjEEEEPjNS0_8identityIjEEEE10hipError_tT2_T3_mT4_P12ihipStream_tbEUlT_E_NS1_11comp_targetILNS1_3genE4ELNS1_11target_archE910ELNS1_3gpuE8ELNS1_3repE0EEENS1_30default_config_static_selectorELNS0_4arch9wavefront6targetE0EEEvT1_
                                        ; -- End function
	.set _ZN7rocprim17ROCPRIM_400000_NS6detail17trampoline_kernelINS0_14default_configENS1_25transform_config_selectorIjLb0EEEZNS1_14transform_implILb0ES3_S5_N6thrust23THRUST_200600_302600_NS6detail15normal_iteratorINS8_10device_ptrIjEEEEPjNS0_8identityIjEEEE10hipError_tT2_T3_mT4_P12ihipStream_tbEUlT_E_NS1_11comp_targetILNS1_3genE4ELNS1_11target_archE910ELNS1_3gpuE8ELNS1_3repE0EEENS1_30default_config_static_selectorELNS0_4arch9wavefront6targetE0EEEvT1_.num_vgpr, 0
	.set _ZN7rocprim17ROCPRIM_400000_NS6detail17trampoline_kernelINS0_14default_configENS1_25transform_config_selectorIjLb0EEEZNS1_14transform_implILb0ES3_S5_N6thrust23THRUST_200600_302600_NS6detail15normal_iteratorINS8_10device_ptrIjEEEEPjNS0_8identityIjEEEE10hipError_tT2_T3_mT4_P12ihipStream_tbEUlT_E_NS1_11comp_targetILNS1_3genE4ELNS1_11target_archE910ELNS1_3gpuE8ELNS1_3repE0EEENS1_30default_config_static_selectorELNS0_4arch9wavefront6targetE0EEEvT1_.num_agpr, 0
	.set _ZN7rocprim17ROCPRIM_400000_NS6detail17trampoline_kernelINS0_14default_configENS1_25transform_config_selectorIjLb0EEEZNS1_14transform_implILb0ES3_S5_N6thrust23THRUST_200600_302600_NS6detail15normal_iteratorINS8_10device_ptrIjEEEEPjNS0_8identityIjEEEE10hipError_tT2_T3_mT4_P12ihipStream_tbEUlT_E_NS1_11comp_targetILNS1_3genE4ELNS1_11target_archE910ELNS1_3gpuE8ELNS1_3repE0EEENS1_30default_config_static_selectorELNS0_4arch9wavefront6targetE0EEEvT1_.numbered_sgpr, 0
	.set _ZN7rocprim17ROCPRIM_400000_NS6detail17trampoline_kernelINS0_14default_configENS1_25transform_config_selectorIjLb0EEEZNS1_14transform_implILb0ES3_S5_N6thrust23THRUST_200600_302600_NS6detail15normal_iteratorINS8_10device_ptrIjEEEEPjNS0_8identityIjEEEE10hipError_tT2_T3_mT4_P12ihipStream_tbEUlT_E_NS1_11comp_targetILNS1_3genE4ELNS1_11target_archE910ELNS1_3gpuE8ELNS1_3repE0EEENS1_30default_config_static_selectorELNS0_4arch9wavefront6targetE0EEEvT1_.num_named_barrier, 0
	.set _ZN7rocprim17ROCPRIM_400000_NS6detail17trampoline_kernelINS0_14default_configENS1_25transform_config_selectorIjLb0EEEZNS1_14transform_implILb0ES3_S5_N6thrust23THRUST_200600_302600_NS6detail15normal_iteratorINS8_10device_ptrIjEEEEPjNS0_8identityIjEEEE10hipError_tT2_T3_mT4_P12ihipStream_tbEUlT_E_NS1_11comp_targetILNS1_3genE4ELNS1_11target_archE910ELNS1_3gpuE8ELNS1_3repE0EEENS1_30default_config_static_selectorELNS0_4arch9wavefront6targetE0EEEvT1_.private_seg_size, 0
	.set _ZN7rocprim17ROCPRIM_400000_NS6detail17trampoline_kernelINS0_14default_configENS1_25transform_config_selectorIjLb0EEEZNS1_14transform_implILb0ES3_S5_N6thrust23THRUST_200600_302600_NS6detail15normal_iteratorINS8_10device_ptrIjEEEEPjNS0_8identityIjEEEE10hipError_tT2_T3_mT4_P12ihipStream_tbEUlT_E_NS1_11comp_targetILNS1_3genE4ELNS1_11target_archE910ELNS1_3gpuE8ELNS1_3repE0EEENS1_30default_config_static_selectorELNS0_4arch9wavefront6targetE0EEEvT1_.uses_vcc, 0
	.set _ZN7rocprim17ROCPRIM_400000_NS6detail17trampoline_kernelINS0_14default_configENS1_25transform_config_selectorIjLb0EEEZNS1_14transform_implILb0ES3_S5_N6thrust23THRUST_200600_302600_NS6detail15normal_iteratorINS8_10device_ptrIjEEEEPjNS0_8identityIjEEEE10hipError_tT2_T3_mT4_P12ihipStream_tbEUlT_E_NS1_11comp_targetILNS1_3genE4ELNS1_11target_archE910ELNS1_3gpuE8ELNS1_3repE0EEENS1_30default_config_static_selectorELNS0_4arch9wavefront6targetE0EEEvT1_.uses_flat_scratch, 0
	.set _ZN7rocprim17ROCPRIM_400000_NS6detail17trampoline_kernelINS0_14default_configENS1_25transform_config_selectorIjLb0EEEZNS1_14transform_implILb0ES3_S5_N6thrust23THRUST_200600_302600_NS6detail15normal_iteratorINS8_10device_ptrIjEEEEPjNS0_8identityIjEEEE10hipError_tT2_T3_mT4_P12ihipStream_tbEUlT_E_NS1_11comp_targetILNS1_3genE4ELNS1_11target_archE910ELNS1_3gpuE8ELNS1_3repE0EEENS1_30default_config_static_selectorELNS0_4arch9wavefront6targetE0EEEvT1_.has_dyn_sized_stack, 0
	.set _ZN7rocprim17ROCPRIM_400000_NS6detail17trampoline_kernelINS0_14default_configENS1_25transform_config_selectorIjLb0EEEZNS1_14transform_implILb0ES3_S5_N6thrust23THRUST_200600_302600_NS6detail15normal_iteratorINS8_10device_ptrIjEEEEPjNS0_8identityIjEEEE10hipError_tT2_T3_mT4_P12ihipStream_tbEUlT_E_NS1_11comp_targetILNS1_3genE4ELNS1_11target_archE910ELNS1_3gpuE8ELNS1_3repE0EEENS1_30default_config_static_selectorELNS0_4arch9wavefront6targetE0EEEvT1_.has_recursion, 0
	.set _ZN7rocprim17ROCPRIM_400000_NS6detail17trampoline_kernelINS0_14default_configENS1_25transform_config_selectorIjLb0EEEZNS1_14transform_implILb0ES3_S5_N6thrust23THRUST_200600_302600_NS6detail15normal_iteratorINS8_10device_ptrIjEEEEPjNS0_8identityIjEEEE10hipError_tT2_T3_mT4_P12ihipStream_tbEUlT_E_NS1_11comp_targetILNS1_3genE4ELNS1_11target_archE910ELNS1_3gpuE8ELNS1_3repE0EEENS1_30default_config_static_selectorELNS0_4arch9wavefront6targetE0EEEvT1_.has_indirect_call, 0
	.section	.AMDGPU.csdata,"",@progbits
; Kernel info:
; codeLenInByte = 0
; TotalNumSgprs: 0
; NumVgprs: 0
; ScratchSize: 0
; MemoryBound: 0
; FloatMode: 240
; IeeeMode: 1
; LDSByteSize: 0 bytes/workgroup (compile time only)
; SGPRBlocks: 0
; VGPRBlocks: 0
; NumSGPRsForWavesPerEU: 1
; NumVGPRsForWavesPerEU: 1
; Occupancy: 16
; WaveLimiterHint : 0
; COMPUTE_PGM_RSRC2:SCRATCH_EN: 0
; COMPUTE_PGM_RSRC2:USER_SGPR: 2
; COMPUTE_PGM_RSRC2:TRAP_HANDLER: 0
; COMPUTE_PGM_RSRC2:TGID_X_EN: 1
; COMPUTE_PGM_RSRC2:TGID_Y_EN: 0
; COMPUTE_PGM_RSRC2:TGID_Z_EN: 0
; COMPUTE_PGM_RSRC2:TIDIG_COMP_CNT: 0
	.section	.text._ZN7rocprim17ROCPRIM_400000_NS6detail17trampoline_kernelINS0_14default_configENS1_25transform_config_selectorIjLb0EEEZNS1_14transform_implILb0ES3_S5_N6thrust23THRUST_200600_302600_NS6detail15normal_iteratorINS8_10device_ptrIjEEEEPjNS0_8identityIjEEEE10hipError_tT2_T3_mT4_P12ihipStream_tbEUlT_E_NS1_11comp_targetILNS1_3genE3ELNS1_11target_archE908ELNS1_3gpuE7ELNS1_3repE0EEENS1_30default_config_static_selectorELNS0_4arch9wavefront6targetE0EEEvT1_,"axG",@progbits,_ZN7rocprim17ROCPRIM_400000_NS6detail17trampoline_kernelINS0_14default_configENS1_25transform_config_selectorIjLb0EEEZNS1_14transform_implILb0ES3_S5_N6thrust23THRUST_200600_302600_NS6detail15normal_iteratorINS8_10device_ptrIjEEEEPjNS0_8identityIjEEEE10hipError_tT2_T3_mT4_P12ihipStream_tbEUlT_E_NS1_11comp_targetILNS1_3genE3ELNS1_11target_archE908ELNS1_3gpuE7ELNS1_3repE0EEENS1_30default_config_static_selectorELNS0_4arch9wavefront6targetE0EEEvT1_,comdat
	.protected	_ZN7rocprim17ROCPRIM_400000_NS6detail17trampoline_kernelINS0_14default_configENS1_25transform_config_selectorIjLb0EEEZNS1_14transform_implILb0ES3_S5_N6thrust23THRUST_200600_302600_NS6detail15normal_iteratorINS8_10device_ptrIjEEEEPjNS0_8identityIjEEEE10hipError_tT2_T3_mT4_P12ihipStream_tbEUlT_E_NS1_11comp_targetILNS1_3genE3ELNS1_11target_archE908ELNS1_3gpuE7ELNS1_3repE0EEENS1_30default_config_static_selectorELNS0_4arch9wavefront6targetE0EEEvT1_ ; -- Begin function _ZN7rocprim17ROCPRIM_400000_NS6detail17trampoline_kernelINS0_14default_configENS1_25transform_config_selectorIjLb0EEEZNS1_14transform_implILb0ES3_S5_N6thrust23THRUST_200600_302600_NS6detail15normal_iteratorINS8_10device_ptrIjEEEEPjNS0_8identityIjEEEE10hipError_tT2_T3_mT4_P12ihipStream_tbEUlT_E_NS1_11comp_targetILNS1_3genE3ELNS1_11target_archE908ELNS1_3gpuE7ELNS1_3repE0EEENS1_30default_config_static_selectorELNS0_4arch9wavefront6targetE0EEEvT1_
	.globl	_ZN7rocprim17ROCPRIM_400000_NS6detail17trampoline_kernelINS0_14default_configENS1_25transform_config_selectorIjLb0EEEZNS1_14transform_implILb0ES3_S5_N6thrust23THRUST_200600_302600_NS6detail15normal_iteratorINS8_10device_ptrIjEEEEPjNS0_8identityIjEEEE10hipError_tT2_T3_mT4_P12ihipStream_tbEUlT_E_NS1_11comp_targetILNS1_3genE3ELNS1_11target_archE908ELNS1_3gpuE7ELNS1_3repE0EEENS1_30default_config_static_selectorELNS0_4arch9wavefront6targetE0EEEvT1_
	.p2align	8
	.type	_ZN7rocprim17ROCPRIM_400000_NS6detail17trampoline_kernelINS0_14default_configENS1_25transform_config_selectorIjLb0EEEZNS1_14transform_implILb0ES3_S5_N6thrust23THRUST_200600_302600_NS6detail15normal_iteratorINS8_10device_ptrIjEEEEPjNS0_8identityIjEEEE10hipError_tT2_T3_mT4_P12ihipStream_tbEUlT_E_NS1_11comp_targetILNS1_3genE3ELNS1_11target_archE908ELNS1_3gpuE7ELNS1_3repE0EEENS1_30default_config_static_selectorELNS0_4arch9wavefront6targetE0EEEvT1_,@function
_ZN7rocprim17ROCPRIM_400000_NS6detail17trampoline_kernelINS0_14default_configENS1_25transform_config_selectorIjLb0EEEZNS1_14transform_implILb0ES3_S5_N6thrust23THRUST_200600_302600_NS6detail15normal_iteratorINS8_10device_ptrIjEEEEPjNS0_8identityIjEEEE10hipError_tT2_T3_mT4_P12ihipStream_tbEUlT_E_NS1_11comp_targetILNS1_3genE3ELNS1_11target_archE908ELNS1_3gpuE7ELNS1_3repE0EEENS1_30default_config_static_selectorELNS0_4arch9wavefront6targetE0EEEvT1_: ; @_ZN7rocprim17ROCPRIM_400000_NS6detail17trampoline_kernelINS0_14default_configENS1_25transform_config_selectorIjLb0EEEZNS1_14transform_implILb0ES3_S5_N6thrust23THRUST_200600_302600_NS6detail15normal_iteratorINS8_10device_ptrIjEEEEPjNS0_8identityIjEEEE10hipError_tT2_T3_mT4_P12ihipStream_tbEUlT_E_NS1_11comp_targetILNS1_3genE3ELNS1_11target_archE908ELNS1_3gpuE7ELNS1_3repE0EEENS1_30default_config_static_selectorELNS0_4arch9wavefront6targetE0EEEvT1_
; %bb.0:
	.section	.rodata,"a",@progbits
	.p2align	6, 0x0
	.amdhsa_kernel _ZN7rocprim17ROCPRIM_400000_NS6detail17trampoline_kernelINS0_14default_configENS1_25transform_config_selectorIjLb0EEEZNS1_14transform_implILb0ES3_S5_N6thrust23THRUST_200600_302600_NS6detail15normal_iteratorINS8_10device_ptrIjEEEEPjNS0_8identityIjEEEE10hipError_tT2_T3_mT4_P12ihipStream_tbEUlT_E_NS1_11comp_targetILNS1_3genE3ELNS1_11target_archE908ELNS1_3gpuE7ELNS1_3repE0EEENS1_30default_config_static_selectorELNS0_4arch9wavefront6targetE0EEEvT1_
		.amdhsa_group_segment_fixed_size 0
		.amdhsa_private_segment_fixed_size 0
		.amdhsa_kernarg_size 40
		.amdhsa_user_sgpr_count 2
		.amdhsa_user_sgpr_dispatch_ptr 0
		.amdhsa_user_sgpr_queue_ptr 0
		.amdhsa_user_sgpr_kernarg_segment_ptr 1
		.amdhsa_user_sgpr_dispatch_id 0
		.amdhsa_user_sgpr_private_segment_size 0
		.amdhsa_wavefront_size32 1
		.amdhsa_uses_dynamic_stack 0
		.amdhsa_enable_private_segment 0
		.amdhsa_system_sgpr_workgroup_id_x 1
		.amdhsa_system_sgpr_workgroup_id_y 0
		.amdhsa_system_sgpr_workgroup_id_z 0
		.amdhsa_system_sgpr_workgroup_info 0
		.amdhsa_system_vgpr_workitem_id 0
		.amdhsa_next_free_vgpr 1
		.amdhsa_next_free_sgpr 1
		.amdhsa_reserve_vcc 0
		.amdhsa_float_round_mode_32 0
		.amdhsa_float_round_mode_16_64 0
		.amdhsa_float_denorm_mode_32 3
		.amdhsa_float_denorm_mode_16_64 3
		.amdhsa_fp16_overflow 0
		.amdhsa_workgroup_processor_mode 1
		.amdhsa_memory_ordered 1
		.amdhsa_forward_progress 1
		.amdhsa_inst_pref_size 0
		.amdhsa_round_robin_scheduling 0
		.amdhsa_exception_fp_ieee_invalid_op 0
		.amdhsa_exception_fp_denorm_src 0
		.amdhsa_exception_fp_ieee_div_zero 0
		.amdhsa_exception_fp_ieee_overflow 0
		.amdhsa_exception_fp_ieee_underflow 0
		.amdhsa_exception_fp_ieee_inexact 0
		.amdhsa_exception_int_div_zero 0
	.end_amdhsa_kernel
	.section	.text._ZN7rocprim17ROCPRIM_400000_NS6detail17trampoline_kernelINS0_14default_configENS1_25transform_config_selectorIjLb0EEEZNS1_14transform_implILb0ES3_S5_N6thrust23THRUST_200600_302600_NS6detail15normal_iteratorINS8_10device_ptrIjEEEEPjNS0_8identityIjEEEE10hipError_tT2_T3_mT4_P12ihipStream_tbEUlT_E_NS1_11comp_targetILNS1_3genE3ELNS1_11target_archE908ELNS1_3gpuE7ELNS1_3repE0EEENS1_30default_config_static_selectorELNS0_4arch9wavefront6targetE0EEEvT1_,"axG",@progbits,_ZN7rocprim17ROCPRIM_400000_NS6detail17trampoline_kernelINS0_14default_configENS1_25transform_config_selectorIjLb0EEEZNS1_14transform_implILb0ES3_S5_N6thrust23THRUST_200600_302600_NS6detail15normal_iteratorINS8_10device_ptrIjEEEEPjNS0_8identityIjEEEE10hipError_tT2_T3_mT4_P12ihipStream_tbEUlT_E_NS1_11comp_targetILNS1_3genE3ELNS1_11target_archE908ELNS1_3gpuE7ELNS1_3repE0EEENS1_30default_config_static_selectorELNS0_4arch9wavefront6targetE0EEEvT1_,comdat
.Lfunc_end160:
	.size	_ZN7rocprim17ROCPRIM_400000_NS6detail17trampoline_kernelINS0_14default_configENS1_25transform_config_selectorIjLb0EEEZNS1_14transform_implILb0ES3_S5_N6thrust23THRUST_200600_302600_NS6detail15normal_iteratorINS8_10device_ptrIjEEEEPjNS0_8identityIjEEEE10hipError_tT2_T3_mT4_P12ihipStream_tbEUlT_E_NS1_11comp_targetILNS1_3genE3ELNS1_11target_archE908ELNS1_3gpuE7ELNS1_3repE0EEENS1_30default_config_static_selectorELNS0_4arch9wavefront6targetE0EEEvT1_, .Lfunc_end160-_ZN7rocprim17ROCPRIM_400000_NS6detail17trampoline_kernelINS0_14default_configENS1_25transform_config_selectorIjLb0EEEZNS1_14transform_implILb0ES3_S5_N6thrust23THRUST_200600_302600_NS6detail15normal_iteratorINS8_10device_ptrIjEEEEPjNS0_8identityIjEEEE10hipError_tT2_T3_mT4_P12ihipStream_tbEUlT_E_NS1_11comp_targetILNS1_3genE3ELNS1_11target_archE908ELNS1_3gpuE7ELNS1_3repE0EEENS1_30default_config_static_selectorELNS0_4arch9wavefront6targetE0EEEvT1_
                                        ; -- End function
	.set _ZN7rocprim17ROCPRIM_400000_NS6detail17trampoline_kernelINS0_14default_configENS1_25transform_config_selectorIjLb0EEEZNS1_14transform_implILb0ES3_S5_N6thrust23THRUST_200600_302600_NS6detail15normal_iteratorINS8_10device_ptrIjEEEEPjNS0_8identityIjEEEE10hipError_tT2_T3_mT4_P12ihipStream_tbEUlT_E_NS1_11comp_targetILNS1_3genE3ELNS1_11target_archE908ELNS1_3gpuE7ELNS1_3repE0EEENS1_30default_config_static_selectorELNS0_4arch9wavefront6targetE0EEEvT1_.num_vgpr, 0
	.set _ZN7rocprim17ROCPRIM_400000_NS6detail17trampoline_kernelINS0_14default_configENS1_25transform_config_selectorIjLb0EEEZNS1_14transform_implILb0ES3_S5_N6thrust23THRUST_200600_302600_NS6detail15normal_iteratorINS8_10device_ptrIjEEEEPjNS0_8identityIjEEEE10hipError_tT2_T3_mT4_P12ihipStream_tbEUlT_E_NS1_11comp_targetILNS1_3genE3ELNS1_11target_archE908ELNS1_3gpuE7ELNS1_3repE0EEENS1_30default_config_static_selectorELNS0_4arch9wavefront6targetE0EEEvT1_.num_agpr, 0
	.set _ZN7rocprim17ROCPRIM_400000_NS6detail17trampoline_kernelINS0_14default_configENS1_25transform_config_selectorIjLb0EEEZNS1_14transform_implILb0ES3_S5_N6thrust23THRUST_200600_302600_NS6detail15normal_iteratorINS8_10device_ptrIjEEEEPjNS0_8identityIjEEEE10hipError_tT2_T3_mT4_P12ihipStream_tbEUlT_E_NS1_11comp_targetILNS1_3genE3ELNS1_11target_archE908ELNS1_3gpuE7ELNS1_3repE0EEENS1_30default_config_static_selectorELNS0_4arch9wavefront6targetE0EEEvT1_.numbered_sgpr, 0
	.set _ZN7rocprim17ROCPRIM_400000_NS6detail17trampoline_kernelINS0_14default_configENS1_25transform_config_selectorIjLb0EEEZNS1_14transform_implILb0ES3_S5_N6thrust23THRUST_200600_302600_NS6detail15normal_iteratorINS8_10device_ptrIjEEEEPjNS0_8identityIjEEEE10hipError_tT2_T3_mT4_P12ihipStream_tbEUlT_E_NS1_11comp_targetILNS1_3genE3ELNS1_11target_archE908ELNS1_3gpuE7ELNS1_3repE0EEENS1_30default_config_static_selectorELNS0_4arch9wavefront6targetE0EEEvT1_.num_named_barrier, 0
	.set _ZN7rocprim17ROCPRIM_400000_NS6detail17trampoline_kernelINS0_14default_configENS1_25transform_config_selectorIjLb0EEEZNS1_14transform_implILb0ES3_S5_N6thrust23THRUST_200600_302600_NS6detail15normal_iteratorINS8_10device_ptrIjEEEEPjNS0_8identityIjEEEE10hipError_tT2_T3_mT4_P12ihipStream_tbEUlT_E_NS1_11comp_targetILNS1_3genE3ELNS1_11target_archE908ELNS1_3gpuE7ELNS1_3repE0EEENS1_30default_config_static_selectorELNS0_4arch9wavefront6targetE0EEEvT1_.private_seg_size, 0
	.set _ZN7rocprim17ROCPRIM_400000_NS6detail17trampoline_kernelINS0_14default_configENS1_25transform_config_selectorIjLb0EEEZNS1_14transform_implILb0ES3_S5_N6thrust23THRUST_200600_302600_NS6detail15normal_iteratorINS8_10device_ptrIjEEEEPjNS0_8identityIjEEEE10hipError_tT2_T3_mT4_P12ihipStream_tbEUlT_E_NS1_11comp_targetILNS1_3genE3ELNS1_11target_archE908ELNS1_3gpuE7ELNS1_3repE0EEENS1_30default_config_static_selectorELNS0_4arch9wavefront6targetE0EEEvT1_.uses_vcc, 0
	.set _ZN7rocprim17ROCPRIM_400000_NS6detail17trampoline_kernelINS0_14default_configENS1_25transform_config_selectorIjLb0EEEZNS1_14transform_implILb0ES3_S5_N6thrust23THRUST_200600_302600_NS6detail15normal_iteratorINS8_10device_ptrIjEEEEPjNS0_8identityIjEEEE10hipError_tT2_T3_mT4_P12ihipStream_tbEUlT_E_NS1_11comp_targetILNS1_3genE3ELNS1_11target_archE908ELNS1_3gpuE7ELNS1_3repE0EEENS1_30default_config_static_selectorELNS0_4arch9wavefront6targetE0EEEvT1_.uses_flat_scratch, 0
	.set _ZN7rocprim17ROCPRIM_400000_NS6detail17trampoline_kernelINS0_14default_configENS1_25transform_config_selectorIjLb0EEEZNS1_14transform_implILb0ES3_S5_N6thrust23THRUST_200600_302600_NS6detail15normal_iteratorINS8_10device_ptrIjEEEEPjNS0_8identityIjEEEE10hipError_tT2_T3_mT4_P12ihipStream_tbEUlT_E_NS1_11comp_targetILNS1_3genE3ELNS1_11target_archE908ELNS1_3gpuE7ELNS1_3repE0EEENS1_30default_config_static_selectorELNS0_4arch9wavefront6targetE0EEEvT1_.has_dyn_sized_stack, 0
	.set _ZN7rocprim17ROCPRIM_400000_NS6detail17trampoline_kernelINS0_14default_configENS1_25transform_config_selectorIjLb0EEEZNS1_14transform_implILb0ES3_S5_N6thrust23THRUST_200600_302600_NS6detail15normal_iteratorINS8_10device_ptrIjEEEEPjNS0_8identityIjEEEE10hipError_tT2_T3_mT4_P12ihipStream_tbEUlT_E_NS1_11comp_targetILNS1_3genE3ELNS1_11target_archE908ELNS1_3gpuE7ELNS1_3repE0EEENS1_30default_config_static_selectorELNS0_4arch9wavefront6targetE0EEEvT1_.has_recursion, 0
	.set _ZN7rocprim17ROCPRIM_400000_NS6detail17trampoline_kernelINS0_14default_configENS1_25transform_config_selectorIjLb0EEEZNS1_14transform_implILb0ES3_S5_N6thrust23THRUST_200600_302600_NS6detail15normal_iteratorINS8_10device_ptrIjEEEEPjNS0_8identityIjEEEE10hipError_tT2_T3_mT4_P12ihipStream_tbEUlT_E_NS1_11comp_targetILNS1_3genE3ELNS1_11target_archE908ELNS1_3gpuE7ELNS1_3repE0EEENS1_30default_config_static_selectorELNS0_4arch9wavefront6targetE0EEEvT1_.has_indirect_call, 0
	.section	.AMDGPU.csdata,"",@progbits
; Kernel info:
; codeLenInByte = 0
; TotalNumSgprs: 0
; NumVgprs: 0
; ScratchSize: 0
; MemoryBound: 0
; FloatMode: 240
; IeeeMode: 1
; LDSByteSize: 0 bytes/workgroup (compile time only)
; SGPRBlocks: 0
; VGPRBlocks: 0
; NumSGPRsForWavesPerEU: 1
; NumVGPRsForWavesPerEU: 1
; Occupancy: 16
; WaveLimiterHint : 0
; COMPUTE_PGM_RSRC2:SCRATCH_EN: 0
; COMPUTE_PGM_RSRC2:USER_SGPR: 2
; COMPUTE_PGM_RSRC2:TRAP_HANDLER: 0
; COMPUTE_PGM_RSRC2:TGID_X_EN: 1
; COMPUTE_PGM_RSRC2:TGID_Y_EN: 0
; COMPUTE_PGM_RSRC2:TGID_Z_EN: 0
; COMPUTE_PGM_RSRC2:TIDIG_COMP_CNT: 0
	.section	.text._ZN7rocprim17ROCPRIM_400000_NS6detail17trampoline_kernelINS0_14default_configENS1_25transform_config_selectorIjLb0EEEZNS1_14transform_implILb0ES3_S5_N6thrust23THRUST_200600_302600_NS6detail15normal_iteratorINS8_10device_ptrIjEEEEPjNS0_8identityIjEEEE10hipError_tT2_T3_mT4_P12ihipStream_tbEUlT_E_NS1_11comp_targetILNS1_3genE2ELNS1_11target_archE906ELNS1_3gpuE6ELNS1_3repE0EEENS1_30default_config_static_selectorELNS0_4arch9wavefront6targetE0EEEvT1_,"axG",@progbits,_ZN7rocprim17ROCPRIM_400000_NS6detail17trampoline_kernelINS0_14default_configENS1_25transform_config_selectorIjLb0EEEZNS1_14transform_implILb0ES3_S5_N6thrust23THRUST_200600_302600_NS6detail15normal_iteratorINS8_10device_ptrIjEEEEPjNS0_8identityIjEEEE10hipError_tT2_T3_mT4_P12ihipStream_tbEUlT_E_NS1_11comp_targetILNS1_3genE2ELNS1_11target_archE906ELNS1_3gpuE6ELNS1_3repE0EEENS1_30default_config_static_selectorELNS0_4arch9wavefront6targetE0EEEvT1_,comdat
	.protected	_ZN7rocprim17ROCPRIM_400000_NS6detail17trampoline_kernelINS0_14default_configENS1_25transform_config_selectorIjLb0EEEZNS1_14transform_implILb0ES3_S5_N6thrust23THRUST_200600_302600_NS6detail15normal_iteratorINS8_10device_ptrIjEEEEPjNS0_8identityIjEEEE10hipError_tT2_T3_mT4_P12ihipStream_tbEUlT_E_NS1_11comp_targetILNS1_3genE2ELNS1_11target_archE906ELNS1_3gpuE6ELNS1_3repE0EEENS1_30default_config_static_selectorELNS0_4arch9wavefront6targetE0EEEvT1_ ; -- Begin function _ZN7rocprim17ROCPRIM_400000_NS6detail17trampoline_kernelINS0_14default_configENS1_25transform_config_selectorIjLb0EEEZNS1_14transform_implILb0ES3_S5_N6thrust23THRUST_200600_302600_NS6detail15normal_iteratorINS8_10device_ptrIjEEEEPjNS0_8identityIjEEEE10hipError_tT2_T3_mT4_P12ihipStream_tbEUlT_E_NS1_11comp_targetILNS1_3genE2ELNS1_11target_archE906ELNS1_3gpuE6ELNS1_3repE0EEENS1_30default_config_static_selectorELNS0_4arch9wavefront6targetE0EEEvT1_
	.globl	_ZN7rocprim17ROCPRIM_400000_NS6detail17trampoline_kernelINS0_14default_configENS1_25transform_config_selectorIjLb0EEEZNS1_14transform_implILb0ES3_S5_N6thrust23THRUST_200600_302600_NS6detail15normal_iteratorINS8_10device_ptrIjEEEEPjNS0_8identityIjEEEE10hipError_tT2_T3_mT4_P12ihipStream_tbEUlT_E_NS1_11comp_targetILNS1_3genE2ELNS1_11target_archE906ELNS1_3gpuE6ELNS1_3repE0EEENS1_30default_config_static_selectorELNS0_4arch9wavefront6targetE0EEEvT1_
	.p2align	8
	.type	_ZN7rocprim17ROCPRIM_400000_NS6detail17trampoline_kernelINS0_14default_configENS1_25transform_config_selectorIjLb0EEEZNS1_14transform_implILb0ES3_S5_N6thrust23THRUST_200600_302600_NS6detail15normal_iteratorINS8_10device_ptrIjEEEEPjNS0_8identityIjEEEE10hipError_tT2_T3_mT4_P12ihipStream_tbEUlT_E_NS1_11comp_targetILNS1_3genE2ELNS1_11target_archE906ELNS1_3gpuE6ELNS1_3repE0EEENS1_30default_config_static_selectorELNS0_4arch9wavefront6targetE0EEEvT1_,@function
_ZN7rocprim17ROCPRIM_400000_NS6detail17trampoline_kernelINS0_14default_configENS1_25transform_config_selectorIjLb0EEEZNS1_14transform_implILb0ES3_S5_N6thrust23THRUST_200600_302600_NS6detail15normal_iteratorINS8_10device_ptrIjEEEEPjNS0_8identityIjEEEE10hipError_tT2_T3_mT4_P12ihipStream_tbEUlT_E_NS1_11comp_targetILNS1_3genE2ELNS1_11target_archE906ELNS1_3gpuE6ELNS1_3repE0EEENS1_30default_config_static_selectorELNS0_4arch9wavefront6targetE0EEEvT1_: ; @_ZN7rocprim17ROCPRIM_400000_NS6detail17trampoline_kernelINS0_14default_configENS1_25transform_config_selectorIjLb0EEEZNS1_14transform_implILb0ES3_S5_N6thrust23THRUST_200600_302600_NS6detail15normal_iteratorINS8_10device_ptrIjEEEEPjNS0_8identityIjEEEE10hipError_tT2_T3_mT4_P12ihipStream_tbEUlT_E_NS1_11comp_targetILNS1_3genE2ELNS1_11target_archE906ELNS1_3gpuE6ELNS1_3repE0EEENS1_30default_config_static_selectorELNS0_4arch9wavefront6targetE0EEEvT1_
; %bb.0:
	.section	.rodata,"a",@progbits
	.p2align	6, 0x0
	.amdhsa_kernel _ZN7rocprim17ROCPRIM_400000_NS6detail17trampoline_kernelINS0_14default_configENS1_25transform_config_selectorIjLb0EEEZNS1_14transform_implILb0ES3_S5_N6thrust23THRUST_200600_302600_NS6detail15normal_iteratorINS8_10device_ptrIjEEEEPjNS0_8identityIjEEEE10hipError_tT2_T3_mT4_P12ihipStream_tbEUlT_E_NS1_11comp_targetILNS1_3genE2ELNS1_11target_archE906ELNS1_3gpuE6ELNS1_3repE0EEENS1_30default_config_static_selectorELNS0_4arch9wavefront6targetE0EEEvT1_
		.amdhsa_group_segment_fixed_size 0
		.amdhsa_private_segment_fixed_size 0
		.amdhsa_kernarg_size 40
		.amdhsa_user_sgpr_count 2
		.amdhsa_user_sgpr_dispatch_ptr 0
		.amdhsa_user_sgpr_queue_ptr 0
		.amdhsa_user_sgpr_kernarg_segment_ptr 1
		.amdhsa_user_sgpr_dispatch_id 0
		.amdhsa_user_sgpr_private_segment_size 0
		.amdhsa_wavefront_size32 1
		.amdhsa_uses_dynamic_stack 0
		.amdhsa_enable_private_segment 0
		.amdhsa_system_sgpr_workgroup_id_x 1
		.amdhsa_system_sgpr_workgroup_id_y 0
		.amdhsa_system_sgpr_workgroup_id_z 0
		.amdhsa_system_sgpr_workgroup_info 0
		.amdhsa_system_vgpr_workitem_id 0
		.amdhsa_next_free_vgpr 1
		.amdhsa_next_free_sgpr 1
		.amdhsa_reserve_vcc 0
		.amdhsa_float_round_mode_32 0
		.amdhsa_float_round_mode_16_64 0
		.amdhsa_float_denorm_mode_32 3
		.amdhsa_float_denorm_mode_16_64 3
		.amdhsa_fp16_overflow 0
		.amdhsa_workgroup_processor_mode 1
		.amdhsa_memory_ordered 1
		.amdhsa_forward_progress 1
		.amdhsa_inst_pref_size 0
		.amdhsa_round_robin_scheduling 0
		.amdhsa_exception_fp_ieee_invalid_op 0
		.amdhsa_exception_fp_denorm_src 0
		.amdhsa_exception_fp_ieee_div_zero 0
		.amdhsa_exception_fp_ieee_overflow 0
		.amdhsa_exception_fp_ieee_underflow 0
		.amdhsa_exception_fp_ieee_inexact 0
		.amdhsa_exception_int_div_zero 0
	.end_amdhsa_kernel
	.section	.text._ZN7rocprim17ROCPRIM_400000_NS6detail17trampoline_kernelINS0_14default_configENS1_25transform_config_selectorIjLb0EEEZNS1_14transform_implILb0ES3_S5_N6thrust23THRUST_200600_302600_NS6detail15normal_iteratorINS8_10device_ptrIjEEEEPjNS0_8identityIjEEEE10hipError_tT2_T3_mT4_P12ihipStream_tbEUlT_E_NS1_11comp_targetILNS1_3genE2ELNS1_11target_archE906ELNS1_3gpuE6ELNS1_3repE0EEENS1_30default_config_static_selectorELNS0_4arch9wavefront6targetE0EEEvT1_,"axG",@progbits,_ZN7rocprim17ROCPRIM_400000_NS6detail17trampoline_kernelINS0_14default_configENS1_25transform_config_selectorIjLb0EEEZNS1_14transform_implILb0ES3_S5_N6thrust23THRUST_200600_302600_NS6detail15normal_iteratorINS8_10device_ptrIjEEEEPjNS0_8identityIjEEEE10hipError_tT2_T3_mT4_P12ihipStream_tbEUlT_E_NS1_11comp_targetILNS1_3genE2ELNS1_11target_archE906ELNS1_3gpuE6ELNS1_3repE0EEENS1_30default_config_static_selectorELNS0_4arch9wavefront6targetE0EEEvT1_,comdat
.Lfunc_end161:
	.size	_ZN7rocprim17ROCPRIM_400000_NS6detail17trampoline_kernelINS0_14default_configENS1_25transform_config_selectorIjLb0EEEZNS1_14transform_implILb0ES3_S5_N6thrust23THRUST_200600_302600_NS6detail15normal_iteratorINS8_10device_ptrIjEEEEPjNS0_8identityIjEEEE10hipError_tT2_T3_mT4_P12ihipStream_tbEUlT_E_NS1_11comp_targetILNS1_3genE2ELNS1_11target_archE906ELNS1_3gpuE6ELNS1_3repE0EEENS1_30default_config_static_selectorELNS0_4arch9wavefront6targetE0EEEvT1_, .Lfunc_end161-_ZN7rocprim17ROCPRIM_400000_NS6detail17trampoline_kernelINS0_14default_configENS1_25transform_config_selectorIjLb0EEEZNS1_14transform_implILb0ES3_S5_N6thrust23THRUST_200600_302600_NS6detail15normal_iteratorINS8_10device_ptrIjEEEEPjNS0_8identityIjEEEE10hipError_tT2_T3_mT4_P12ihipStream_tbEUlT_E_NS1_11comp_targetILNS1_3genE2ELNS1_11target_archE906ELNS1_3gpuE6ELNS1_3repE0EEENS1_30default_config_static_selectorELNS0_4arch9wavefront6targetE0EEEvT1_
                                        ; -- End function
	.set _ZN7rocprim17ROCPRIM_400000_NS6detail17trampoline_kernelINS0_14default_configENS1_25transform_config_selectorIjLb0EEEZNS1_14transform_implILb0ES3_S5_N6thrust23THRUST_200600_302600_NS6detail15normal_iteratorINS8_10device_ptrIjEEEEPjNS0_8identityIjEEEE10hipError_tT2_T3_mT4_P12ihipStream_tbEUlT_E_NS1_11comp_targetILNS1_3genE2ELNS1_11target_archE906ELNS1_3gpuE6ELNS1_3repE0EEENS1_30default_config_static_selectorELNS0_4arch9wavefront6targetE0EEEvT1_.num_vgpr, 0
	.set _ZN7rocprim17ROCPRIM_400000_NS6detail17trampoline_kernelINS0_14default_configENS1_25transform_config_selectorIjLb0EEEZNS1_14transform_implILb0ES3_S5_N6thrust23THRUST_200600_302600_NS6detail15normal_iteratorINS8_10device_ptrIjEEEEPjNS0_8identityIjEEEE10hipError_tT2_T3_mT4_P12ihipStream_tbEUlT_E_NS1_11comp_targetILNS1_3genE2ELNS1_11target_archE906ELNS1_3gpuE6ELNS1_3repE0EEENS1_30default_config_static_selectorELNS0_4arch9wavefront6targetE0EEEvT1_.num_agpr, 0
	.set _ZN7rocprim17ROCPRIM_400000_NS6detail17trampoline_kernelINS0_14default_configENS1_25transform_config_selectorIjLb0EEEZNS1_14transform_implILb0ES3_S5_N6thrust23THRUST_200600_302600_NS6detail15normal_iteratorINS8_10device_ptrIjEEEEPjNS0_8identityIjEEEE10hipError_tT2_T3_mT4_P12ihipStream_tbEUlT_E_NS1_11comp_targetILNS1_3genE2ELNS1_11target_archE906ELNS1_3gpuE6ELNS1_3repE0EEENS1_30default_config_static_selectorELNS0_4arch9wavefront6targetE0EEEvT1_.numbered_sgpr, 0
	.set _ZN7rocprim17ROCPRIM_400000_NS6detail17trampoline_kernelINS0_14default_configENS1_25transform_config_selectorIjLb0EEEZNS1_14transform_implILb0ES3_S5_N6thrust23THRUST_200600_302600_NS6detail15normal_iteratorINS8_10device_ptrIjEEEEPjNS0_8identityIjEEEE10hipError_tT2_T3_mT4_P12ihipStream_tbEUlT_E_NS1_11comp_targetILNS1_3genE2ELNS1_11target_archE906ELNS1_3gpuE6ELNS1_3repE0EEENS1_30default_config_static_selectorELNS0_4arch9wavefront6targetE0EEEvT1_.num_named_barrier, 0
	.set _ZN7rocprim17ROCPRIM_400000_NS6detail17trampoline_kernelINS0_14default_configENS1_25transform_config_selectorIjLb0EEEZNS1_14transform_implILb0ES3_S5_N6thrust23THRUST_200600_302600_NS6detail15normal_iteratorINS8_10device_ptrIjEEEEPjNS0_8identityIjEEEE10hipError_tT2_T3_mT4_P12ihipStream_tbEUlT_E_NS1_11comp_targetILNS1_3genE2ELNS1_11target_archE906ELNS1_3gpuE6ELNS1_3repE0EEENS1_30default_config_static_selectorELNS0_4arch9wavefront6targetE0EEEvT1_.private_seg_size, 0
	.set _ZN7rocprim17ROCPRIM_400000_NS6detail17trampoline_kernelINS0_14default_configENS1_25transform_config_selectorIjLb0EEEZNS1_14transform_implILb0ES3_S5_N6thrust23THRUST_200600_302600_NS6detail15normal_iteratorINS8_10device_ptrIjEEEEPjNS0_8identityIjEEEE10hipError_tT2_T3_mT4_P12ihipStream_tbEUlT_E_NS1_11comp_targetILNS1_3genE2ELNS1_11target_archE906ELNS1_3gpuE6ELNS1_3repE0EEENS1_30default_config_static_selectorELNS0_4arch9wavefront6targetE0EEEvT1_.uses_vcc, 0
	.set _ZN7rocprim17ROCPRIM_400000_NS6detail17trampoline_kernelINS0_14default_configENS1_25transform_config_selectorIjLb0EEEZNS1_14transform_implILb0ES3_S5_N6thrust23THRUST_200600_302600_NS6detail15normal_iteratorINS8_10device_ptrIjEEEEPjNS0_8identityIjEEEE10hipError_tT2_T3_mT4_P12ihipStream_tbEUlT_E_NS1_11comp_targetILNS1_3genE2ELNS1_11target_archE906ELNS1_3gpuE6ELNS1_3repE0EEENS1_30default_config_static_selectorELNS0_4arch9wavefront6targetE0EEEvT1_.uses_flat_scratch, 0
	.set _ZN7rocprim17ROCPRIM_400000_NS6detail17trampoline_kernelINS0_14default_configENS1_25transform_config_selectorIjLb0EEEZNS1_14transform_implILb0ES3_S5_N6thrust23THRUST_200600_302600_NS6detail15normal_iteratorINS8_10device_ptrIjEEEEPjNS0_8identityIjEEEE10hipError_tT2_T3_mT4_P12ihipStream_tbEUlT_E_NS1_11comp_targetILNS1_3genE2ELNS1_11target_archE906ELNS1_3gpuE6ELNS1_3repE0EEENS1_30default_config_static_selectorELNS0_4arch9wavefront6targetE0EEEvT1_.has_dyn_sized_stack, 0
	.set _ZN7rocprim17ROCPRIM_400000_NS6detail17trampoline_kernelINS0_14default_configENS1_25transform_config_selectorIjLb0EEEZNS1_14transform_implILb0ES3_S5_N6thrust23THRUST_200600_302600_NS6detail15normal_iteratorINS8_10device_ptrIjEEEEPjNS0_8identityIjEEEE10hipError_tT2_T3_mT4_P12ihipStream_tbEUlT_E_NS1_11comp_targetILNS1_3genE2ELNS1_11target_archE906ELNS1_3gpuE6ELNS1_3repE0EEENS1_30default_config_static_selectorELNS0_4arch9wavefront6targetE0EEEvT1_.has_recursion, 0
	.set _ZN7rocprim17ROCPRIM_400000_NS6detail17trampoline_kernelINS0_14default_configENS1_25transform_config_selectorIjLb0EEEZNS1_14transform_implILb0ES3_S5_N6thrust23THRUST_200600_302600_NS6detail15normal_iteratorINS8_10device_ptrIjEEEEPjNS0_8identityIjEEEE10hipError_tT2_T3_mT4_P12ihipStream_tbEUlT_E_NS1_11comp_targetILNS1_3genE2ELNS1_11target_archE906ELNS1_3gpuE6ELNS1_3repE0EEENS1_30default_config_static_selectorELNS0_4arch9wavefront6targetE0EEEvT1_.has_indirect_call, 0
	.section	.AMDGPU.csdata,"",@progbits
; Kernel info:
; codeLenInByte = 0
; TotalNumSgprs: 0
; NumVgprs: 0
; ScratchSize: 0
; MemoryBound: 0
; FloatMode: 240
; IeeeMode: 1
; LDSByteSize: 0 bytes/workgroup (compile time only)
; SGPRBlocks: 0
; VGPRBlocks: 0
; NumSGPRsForWavesPerEU: 1
; NumVGPRsForWavesPerEU: 1
; Occupancy: 16
; WaveLimiterHint : 0
; COMPUTE_PGM_RSRC2:SCRATCH_EN: 0
; COMPUTE_PGM_RSRC2:USER_SGPR: 2
; COMPUTE_PGM_RSRC2:TRAP_HANDLER: 0
; COMPUTE_PGM_RSRC2:TGID_X_EN: 1
; COMPUTE_PGM_RSRC2:TGID_Y_EN: 0
; COMPUTE_PGM_RSRC2:TGID_Z_EN: 0
; COMPUTE_PGM_RSRC2:TIDIG_COMP_CNT: 0
	.section	.text._ZN7rocprim17ROCPRIM_400000_NS6detail17trampoline_kernelINS0_14default_configENS1_25transform_config_selectorIjLb0EEEZNS1_14transform_implILb0ES3_S5_N6thrust23THRUST_200600_302600_NS6detail15normal_iteratorINS8_10device_ptrIjEEEEPjNS0_8identityIjEEEE10hipError_tT2_T3_mT4_P12ihipStream_tbEUlT_E_NS1_11comp_targetILNS1_3genE10ELNS1_11target_archE1201ELNS1_3gpuE5ELNS1_3repE0EEENS1_30default_config_static_selectorELNS0_4arch9wavefront6targetE0EEEvT1_,"axG",@progbits,_ZN7rocprim17ROCPRIM_400000_NS6detail17trampoline_kernelINS0_14default_configENS1_25transform_config_selectorIjLb0EEEZNS1_14transform_implILb0ES3_S5_N6thrust23THRUST_200600_302600_NS6detail15normal_iteratorINS8_10device_ptrIjEEEEPjNS0_8identityIjEEEE10hipError_tT2_T3_mT4_P12ihipStream_tbEUlT_E_NS1_11comp_targetILNS1_3genE10ELNS1_11target_archE1201ELNS1_3gpuE5ELNS1_3repE0EEENS1_30default_config_static_selectorELNS0_4arch9wavefront6targetE0EEEvT1_,comdat
	.protected	_ZN7rocprim17ROCPRIM_400000_NS6detail17trampoline_kernelINS0_14default_configENS1_25transform_config_selectorIjLb0EEEZNS1_14transform_implILb0ES3_S5_N6thrust23THRUST_200600_302600_NS6detail15normal_iteratorINS8_10device_ptrIjEEEEPjNS0_8identityIjEEEE10hipError_tT2_T3_mT4_P12ihipStream_tbEUlT_E_NS1_11comp_targetILNS1_3genE10ELNS1_11target_archE1201ELNS1_3gpuE5ELNS1_3repE0EEENS1_30default_config_static_selectorELNS0_4arch9wavefront6targetE0EEEvT1_ ; -- Begin function _ZN7rocprim17ROCPRIM_400000_NS6detail17trampoline_kernelINS0_14default_configENS1_25transform_config_selectorIjLb0EEEZNS1_14transform_implILb0ES3_S5_N6thrust23THRUST_200600_302600_NS6detail15normal_iteratorINS8_10device_ptrIjEEEEPjNS0_8identityIjEEEE10hipError_tT2_T3_mT4_P12ihipStream_tbEUlT_E_NS1_11comp_targetILNS1_3genE10ELNS1_11target_archE1201ELNS1_3gpuE5ELNS1_3repE0EEENS1_30default_config_static_selectorELNS0_4arch9wavefront6targetE0EEEvT1_
	.globl	_ZN7rocprim17ROCPRIM_400000_NS6detail17trampoline_kernelINS0_14default_configENS1_25transform_config_selectorIjLb0EEEZNS1_14transform_implILb0ES3_S5_N6thrust23THRUST_200600_302600_NS6detail15normal_iteratorINS8_10device_ptrIjEEEEPjNS0_8identityIjEEEE10hipError_tT2_T3_mT4_P12ihipStream_tbEUlT_E_NS1_11comp_targetILNS1_3genE10ELNS1_11target_archE1201ELNS1_3gpuE5ELNS1_3repE0EEENS1_30default_config_static_selectorELNS0_4arch9wavefront6targetE0EEEvT1_
	.p2align	8
	.type	_ZN7rocprim17ROCPRIM_400000_NS6detail17trampoline_kernelINS0_14default_configENS1_25transform_config_selectorIjLb0EEEZNS1_14transform_implILb0ES3_S5_N6thrust23THRUST_200600_302600_NS6detail15normal_iteratorINS8_10device_ptrIjEEEEPjNS0_8identityIjEEEE10hipError_tT2_T3_mT4_P12ihipStream_tbEUlT_E_NS1_11comp_targetILNS1_3genE10ELNS1_11target_archE1201ELNS1_3gpuE5ELNS1_3repE0EEENS1_30default_config_static_selectorELNS0_4arch9wavefront6targetE0EEEvT1_,@function
_ZN7rocprim17ROCPRIM_400000_NS6detail17trampoline_kernelINS0_14default_configENS1_25transform_config_selectorIjLb0EEEZNS1_14transform_implILb0ES3_S5_N6thrust23THRUST_200600_302600_NS6detail15normal_iteratorINS8_10device_ptrIjEEEEPjNS0_8identityIjEEEE10hipError_tT2_T3_mT4_P12ihipStream_tbEUlT_E_NS1_11comp_targetILNS1_3genE10ELNS1_11target_archE1201ELNS1_3gpuE5ELNS1_3repE0EEENS1_30default_config_static_selectorELNS0_4arch9wavefront6targetE0EEEvT1_: ; @_ZN7rocprim17ROCPRIM_400000_NS6detail17trampoline_kernelINS0_14default_configENS1_25transform_config_selectorIjLb0EEEZNS1_14transform_implILb0ES3_S5_N6thrust23THRUST_200600_302600_NS6detail15normal_iteratorINS8_10device_ptrIjEEEEPjNS0_8identityIjEEEE10hipError_tT2_T3_mT4_P12ihipStream_tbEUlT_E_NS1_11comp_targetILNS1_3genE10ELNS1_11target_archE1201ELNS1_3gpuE5ELNS1_3repE0EEENS1_30default_config_static_selectorELNS0_4arch9wavefront6targetE0EEEvT1_
; %bb.0:
	s_clause 0x1
	s_load_b256 s[4:11], s[0:1], 0x0
	s_load_b32 s1, s[0:1], 0x28
	s_lshl_b32 s12, ttmp9, 12
	s_mov_b32 s13, 0
	v_lshlrev_b32_e32 v7, 2, v0
	s_mov_b32 s0, -1
	s_wait_kmcnt 0x0
	s_lshl_b64 s[2:3], s[6:7], 2
	s_add_co_i32 s1, s1, -1
	s_add_nc_u64 s[14:15], s[4:5], s[2:3]
	s_lshl_b64 s[6:7], s[12:13], 2
	s_add_nc_u64 s[4:5], s[10:11], s[2:3]
	s_cmp_lg_u32 ttmp9, s1
	s_add_nc_u64 s[10:11], s[14:15], s[6:7]
	s_cbranch_scc0 .LBB162_2
; %bb.1:
	v_add_co_u32 v1, s0, s10, v7
	s_delay_alu instid0(VALU_DEP_1) | instskip(SKIP_1) | instid1(SALU_CYCLE_1)
	v_add_co_ci_u32_e64 v2, null, s11, 0, s0
	s_add_nc_u64 s[2:3], s[4:5], s[6:7]
	v_add_co_u32 v5, s1, s2, v7
	s_clause 0x3
	flat_load_b32 v3, v[1:2]
	flat_load_b32 v4, v[1:2] offset:4096
	flat_load_b32 v8, v[1:2] offset:8192
	;; [unrolled: 1-line block ×3, first 2 shown]
	s_wait_alu 0xf1ff
	v_add_co_ci_u32_e64 v6, null, s3, 0, s1
	s_mov_b32 s13, -1
	s_wait_loadcnt_dscnt 0x303
	global_store_b32 v7, v3, s[2:3]
	s_wait_loadcnt_dscnt 0x202
	global_store_b32 v7, v4, s[2:3] offset:4096
	s_wait_loadcnt_dscnt 0x101
	global_store_b32 v7, v8, s[2:3] offset:8192
	s_cbranch_execz .LBB162_3
	s_branch .LBB162_17
.LBB162_2:
                                        ; implicit-def: $vgpr1
                                        ; implicit-def: $vgpr5_vgpr6
	s_and_not1_b32 vcc_lo, exec_lo, s0
	s_cbranch_vccnz .LBB162_17
.LBB162_3:
	s_wait_loadcnt_dscnt 0x0
	v_mov_b32_e32 v1, 0
	s_sub_co_i32 s3, s8, s12
	s_wait_alu 0xfffe
	v_cmp_gt_u32_e32 vcc_lo, s3, v0
	s_delay_alu instid0(VALU_DEP_2)
	v_dual_mov_b32 v2, v1 :: v_dual_mov_b32 v3, v1
	v_mov_b32_e32 v4, v1
	s_and_saveexec_b32 s0, vcc_lo
	s_cbranch_execz .LBB162_5
; %bb.4:
	v_add_co_u32 v2, s1, s10, v7
	s_wait_alu 0xf1ff
	v_add_co_ci_u32_e64 v3, null, s11, 0, s1
	v_dual_mov_b32 v5, v1 :: v_dual_mov_b32 v4, v1
	flat_load_b32 v2, v[2:3]
	v_mov_b32_e32 v3, v1
	s_wait_loadcnt_dscnt 0x0
	v_mov_b32_e32 v1, v2
	s_delay_alu instid0(VALU_DEP_2)
	v_mov_b32_e32 v2, v3
	v_mov_b32_e32 v3, v4
	v_mov_b32_e32 v4, v5
.LBB162_5:
	s_wait_alu 0xfffe
	s_or_b32 exec_lo, exec_lo, s0
	v_or_b32_e32 v5, 0x400, v0
	s_delay_alu instid0(VALU_DEP_1)
	v_cmp_gt_u32_e64 s0, s3, v5
	s_and_saveexec_b32 s1, s0
	s_cbranch_execz .LBB162_7
; %bb.6:
	v_add_co_u32 v5, s2, s10, v7
	s_wait_alu 0xf1ff
	v_add_co_ci_u32_e64 v6, null, s11, 0, s2
	flat_load_b32 v2, v[5:6] offset:4096
.LBB162_7:
	s_wait_alu 0xfffe
	s_or_b32 exec_lo, exec_lo, s1
	v_or_b32_e32 v5, 0x800, v0
	s_delay_alu instid0(VALU_DEP_1)
	v_cmp_gt_u32_e64 s1, s3, v5
	s_and_saveexec_b32 s2, s1
	s_cbranch_execz .LBB162_9
; %bb.8:
	v_add_co_u32 v5, s8, s10, v7
	s_delay_alu instid0(VALU_DEP_1)
	v_add_co_ci_u32_e64 v6, null, s11, 0, s8
	flat_load_b32 v3, v[5:6] offset:8192
.LBB162_9:
	s_wait_alu 0xfffe
	s_or_b32 exec_lo, exec_lo, s2
	v_or_b32_e32 v5, 0xc00, v0
	s_delay_alu instid0(VALU_DEP_1)
	v_cmp_gt_u32_e64 s2, s3, v5
	v_cmp_le_u32_e64 s3, s3, v5
	s_and_saveexec_b32 s8, s3
	s_wait_alu 0xfffe
	s_xor_b32 s3, exec_lo, s8
	s_wait_alu 0xfffe
	s_and_not1_saveexec_b32 s3, s3
	s_cbranch_execz .LBB162_11
; %bb.10:
	v_lshlrev_b32_e32 v4, 2, v0
	s_delay_alu instid0(VALU_DEP_1)
	v_add_co_u32 v4, s8, s10, v4
	s_wait_alu 0xf1ff
	v_add_co_ci_u32_e64 v5, null, s11, 0, s8
	flat_load_b32 v4, v[4:5] offset:12288
.LBB162_11:
	s_wait_alu 0xfffe
	s_or_b32 exec_lo, exec_lo, s3
	v_dual_cndmask_b32 v0, 0, v1 :: v_dual_lshlrev_b32 v5, 2, v0
	s_add_nc_u64 s[4:5], s[4:5], s[6:7]
	s_delay_alu instid0(VALU_DEP_1) | instid1(SALU_CYCLE_1)
	v_add_co_u32 v5, s3, s4, v5
	s_wait_alu 0xf1ff
	v_add_co_ci_u32_e64 v6, null, s5, 0, s3
	s_and_saveexec_b32 s3, vcc_lo
	s_cbranch_execnz .LBB162_20
; %bb.12:
	s_wait_alu 0xfffe
	s_or_b32 exec_lo, exec_lo, s3
	s_wait_loadcnt_dscnt 0x0
	v_cndmask_b32_e64 v0, 0, v2, s0
	s_and_saveexec_b32 s3, s0
	s_cbranch_execnz .LBB162_21
.LBB162_13:
	s_wait_alu 0xfffe
	s_or_b32 exec_lo, exec_lo, s3
	s_and_saveexec_b32 s0, s1
	s_cbranch_execnz .LBB162_22
.LBB162_14:
	s_wait_alu 0xfffe
	s_or_b32 exec_lo, exec_lo, s0
                                        ; implicit-def: $vgpr1
	s_and_saveexec_b32 s0, s2
.LBB162_15:
	v_cndmask_b32_e64 v1, 0, v4, s2
	s_or_b32 s13, s13, exec_lo
.LBB162_16:
	s_wait_alu 0xfffe
	s_or_b32 exec_lo, exec_lo, s0
.LBB162_17:
	s_and_saveexec_b32 s0, s13
	s_cbranch_execnz .LBB162_19
; %bb.18:
	s_endpgm
.LBB162_19:
	s_wait_loadcnt_dscnt 0x0
	global_store_b32 v[5:6], v1, off offset:12288
	s_endpgm
.LBB162_20:
	global_store_b32 v[5:6], v0, off
	s_wait_alu 0xfffe
	s_or_b32 exec_lo, exec_lo, s3
	s_wait_loadcnt_dscnt 0x0
	v_cndmask_b32_e64 v0, 0, v2, s0
	s_and_saveexec_b32 s3, s0
	s_cbranch_execz .LBB162_13
.LBB162_21:
	global_store_b32 v[5:6], v0, off offset:4096
	s_wait_alu 0xfffe
	s_or_b32 exec_lo, exec_lo, s3
	s_and_saveexec_b32 s0, s1
	s_cbranch_execz .LBB162_14
.LBB162_22:
	v_cndmask_b32_e64 v0, 0, v3, s1
	global_store_b32 v[5:6], v0, off offset:8192
	s_wait_alu 0xfffe
	s_or_b32 exec_lo, exec_lo, s0
                                        ; implicit-def: $vgpr1
	s_and_saveexec_b32 s0, s2
	s_cbranch_execnz .LBB162_15
	s_branch .LBB162_16
	.section	.rodata,"a",@progbits
	.p2align	6, 0x0
	.amdhsa_kernel _ZN7rocprim17ROCPRIM_400000_NS6detail17trampoline_kernelINS0_14default_configENS1_25transform_config_selectorIjLb0EEEZNS1_14transform_implILb0ES3_S5_N6thrust23THRUST_200600_302600_NS6detail15normal_iteratorINS8_10device_ptrIjEEEEPjNS0_8identityIjEEEE10hipError_tT2_T3_mT4_P12ihipStream_tbEUlT_E_NS1_11comp_targetILNS1_3genE10ELNS1_11target_archE1201ELNS1_3gpuE5ELNS1_3repE0EEENS1_30default_config_static_selectorELNS0_4arch9wavefront6targetE0EEEvT1_
		.amdhsa_group_segment_fixed_size 0
		.amdhsa_private_segment_fixed_size 0
		.amdhsa_kernarg_size 296
		.amdhsa_user_sgpr_count 2
		.amdhsa_user_sgpr_dispatch_ptr 0
		.amdhsa_user_sgpr_queue_ptr 0
		.amdhsa_user_sgpr_kernarg_segment_ptr 1
		.amdhsa_user_sgpr_dispatch_id 0
		.amdhsa_user_sgpr_private_segment_size 0
		.amdhsa_wavefront_size32 1
		.amdhsa_uses_dynamic_stack 0
		.amdhsa_enable_private_segment 0
		.amdhsa_system_sgpr_workgroup_id_x 1
		.amdhsa_system_sgpr_workgroup_id_y 0
		.amdhsa_system_sgpr_workgroup_id_z 0
		.amdhsa_system_sgpr_workgroup_info 0
		.amdhsa_system_vgpr_workitem_id 0
		.amdhsa_next_free_vgpr 9
		.amdhsa_next_free_sgpr 16
		.amdhsa_reserve_vcc 1
		.amdhsa_float_round_mode_32 0
		.amdhsa_float_round_mode_16_64 0
		.amdhsa_float_denorm_mode_32 3
		.amdhsa_float_denorm_mode_16_64 3
		.amdhsa_fp16_overflow 0
		.amdhsa_workgroup_processor_mode 1
		.amdhsa_memory_ordered 1
		.amdhsa_forward_progress 1
		.amdhsa_inst_pref_size 7
		.amdhsa_round_robin_scheduling 0
		.amdhsa_exception_fp_ieee_invalid_op 0
		.amdhsa_exception_fp_denorm_src 0
		.amdhsa_exception_fp_ieee_div_zero 0
		.amdhsa_exception_fp_ieee_overflow 0
		.amdhsa_exception_fp_ieee_underflow 0
		.amdhsa_exception_fp_ieee_inexact 0
		.amdhsa_exception_int_div_zero 0
	.end_amdhsa_kernel
	.section	.text._ZN7rocprim17ROCPRIM_400000_NS6detail17trampoline_kernelINS0_14default_configENS1_25transform_config_selectorIjLb0EEEZNS1_14transform_implILb0ES3_S5_N6thrust23THRUST_200600_302600_NS6detail15normal_iteratorINS8_10device_ptrIjEEEEPjNS0_8identityIjEEEE10hipError_tT2_T3_mT4_P12ihipStream_tbEUlT_E_NS1_11comp_targetILNS1_3genE10ELNS1_11target_archE1201ELNS1_3gpuE5ELNS1_3repE0EEENS1_30default_config_static_selectorELNS0_4arch9wavefront6targetE0EEEvT1_,"axG",@progbits,_ZN7rocprim17ROCPRIM_400000_NS6detail17trampoline_kernelINS0_14default_configENS1_25transform_config_selectorIjLb0EEEZNS1_14transform_implILb0ES3_S5_N6thrust23THRUST_200600_302600_NS6detail15normal_iteratorINS8_10device_ptrIjEEEEPjNS0_8identityIjEEEE10hipError_tT2_T3_mT4_P12ihipStream_tbEUlT_E_NS1_11comp_targetILNS1_3genE10ELNS1_11target_archE1201ELNS1_3gpuE5ELNS1_3repE0EEENS1_30default_config_static_selectorELNS0_4arch9wavefront6targetE0EEEvT1_,comdat
.Lfunc_end162:
	.size	_ZN7rocprim17ROCPRIM_400000_NS6detail17trampoline_kernelINS0_14default_configENS1_25transform_config_selectorIjLb0EEEZNS1_14transform_implILb0ES3_S5_N6thrust23THRUST_200600_302600_NS6detail15normal_iteratorINS8_10device_ptrIjEEEEPjNS0_8identityIjEEEE10hipError_tT2_T3_mT4_P12ihipStream_tbEUlT_E_NS1_11comp_targetILNS1_3genE10ELNS1_11target_archE1201ELNS1_3gpuE5ELNS1_3repE0EEENS1_30default_config_static_selectorELNS0_4arch9wavefront6targetE0EEEvT1_, .Lfunc_end162-_ZN7rocprim17ROCPRIM_400000_NS6detail17trampoline_kernelINS0_14default_configENS1_25transform_config_selectorIjLb0EEEZNS1_14transform_implILb0ES3_S5_N6thrust23THRUST_200600_302600_NS6detail15normal_iteratorINS8_10device_ptrIjEEEEPjNS0_8identityIjEEEE10hipError_tT2_T3_mT4_P12ihipStream_tbEUlT_E_NS1_11comp_targetILNS1_3genE10ELNS1_11target_archE1201ELNS1_3gpuE5ELNS1_3repE0EEENS1_30default_config_static_selectorELNS0_4arch9wavefront6targetE0EEEvT1_
                                        ; -- End function
	.set _ZN7rocprim17ROCPRIM_400000_NS6detail17trampoline_kernelINS0_14default_configENS1_25transform_config_selectorIjLb0EEEZNS1_14transform_implILb0ES3_S5_N6thrust23THRUST_200600_302600_NS6detail15normal_iteratorINS8_10device_ptrIjEEEEPjNS0_8identityIjEEEE10hipError_tT2_T3_mT4_P12ihipStream_tbEUlT_E_NS1_11comp_targetILNS1_3genE10ELNS1_11target_archE1201ELNS1_3gpuE5ELNS1_3repE0EEENS1_30default_config_static_selectorELNS0_4arch9wavefront6targetE0EEEvT1_.num_vgpr, 9
	.set _ZN7rocprim17ROCPRIM_400000_NS6detail17trampoline_kernelINS0_14default_configENS1_25transform_config_selectorIjLb0EEEZNS1_14transform_implILb0ES3_S5_N6thrust23THRUST_200600_302600_NS6detail15normal_iteratorINS8_10device_ptrIjEEEEPjNS0_8identityIjEEEE10hipError_tT2_T3_mT4_P12ihipStream_tbEUlT_E_NS1_11comp_targetILNS1_3genE10ELNS1_11target_archE1201ELNS1_3gpuE5ELNS1_3repE0EEENS1_30default_config_static_selectorELNS0_4arch9wavefront6targetE0EEEvT1_.num_agpr, 0
	.set _ZN7rocprim17ROCPRIM_400000_NS6detail17trampoline_kernelINS0_14default_configENS1_25transform_config_selectorIjLb0EEEZNS1_14transform_implILb0ES3_S5_N6thrust23THRUST_200600_302600_NS6detail15normal_iteratorINS8_10device_ptrIjEEEEPjNS0_8identityIjEEEE10hipError_tT2_T3_mT4_P12ihipStream_tbEUlT_E_NS1_11comp_targetILNS1_3genE10ELNS1_11target_archE1201ELNS1_3gpuE5ELNS1_3repE0EEENS1_30default_config_static_selectorELNS0_4arch9wavefront6targetE0EEEvT1_.numbered_sgpr, 16
	.set _ZN7rocprim17ROCPRIM_400000_NS6detail17trampoline_kernelINS0_14default_configENS1_25transform_config_selectorIjLb0EEEZNS1_14transform_implILb0ES3_S5_N6thrust23THRUST_200600_302600_NS6detail15normal_iteratorINS8_10device_ptrIjEEEEPjNS0_8identityIjEEEE10hipError_tT2_T3_mT4_P12ihipStream_tbEUlT_E_NS1_11comp_targetILNS1_3genE10ELNS1_11target_archE1201ELNS1_3gpuE5ELNS1_3repE0EEENS1_30default_config_static_selectorELNS0_4arch9wavefront6targetE0EEEvT1_.num_named_barrier, 0
	.set _ZN7rocprim17ROCPRIM_400000_NS6detail17trampoline_kernelINS0_14default_configENS1_25transform_config_selectorIjLb0EEEZNS1_14transform_implILb0ES3_S5_N6thrust23THRUST_200600_302600_NS6detail15normal_iteratorINS8_10device_ptrIjEEEEPjNS0_8identityIjEEEE10hipError_tT2_T3_mT4_P12ihipStream_tbEUlT_E_NS1_11comp_targetILNS1_3genE10ELNS1_11target_archE1201ELNS1_3gpuE5ELNS1_3repE0EEENS1_30default_config_static_selectorELNS0_4arch9wavefront6targetE0EEEvT1_.private_seg_size, 0
	.set _ZN7rocprim17ROCPRIM_400000_NS6detail17trampoline_kernelINS0_14default_configENS1_25transform_config_selectorIjLb0EEEZNS1_14transform_implILb0ES3_S5_N6thrust23THRUST_200600_302600_NS6detail15normal_iteratorINS8_10device_ptrIjEEEEPjNS0_8identityIjEEEE10hipError_tT2_T3_mT4_P12ihipStream_tbEUlT_E_NS1_11comp_targetILNS1_3genE10ELNS1_11target_archE1201ELNS1_3gpuE5ELNS1_3repE0EEENS1_30default_config_static_selectorELNS0_4arch9wavefront6targetE0EEEvT1_.uses_vcc, 1
	.set _ZN7rocprim17ROCPRIM_400000_NS6detail17trampoline_kernelINS0_14default_configENS1_25transform_config_selectorIjLb0EEEZNS1_14transform_implILb0ES3_S5_N6thrust23THRUST_200600_302600_NS6detail15normal_iteratorINS8_10device_ptrIjEEEEPjNS0_8identityIjEEEE10hipError_tT2_T3_mT4_P12ihipStream_tbEUlT_E_NS1_11comp_targetILNS1_3genE10ELNS1_11target_archE1201ELNS1_3gpuE5ELNS1_3repE0EEENS1_30default_config_static_selectorELNS0_4arch9wavefront6targetE0EEEvT1_.uses_flat_scratch, 1
	.set _ZN7rocprim17ROCPRIM_400000_NS6detail17trampoline_kernelINS0_14default_configENS1_25transform_config_selectorIjLb0EEEZNS1_14transform_implILb0ES3_S5_N6thrust23THRUST_200600_302600_NS6detail15normal_iteratorINS8_10device_ptrIjEEEEPjNS0_8identityIjEEEE10hipError_tT2_T3_mT4_P12ihipStream_tbEUlT_E_NS1_11comp_targetILNS1_3genE10ELNS1_11target_archE1201ELNS1_3gpuE5ELNS1_3repE0EEENS1_30default_config_static_selectorELNS0_4arch9wavefront6targetE0EEEvT1_.has_dyn_sized_stack, 0
	.set _ZN7rocprim17ROCPRIM_400000_NS6detail17trampoline_kernelINS0_14default_configENS1_25transform_config_selectorIjLb0EEEZNS1_14transform_implILb0ES3_S5_N6thrust23THRUST_200600_302600_NS6detail15normal_iteratorINS8_10device_ptrIjEEEEPjNS0_8identityIjEEEE10hipError_tT2_T3_mT4_P12ihipStream_tbEUlT_E_NS1_11comp_targetILNS1_3genE10ELNS1_11target_archE1201ELNS1_3gpuE5ELNS1_3repE0EEENS1_30default_config_static_selectorELNS0_4arch9wavefront6targetE0EEEvT1_.has_recursion, 0
	.set _ZN7rocprim17ROCPRIM_400000_NS6detail17trampoline_kernelINS0_14default_configENS1_25transform_config_selectorIjLb0EEEZNS1_14transform_implILb0ES3_S5_N6thrust23THRUST_200600_302600_NS6detail15normal_iteratorINS8_10device_ptrIjEEEEPjNS0_8identityIjEEEE10hipError_tT2_T3_mT4_P12ihipStream_tbEUlT_E_NS1_11comp_targetILNS1_3genE10ELNS1_11target_archE1201ELNS1_3gpuE5ELNS1_3repE0EEENS1_30default_config_static_selectorELNS0_4arch9wavefront6targetE0EEEvT1_.has_indirect_call, 0
	.section	.AMDGPU.csdata,"",@progbits
; Kernel info:
; codeLenInByte = 852
; TotalNumSgprs: 18
; NumVgprs: 9
; ScratchSize: 0
; MemoryBound: 0
; FloatMode: 240
; IeeeMode: 1
; LDSByteSize: 0 bytes/workgroup (compile time only)
; SGPRBlocks: 0
; VGPRBlocks: 1
; NumSGPRsForWavesPerEU: 18
; NumVGPRsForWavesPerEU: 9
; Occupancy: 16
; WaveLimiterHint : 1
; COMPUTE_PGM_RSRC2:SCRATCH_EN: 0
; COMPUTE_PGM_RSRC2:USER_SGPR: 2
; COMPUTE_PGM_RSRC2:TRAP_HANDLER: 0
; COMPUTE_PGM_RSRC2:TGID_X_EN: 1
; COMPUTE_PGM_RSRC2:TGID_Y_EN: 0
; COMPUTE_PGM_RSRC2:TGID_Z_EN: 0
; COMPUTE_PGM_RSRC2:TIDIG_COMP_CNT: 0
	.section	.text._ZN7rocprim17ROCPRIM_400000_NS6detail17trampoline_kernelINS0_14default_configENS1_25transform_config_selectorIjLb0EEEZNS1_14transform_implILb0ES3_S5_N6thrust23THRUST_200600_302600_NS6detail15normal_iteratorINS8_10device_ptrIjEEEEPjNS0_8identityIjEEEE10hipError_tT2_T3_mT4_P12ihipStream_tbEUlT_E_NS1_11comp_targetILNS1_3genE10ELNS1_11target_archE1200ELNS1_3gpuE4ELNS1_3repE0EEENS1_30default_config_static_selectorELNS0_4arch9wavefront6targetE0EEEvT1_,"axG",@progbits,_ZN7rocprim17ROCPRIM_400000_NS6detail17trampoline_kernelINS0_14default_configENS1_25transform_config_selectorIjLb0EEEZNS1_14transform_implILb0ES3_S5_N6thrust23THRUST_200600_302600_NS6detail15normal_iteratorINS8_10device_ptrIjEEEEPjNS0_8identityIjEEEE10hipError_tT2_T3_mT4_P12ihipStream_tbEUlT_E_NS1_11comp_targetILNS1_3genE10ELNS1_11target_archE1200ELNS1_3gpuE4ELNS1_3repE0EEENS1_30default_config_static_selectorELNS0_4arch9wavefront6targetE0EEEvT1_,comdat
	.protected	_ZN7rocprim17ROCPRIM_400000_NS6detail17trampoline_kernelINS0_14default_configENS1_25transform_config_selectorIjLb0EEEZNS1_14transform_implILb0ES3_S5_N6thrust23THRUST_200600_302600_NS6detail15normal_iteratorINS8_10device_ptrIjEEEEPjNS0_8identityIjEEEE10hipError_tT2_T3_mT4_P12ihipStream_tbEUlT_E_NS1_11comp_targetILNS1_3genE10ELNS1_11target_archE1200ELNS1_3gpuE4ELNS1_3repE0EEENS1_30default_config_static_selectorELNS0_4arch9wavefront6targetE0EEEvT1_ ; -- Begin function _ZN7rocprim17ROCPRIM_400000_NS6detail17trampoline_kernelINS0_14default_configENS1_25transform_config_selectorIjLb0EEEZNS1_14transform_implILb0ES3_S5_N6thrust23THRUST_200600_302600_NS6detail15normal_iteratorINS8_10device_ptrIjEEEEPjNS0_8identityIjEEEE10hipError_tT2_T3_mT4_P12ihipStream_tbEUlT_E_NS1_11comp_targetILNS1_3genE10ELNS1_11target_archE1200ELNS1_3gpuE4ELNS1_3repE0EEENS1_30default_config_static_selectorELNS0_4arch9wavefront6targetE0EEEvT1_
	.globl	_ZN7rocprim17ROCPRIM_400000_NS6detail17trampoline_kernelINS0_14default_configENS1_25transform_config_selectorIjLb0EEEZNS1_14transform_implILb0ES3_S5_N6thrust23THRUST_200600_302600_NS6detail15normal_iteratorINS8_10device_ptrIjEEEEPjNS0_8identityIjEEEE10hipError_tT2_T3_mT4_P12ihipStream_tbEUlT_E_NS1_11comp_targetILNS1_3genE10ELNS1_11target_archE1200ELNS1_3gpuE4ELNS1_3repE0EEENS1_30default_config_static_selectorELNS0_4arch9wavefront6targetE0EEEvT1_
	.p2align	8
	.type	_ZN7rocprim17ROCPRIM_400000_NS6detail17trampoline_kernelINS0_14default_configENS1_25transform_config_selectorIjLb0EEEZNS1_14transform_implILb0ES3_S5_N6thrust23THRUST_200600_302600_NS6detail15normal_iteratorINS8_10device_ptrIjEEEEPjNS0_8identityIjEEEE10hipError_tT2_T3_mT4_P12ihipStream_tbEUlT_E_NS1_11comp_targetILNS1_3genE10ELNS1_11target_archE1200ELNS1_3gpuE4ELNS1_3repE0EEENS1_30default_config_static_selectorELNS0_4arch9wavefront6targetE0EEEvT1_,@function
_ZN7rocprim17ROCPRIM_400000_NS6detail17trampoline_kernelINS0_14default_configENS1_25transform_config_selectorIjLb0EEEZNS1_14transform_implILb0ES3_S5_N6thrust23THRUST_200600_302600_NS6detail15normal_iteratorINS8_10device_ptrIjEEEEPjNS0_8identityIjEEEE10hipError_tT2_T3_mT4_P12ihipStream_tbEUlT_E_NS1_11comp_targetILNS1_3genE10ELNS1_11target_archE1200ELNS1_3gpuE4ELNS1_3repE0EEENS1_30default_config_static_selectorELNS0_4arch9wavefront6targetE0EEEvT1_: ; @_ZN7rocprim17ROCPRIM_400000_NS6detail17trampoline_kernelINS0_14default_configENS1_25transform_config_selectorIjLb0EEEZNS1_14transform_implILb0ES3_S5_N6thrust23THRUST_200600_302600_NS6detail15normal_iteratorINS8_10device_ptrIjEEEEPjNS0_8identityIjEEEE10hipError_tT2_T3_mT4_P12ihipStream_tbEUlT_E_NS1_11comp_targetILNS1_3genE10ELNS1_11target_archE1200ELNS1_3gpuE4ELNS1_3repE0EEENS1_30default_config_static_selectorELNS0_4arch9wavefront6targetE0EEEvT1_
; %bb.0:
	.section	.rodata,"a",@progbits
	.p2align	6, 0x0
	.amdhsa_kernel _ZN7rocprim17ROCPRIM_400000_NS6detail17trampoline_kernelINS0_14default_configENS1_25transform_config_selectorIjLb0EEEZNS1_14transform_implILb0ES3_S5_N6thrust23THRUST_200600_302600_NS6detail15normal_iteratorINS8_10device_ptrIjEEEEPjNS0_8identityIjEEEE10hipError_tT2_T3_mT4_P12ihipStream_tbEUlT_E_NS1_11comp_targetILNS1_3genE10ELNS1_11target_archE1200ELNS1_3gpuE4ELNS1_3repE0EEENS1_30default_config_static_selectorELNS0_4arch9wavefront6targetE0EEEvT1_
		.amdhsa_group_segment_fixed_size 0
		.amdhsa_private_segment_fixed_size 0
		.amdhsa_kernarg_size 40
		.amdhsa_user_sgpr_count 2
		.amdhsa_user_sgpr_dispatch_ptr 0
		.amdhsa_user_sgpr_queue_ptr 0
		.amdhsa_user_sgpr_kernarg_segment_ptr 1
		.amdhsa_user_sgpr_dispatch_id 0
		.amdhsa_user_sgpr_private_segment_size 0
		.amdhsa_wavefront_size32 1
		.amdhsa_uses_dynamic_stack 0
		.amdhsa_enable_private_segment 0
		.amdhsa_system_sgpr_workgroup_id_x 1
		.amdhsa_system_sgpr_workgroup_id_y 0
		.amdhsa_system_sgpr_workgroup_id_z 0
		.amdhsa_system_sgpr_workgroup_info 0
		.amdhsa_system_vgpr_workitem_id 0
		.amdhsa_next_free_vgpr 1
		.amdhsa_next_free_sgpr 1
		.amdhsa_reserve_vcc 0
		.amdhsa_float_round_mode_32 0
		.amdhsa_float_round_mode_16_64 0
		.amdhsa_float_denorm_mode_32 3
		.amdhsa_float_denorm_mode_16_64 3
		.amdhsa_fp16_overflow 0
		.amdhsa_workgroup_processor_mode 1
		.amdhsa_memory_ordered 1
		.amdhsa_forward_progress 1
		.amdhsa_inst_pref_size 0
		.amdhsa_round_robin_scheduling 0
		.amdhsa_exception_fp_ieee_invalid_op 0
		.amdhsa_exception_fp_denorm_src 0
		.amdhsa_exception_fp_ieee_div_zero 0
		.amdhsa_exception_fp_ieee_overflow 0
		.amdhsa_exception_fp_ieee_underflow 0
		.amdhsa_exception_fp_ieee_inexact 0
		.amdhsa_exception_int_div_zero 0
	.end_amdhsa_kernel
	.section	.text._ZN7rocprim17ROCPRIM_400000_NS6detail17trampoline_kernelINS0_14default_configENS1_25transform_config_selectorIjLb0EEEZNS1_14transform_implILb0ES3_S5_N6thrust23THRUST_200600_302600_NS6detail15normal_iteratorINS8_10device_ptrIjEEEEPjNS0_8identityIjEEEE10hipError_tT2_T3_mT4_P12ihipStream_tbEUlT_E_NS1_11comp_targetILNS1_3genE10ELNS1_11target_archE1200ELNS1_3gpuE4ELNS1_3repE0EEENS1_30default_config_static_selectorELNS0_4arch9wavefront6targetE0EEEvT1_,"axG",@progbits,_ZN7rocprim17ROCPRIM_400000_NS6detail17trampoline_kernelINS0_14default_configENS1_25transform_config_selectorIjLb0EEEZNS1_14transform_implILb0ES3_S5_N6thrust23THRUST_200600_302600_NS6detail15normal_iteratorINS8_10device_ptrIjEEEEPjNS0_8identityIjEEEE10hipError_tT2_T3_mT4_P12ihipStream_tbEUlT_E_NS1_11comp_targetILNS1_3genE10ELNS1_11target_archE1200ELNS1_3gpuE4ELNS1_3repE0EEENS1_30default_config_static_selectorELNS0_4arch9wavefront6targetE0EEEvT1_,comdat
.Lfunc_end163:
	.size	_ZN7rocprim17ROCPRIM_400000_NS6detail17trampoline_kernelINS0_14default_configENS1_25transform_config_selectorIjLb0EEEZNS1_14transform_implILb0ES3_S5_N6thrust23THRUST_200600_302600_NS6detail15normal_iteratorINS8_10device_ptrIjEEEEPjNS0_8identityIjEEEE10hipError_tT2_T3_mT4_P12ihipStream_tbEUlT_E_NS1_11comp_targetILNS1_3genE10ELNS1_11target_archE1200ELNS1_3gpuE4ELNS1_3repE0EEENS1_30default_config_static_selectorELNS0_4arch9wavefront6targetE0EEEvT1_, .Lfunc_end163-_ZN7rocprim17ROCPRIM_400000_NS6detail17trampoline_kernelINS0_14default_configENS1_25transform_config_selectorIjLb0EEEZNS1_14transform_implILb0ES3_S5_N6thrust23THRUST_200600_302600_NS6detail15normal_iteratorINS8_10device_ptrIjEEEEPjNS0_8identityIjEEEE10hipError_tT2_T3_mT4_P12ihipStream_tbEUlT_E_NS1_11comp_targetILNS1_3genE10ELNS1_11target_archE1200ELNS1_3gpuE4ELNS1_3repE0EEENS1_30default_config_static_selectorELNS0_4arch9wavefront6targetE0EEEvT1_
                                        ; -- End function
	.set _ZN7rocprim17ROCPRIM_400000_NS6detail17trampoline_kernelINS0_14default_configENS1_25transform_config_selectorIjLb0EEEZNS1_14transform_implILb0ES3_S5_N6thrust23THRUST_200600_302600_NS6detail15normal_iteratorINS8_10device_ptrIjEEEEPjNS0_8identityIjEEEE10hipError_tT2_T3_mT4_P12ihipStream_tbEUlT_E_NS1_11comp_targetILNS1_3genE10ELNS1_11target_archE1200ELNS1_3gpuE4ELNS1_3repE0EEENS1_30default_config_static_selectorELNS0_4arch9wavefront6targetE0EEEvT1_.num_vgpr, 0
	.set _ZN7rocprim17ROCPRIM_400000_NS6detail17trampoline_kernelINS0_14default_configENS1_25transform_config_selectorIjLb0EEEZNS1_14transform_implILb0ES3_S5_N6thrust23THRUST_200600_302600_NS6detail15normal_iteratorINS8_10device_ptrIjEEEEPjNS0_8identityIjEEEE10hipError_tT2_T3_mT4_P12ihipStream_tbEUlT_E_NS1_11comp_targetILNS1_3genE10ELNS1_11target_archE1200ELNS1_3gpuE4ELNS1_3repE0EEENS1_30default_config_static_selectorELNS0_4arch9wavefront6targetE0EEEvT1_.num_agpr, 0
	.set _ZN7rocprim17ROCPRIM_400000_NS6detail17trampoline_kernelINS0_14default_configENS1_25transform_config_selectorIjLb0EEEZNS1_14transform_implILb0ES3_S5_N6thrust23THRUST_200600_302600_NS6detail15normal_iteratorINS8_10device_ptrIjEEEEPjNS0_8identityIjEEEE10hipError_tT2_T3_mT4_P12ihipStream_tbEUlT_E_NS1_11comp_targetILNS1_3genE10ELNS1_11target_archE1200ELNS1_3gpuE4ELNS1_3repE0EEENS1_30default_config_static_selectorELNS0_4arch9wavefront6targetE0EEEvT1_.numbered_sgpr, 0
	.set _ZN7rocprim17ROCPRIM_400000_NS6detail17trampoline_kernelINS0_14default_configENS1_25transform_config_selectorIjLb0EEEZNS1_14transform_implILb0ES3_S5_N6thrust23THRUST_200600_302600_NS6detail15normal_iteratorINS8_10device_ptrIjEEEEPjNS0_8identityIjEEEE10hipError_tT2_T3_mT4_P12ihipStream_tbEUlT_E_NS1_11comp_targetILNS1_3genE10ELNS1_11target_archE1200ELNS1_3gpuE4ELNS1_3repE0EEENS1_30default_config_static_selectorELNS0_4arch9wavefront6targetE0EEEvT1_.num_named_barrier, 0
	.set _ZN7rocprim17ROCPRIM_400000_NS6detail17trampoline_kernelINS0_14default_configENS1_25transform_config_selectorIjLb0EEEZNS1_14transform_implILb0ES3_S5_N6thrust23THRUST_200600_302600_NS6detail15normal_iteratorINS8_10device_ptrIjEEEEPjNS0_8identityIjEEEE10hipError_tT2_T3_mT4_P12ihipStream_tbEUlT_E_NS1_11comp_targetILNS1_3genE10ELNS1_11target_archE1200ELNS1_3gpuE4ELNS1_3repE0EEENS1_30default_config_static_selectorELNS0_4arch9wavefront6targetE0EEEvT1_.private_seg_size, 0
	.set _ZN7rocprim17ROCPRIM_400000_NS6detail17trampoline_kernelINS0_14default_configENS1_25transform_config_selectorIjLb0EEEZNS1_14transform_implILb0ES3_S5_N6thrust23THRUST_200600_302600_NS6detail15normal_iteratorINS8_10device_ptrIjEEEEPjNS0_8identityIjEEEE10hipError_tT2_T3_mT4_P12ihipStream_tbEUlT_E_NS1_11comp_targetILNS1_3genE10ELNS1_11target_archE1200ELNS1_3gpuE4ELNS1_3repE0EEENS1_30default_config_static_selectorELNS0_4arch9wavefront6targetE0EEEvT1_.uses_vcc, 0
	.set _ZN7rocprim17ROCPRIM_400000_NS6detail17trampoline_kernelINS0_14default_configENS1_25transform_config_selectorIjLb0EEEZNS1_14transform_implILb0ES3_S5_N6thrust23THRUST_200600_302600_NS6detail15normal_iteratorINS8_10device_ptrIjEEEEPjNS0_8identityIjEEEE10hipError_tT2_T3_mT4_P12ihipStream_tbEUlT_E_NS1_11comp_targetILNS1_3genE10ELNS1_11target_archE1200ELNS1_3gpuE4ELNS1_3repE0EEENS1_30default_config_static_selectorELNS0_4arch9wavefront6targetE0EEEvT1_.uses_flat_scratch, 0
	.set _ZN7rocprim17ROCPRIM_400000_NS6detail17trampoline_kernelINS0_14default_configENS1_25transform_config_selectorIjLb0EEEZNS1_14transform_implILb0ES3_S5_N6thrust23THRUST_200600_302600_NS6detail15normal_iteratorINS8_10device_ptrIjEEEEPjNS0_8identityIjEEEE10hipError_tT2_T3_mT4_P12ihipStream_tbEUlT_E_NS1_11comp_targetILNS1_3genE10ELNS1_11target_archE1200ELNS1_3gpuE4ELNS1_3repE0EEENS1_30default_config_static_selectorELNS0_4arch9wavefront6targetE0EEEvT1_.has_dyn_sized_stack, 0
	.set _ZN7rocprim17ROCPRIM_400000_NS6detail17trampoline_kernelINS0_14default_configENS1_25transform_config_selectorIjLb0EEEZNS1_14transform_implILb0ES3_S5_N6thrust23THRUST_200600_302600_NS6detail15normal_iteratorINS8_10device_ptrIjEEEEPjNS0_8identityIjEEEE10hipError_tT2_T3_mT4_P12ihipStream_tbEUlT_E_NS1_11comp_targetILNS1_3genE10ELNS1_11target_archE1200ELNS1_3gpuE4ELNS1_3repE0EEENS1_30default_config_static_selectorELNS0_4arch9wavefront6targetE0EEEvT1_.has_recursion, 0
	.set _ZN7rocprim17ROCPRIM_400000_NS6detail17trampoline_kernelINS0_14default_configENS1_25transform_config_selectorIjLb0EEEZNS1_14transform_implILb0ES3_S5_N6thrust23THRUST_200600_302600_NS6detail15normal_iteratorINS8_10device_ptrIjEEEEPjNS0_8identityIjEEEE10hipError_tT2_T3_mT4_P12ihipStream_tbEUlT_E_NS1_11comp_targetILNS1_3genE10ELNS1_11target_archE1200ELNS1_3gpuE4ELNS1_3repE0EEENS1_30default_config_static_selectorELNS0_4arch9wavefront6targetE0EEEvT1_.has_indirect_call, 0
	.section	.AMDGPU.csdata,"",@progbits
; Kernel info:
; codeLenInByte = 0
; TotalNumSgprs: 0
; NumVgprs: 0
; ScratchSize: 0
; MemoryBound: 0
; FloatMode: 240
; IeeeMode: 1
; LDSByteSize: 0 bytes/workgroup (compile time only)
; SGPRBlocks: 0
; VGPRBlocks: 0
; NumSGPRsForWavesPerEU: 1
; NumVGPRsForWavesPerEU: 1
; Occupancy: 16
; WaveLimiterHint : 0
; COMPUTE_PGM_RSRC2:SCRATCH_EN: 0
; COMPUTE_PGM_RSRC2:USER_SGPR: 2
; COMPUTE_PGM_RSRC2:TRAP_HANDLER: 0
; COMPUTE_PGM_RSRC2:TGID_X_EN: 1
; COMPUTE_PGM_RSRC2:TGID_Y_EN: 0
; COMPUTE_PGM_RSRC2:TGID_Z_EN: 0
; COMPUTE_PGM_RSRC2:TIDIG_COMP_CNT: 0
	.section	.text._ZN7rocprim17ROCPRIM_400000_NS6detail17trampoline_kernelINS0_14default_configENS1_25transform_config_selectorIjLb0EEEZNS1_14transform_implILb0ES3_S5_N6thrust23THRUST_200600_302600_NS6detail15normal_iteratorINS8_10device_ptrIjEEEEPjNS0_8identityIjEEEE10hipError_tT2_T3_mT4_P12ihipStream_tbEUlT_E_NS1_11comp_targetILNS1_3genE9ELNS1_11target_archE1100ELNS1_3gpuE3ELNS1_3repE0EEENS1_30default_config_static_selectorELNS0_4arch9wavefront6targetE0EEEvT1_,"axG",@progbits,_ZN7rocprim17ROCPRIM_400000_NS6detail17trampoline_kernelINS0_14default_configENS1_25transform_config_selectorIjLb0EEEZNS1_14transform_implILb0ES3_S5_N6thrust23THRUST_200600_302600_NS6detail15normal_iteratorINS8_10device_ptrIjEEEEPjNS0_8identityIjEEEE10hipError_tT2_T3_mT4_P12ihipStream_tbEUlT_E_NS1_11comp_targetILNS1_3genE9ELNS1_11target_archE1100ELNS1_3gpuE3ELNS1_3repE0EEENS1_30default_config_static_selectorELNS0_4arch9wavefront6targetE0EEEvT1_,comdat
	.protected	_ZN7rocprim17ROCPRIM_400000_NS6detail17trampoline_kernelINS0_14default_configENS1_25transform_config_selectorIjLb0EEEZNS1_14transform_implILb0ES3_S5_N6thrust23THRUST_200600_302600_NS6detail15normal_iteratorINS8_10device_ptrIjEEEEPjNS0_8identityIjEEEE10hipError_tT2_T3_mT4_P12ihipStream_tbEUlT_E_NS1_11comp_targetILNS1_3genE9ELNS1_11target_archE1100ELNS1_3gpuE3ELNS1_3repE0EEENS1_30default_config_static_selectorELNS0_4arch9wavefront6targetE0EEEvT1_ ; -- Begin function _ZN7rocprim17ROCPRIM_400000_NS6detail17trampoline_kernelINS0_14default_configENS1_25transform_config_selectorIjLb0EEEZNS1_14transform_implILb0ES3_S5_N6thrust23THRUST_200600_302600_NS6detail15normal_iteratorINS8_10device_ptrIjEEEEPjNS0_8identityIjEEEE10hipError_tT2_T3_mT4_P12ihipStream_tbEUlT_E_NS1_11comp_targetILNS1_3genE9ELNS1_11target_archE1100ELNS1_3gpuE3ELNS1_3repE0EEENS1_30default_config_static_selectorELNS0_4arch9wavefront6targetE0EEEvT1_
	.globl	_ZN7rocprim17ROCPRIM_400000_NS6detail17trampoline_kernelINS0_14default_configENS1_25transform_config_selectorIjLb0EEEZNS1_14transform_implILb0ES3_S5_N6thrust23THRUST_200600_302600_NS6detail15normal_iteratorINS8_10device_ptrIjEEEEPjNS0_8identityIjEEEE10hipError_tT2_T3_mT4_P12ihipStream_tbEUlT_E_NS1_11comp_targetILNS1_3genE9ELNS1_11target_archE1100ELNS1_3gpuE3ELNS1_3repE0EEENS1_30default_config_static_selectorELNS0_4arch9wavefront6targetE0EEEvT1_
	.p2align	8
	.type	_ZN7rocprim17ROCPRIM_400000_NS6detail17trampoline_kernelINS0_14default_configENS1_25transform_config_selectorIjLb0EEEZNS1_14transform_implILb0ES3_S5_N6thrust23THRUST_200600_302600_NS6detail15normal_iteratorINS8_10device_ptrIjEEEEPjNS0_8identityIjEEEE10hipError_tT2_T3_mT4_P12ihipStream_tbEUlT_E_NS1_11comp_targetILNS1_3genE9ELNS1_11target_archE1100ELNS1_3gpuE3ELNS1_3repE0EEENS1_30default_config_static_selectorELNS0_4arch9wavefront6targetE0EEEvT1_,@function
_ZN7rocprim17ROCPRIM_400000_NS6detail17trampoline_kernelINS0_14default_configENS1_25transform_config_selectorIjLb0EEEZNS1_14transform_implILb0ES3_S5_N6thrust23THRUST_200600_302600_NS6detail15normal_iteratorINS8_10device_ptrIjEEEEPjNS0_8identityIjEEEE10hipError_tT2_T3_mT4_P12ihipStream_tbEUlT_E_NS1_11comp_targetILNS1_3genE9ELNS1_11target_archE1100ELNS1_3gpuE3ELNS1_3repE0EEENS1_30default_config_static_selectorELNS0_4arch9wavefront6targetE0EEEvT1_: ; @_ZN7rocprim17ROCPRIM_400000_NS6detail17trampoline_kernelINS0_14default_configENS1_25transform_config_selectorIjLb0EEEZNS1_14transform_implILb0ES3_S5_N6thrust23THRUST_200600_302600_NS6detail15normal_iteratorINS8_10device_ptrIjEEEEPjNS0_8identityIjEEEE10hipError_tT2_T3_mT4_P12ihipStream_tbEUlT_E_NS1_11comp_targetILNS1_3genE9ELNS1_11target_archE1100ELNS1_3gpuE3ELNS1_3repE0EEENS1_30default_config_static_selectorELNS0_4arch9wavefront6targetE0EEEvT1_
; %bb.0:
	.section	.rodata,"a",@progbits
	.p2align	6, 0x0
	.amdhsa_kernel _ZN7rocprim17ROCPRIM_400000_NS6detail17trampoline_kernelINS0_14default_configENS1_25transform_config_selectorIjLb0EEEZNS1_14transform_implILb0ES3_S5_N6thrust23THRUST_200600_302600_NS6detail15normal_iteratorINS8_10device_ptrIjEEEEPjNS0_8identityIjEEEE10hipError_tT2_T3_mT4_P12ihipStream_tbEUlT_E_NS1_11comp_targetILNS1_3genE9ELNS1_11target_archE1100ELNS1_3gpuE3ELNS1_3repE0EEENS1_30default_config_static_selectorELNS0_4arch9wavefront6targetE0EEEvT1_
		.amdhsa_group_segment_fixed_size 0
		.amdhsa_private_segment_fixed_size 0
		.amdhsa_kernarg_size 40
		.amdhsa_user_sgpr_count 2
		.amdhsa_user_sgpr_dispatch_ptr 0
		.amdhsa_user_sgpr_queue_ptr 0
		.amdhsa_user_sgpr_kernarg_segment_ptr 1
		.amdhsa_user_sgpr_dispatch_id 0
		.amdhsa_user_sgpr_private_segment_size 0
		.amdhsa_wavefront_size32 1
		.amdhsa_uses_dynamic_stack 0
		.amdhsa_enable_private_segment 0
		.amdhsa_system_sgpr_workgroup_id_x 1
		.amdhsa_system_sgpr_workgroup_id_y 0
		.amdhsa_system_sgpr_workgroup_id_z 0
		.amdhsa_system_sgpr_workgroup_info 0
		.amdhsa_system_vgpr_workitem_id 0
		.amdhsa_next_free_vgpr 1
		.amdhsa_next_free_sgpr 1
		.amdhsa_reserve_vcc 0
		.amdhsa_float_round_mode_32 0
		.amdhsa_float_round_mode_16_64 0
		.amdhsa_float_denorm_mode_32 3
		.amdhsa_float_denorm_mode_16_64 3
		.amdhsa_fp16_overflow 0
		.amdhsa_workgroup_processor_mode 1
		.amdhsa_memory_ordered 1
		.amdhsa_forward_progress 1
		.amdhsa_inst_pref_size 0
		.amdhsa_round_robin_scheduling 0
		.amdhsa_exception_fp_ieee_invalid_op 0
		.amdhsa_exception_fp_denorm_src 0
		.amdhsa_exception_fp_ieee_div_zero 0
		.amdhsa_exception_fp_ieee_overflow 0
		.amdhsa_exception_fp_ieee_underflow 0
		.amdhsa_exception_fp_ieee_inexact 0
		.amdhsa_exception_int_div_zero 0
	.end_amdhsa_kernel
	.section	.text._ZN7rocprim17ROCPRIM_400000_NS6detail17trampoline_kernelINS0_14default_configENS1_25transform_config_selectorIjLb0EEEZNS1_14transform_implILb0ES3_S5_N6thrust23THRUST_200600_302600_NS6detail15normal_iteratorINS8_10device_ptrIjEEEEPjNS0_8identityIjEEEE10hipError_tT2_T3_mT4_P12ihipStream_tbEUlT_E_NS1_11comp_targetILNS1_3genE9ELNS1_11target_archE1100ELNS1_3gpuE3ELNS1_3repE0EEENS1_30default_config_static_selectorELNS0_4arch9wavefront6targetE0EEEvT1_,"axG",@progbits,_ZN7rocprim17ROCPRIM_400000_NS6detail17trampoline_kernelINS0_14default_configENS1_25transform_config_selectorIjLb0EEEZNS1_14transform_implILb0ES3_S5_N6thrust23THRUST_200600_302600_NS6detail15normal_iteratorINS8_10device_ptrIjEEEEPjNS0_8identityIjEEEE10hipError_tT2_T3_mT4_P12ihipStream_tbEUlT_E_NS1_11comp_targetILNS1_3genE9ELNS1_11target_archE1100ELNS1_3gpuE3ELNS1_3repE0EEENS1_30default_config_static_selectorELNS0_4arch9wavefront6targetE0EEEvT1_,comdat
.Lfunc_end164:
	.size	_ZN7rocprim17ROCPRIM_400000_NS6detail17trampoline_kernelINS0_14default_configENS1_25transform_config_selectorIjLb0EEEZNS1_14transform_implILb0ES3_S5_N6thrust23THRUST_200600_302600_NS6detail15normal_iteratorINS8_10device_ptrIjEEEEPjNS0_8identityIjEEEE10hipError_tT2_T3_mT4_P12ihipStream_tbEUlT_E_NS1_11comp_targetILNS1_3genE9ELNS1_11target_archE1100ELNS1_3gpuE3ELNS1_3repE0EEENS1_30default_config_static_selectorELNS0_4arch9wavefront6targetE0EEEvT1_, .Lfunc_end164-_ZN7rocprim17ROCPRIM_400000_NS6detail17trampoline_kernelINS0_14default_configENS1_25transform_config_selectorIjLb0EEEZNS1_14transform_implILb0ES3_S5_N6thrust23THRUST_200600_302600_NS6detail15normal_iteratorINS8_10device_ptrIjEEEEPjNS0_8identityIjEEEE10hipError_tT2_T3_mT4_P12ihipStream_tbEUlT_E_NS1_11comp_targetILNS1_3genE9ELNS1_11target_archE1100ELNS1_3gpuE3ELNS1_3repE0EEENS1_30default_config_static_selectorELNS0_4arch9wavefront6targetE0EEEvT1_
                                        ; -- End function
	.set _ZN7rocprim17ROCPRIM_400000_NS6detail17trampoline_kernelINS0_14default_configENS1_25transform_config_selectorIjLb0EEEZNS1_14transform_implILb0ES3_S5_N6thrust23THRUST_200600_302600_NS6detail15normal_iteratorINS8_10device_ptrIjEEEEPjNS0_8identityIjEEEE10hipError_tT2_T3_mT4_P12ihipStream_tbEUlT_E_NS1_11comp_targetILNS1_3genE9ELNS1_11target_archE1100ELNS1_3gpuE3ELNS1_3repE0EEENS1_30default_config_static_selectorELNS0_4arch9wavefront6targetE0EEEvT1_.num_vgpr, 0
	.set _ZN7rocprim17ROCPRIM_400000_NS6detail17trampoline_kernelINS0_14default_configENS1_25transform_config_selectorIjLb0EEEZNS1_14transform_implILb0ES3_S5_N6thrust23THRUST_200600_302600_NS6detail15normal_iteratorINS8_10device_ptrIjEEEEPjNS0_8identityIjEEEE10hipError_tT2_T3_mT4_P12ihipStream_tbEUlT_E_NS1_11comp_targetILNS1_3genE9ELNS1_11target_archE1100ELNS1_3gpuE3ELNS1_3repE0EEENS1_30default_config_static_selectorELNS0_4arch9wavefront6targetE0EEEvT1_.num_agpr, 0
	.set _ZN7rocprim17ROCPRIM_400000_NS6detail17trampoline_kernelINS0_14default_configENS1_25transform_config_selectorIjLb0EEEZNS1_14transform_implILb0ES3_S5_N6thrust23THRUST_200600_302600_NS6detail15normal_iteratorINS8_10device_ptrIjEEEEPjNS0_8identityIjEEEE10hipError_tT2_T3_mT4_P12ihipStream_tbEUlT_E_NS1_11comp_targetILNS1_3genE9ELNS1_11target_archE1100ELNS1_3gpuE3ELNS1_3repE0EEENS1_30default_config_static_selectorELNS0_4arch9wavefront6targetE0EEEvT1_.numbered_sgpr, 0
	.set _ZN7rocprim17ROCPRIM_400000_NS6detail17trampoline_kernelINS0_14default_configENS1_25transform_config_selectorIjLb0EEEZNS1_14transform_implILb0ES3_S5_N6thrust23THRUST_200600_302600_NS6detail15normal_iteratorINS8_10device_ptrIjEEEEPjNS0_8identityIjEEEE10hipError_tT2_T3_mT4_P12ihipStream_tbEUlT_E_NS1_11comp_targetILNS1_3genE9ELNS1_11target_archE1100ELNS1_3gpuE3ELNS1_3repE0EEENS1_30default_config_static_selectorELNS0_4arch9wavefront6targetE0EEEvT1_.num_named_barrier, 0
	.set _ZN7rocprim17ROCPRIM_400000_NS6detail17trampoline_kernelINS0_14default_configENS1_25transform_config_selectorIjLb0EEEZNS1_14transform_implILb0ES3_S5_N6thrust23THRUST_200600_302600_NS6detail15normal_iteratorINS8_10device_ptrIjEEEEPjNS0_8identityIjEEEE10hipError_tT2_T3_mT4_P12ihipStream_tbEUlT_E_NS1_11comp_targetILNS1_3genE9ELNS1_11target_archE1100ELNS1_3gpuE3ELNS1_3repE0EEENS1_30default_config_static_selectorELNS0_4arch9wavefront6targetE0EEEvT1_.private_seg_size, 0
	.set _ZN7rocprim17ROCPRIM_400000_NS6detail17trampoline_kernelINS0_14default_configENS1_25transform_config_selectorIjLb0EEEZNS1_14transform_implILb0ES3_S5_N6thrust23THRUST_200600_302600_NS6detail15normal_iteratorINS8_10device_ptrIjEEEEPjNS0_8identityIjEEEE10hipError_tT2_T3_mT4_P12ihipStream_tbEUlT_E_NS1_11comp_targetILNS1_3genE9ELNS1_11target_archE1100ELNS1_3gpuE3ELNS1_3repE0EEENS1_30default_config_static_selectorELNS0_4arch9wavefront6targetE0EEEvT1_.uses_vcc, 0
	.set _ZN7rocprim17ROCPRIM_400000_NS6detail17trampoline_kernelINS0_14default_configENS1_25transform_config_selectorIjLb0EEEZNS1_14transform_implILb0ES3_S5_N6thrust23THRUST_200600_302600_NS6detail15normal_iteratorINS8_10device_ptrIjEEEEPjNS0_8identityIjEEEE10hipError_tT2_T3_mT4_P12ihipStream_tbEUlT_E_NS1_11comp_targetILNS1_3genE9ELNS1_11target_archE1100ELNS1_3gpuE3ELNS1_3repE0EEENS1_30default_config_static_selectorELNS0_4arch9wavefront6targetE0EEEvT1_.uses_flat_scratch, 0
	.set _ZN7rocprim17ROCPRIM_400000_NS6detail17trampoline_kernelINS0_14default_configENS1_25transform_config_selectorIjLb0EEEZNS1_14transform_implILb0ES3_S5_N6thrust23THRUST_200600_302600_NS6detail15normal_iteratorINS8_10device_ptrIjEEEEPjNS0_8identityIjEEEE10hipError_tT2_T3_mT4_P12ihipStream_tbEUlT_E_NS1_11comp_targetILNS1_3genE9ELNS1_11target_archE1100ELNS1_3gpuE3ELNS1_3repE0EEENS1_30default_config_static_selectorELNS0_4arch9wavefront6targetE0EEEvT1_.has_dyn_sized_stack, 0
	.set _ZN7rocprim17ROCPRIM_400000_NS6detail17trampoline_kernelINS0_14default_configENS1_25transform_config_selectorIjLb0EEEZNS1_14transform_implILb0ES3_S5_N6thrust23THRUST_200600_302600_NS6detail15normal_iteratorINS8_10device_ptrIjEEEEPjNS0_8identityIjEEEE10hipError_tT2_T3_mT4_P12ihipStream_tbEUlT_E_NS1_11comp_targetILNS1_3genE9ELNS1_11target_archE1100ELNS1_3gpuE3ELNS1_3repE0EEENS1_30default_config_static_selectorELNS0_4arch9wavefront6targetE0EEEvT1_.has_recursion, 0
	.set _ZN7rocprim17ROCPRIM_400000_NS6detail17trampoline_kernelINS0_14default_configENS1_25transform_config_selectorIjLb0EEEZNS1_14transform_implILb0ES3_S5_N6thrust23THRUST_200600_302600_NS6detail15normal_iteratorINS8_10device_ptrIjEEEEPjNS0_8identityIjEEEE10hipError_tT2_T3_mT4_P12ihipStream_tbEUlT_E_NS1_11comp_targetILNS1_3genE9ELNS1_11target_archE1100ELNS1_3gpuE3ELNS1_3repE0EEENS1_30default_config_static_selectorELNS0_4arch9wavefront6targetE0EEEvT1_.has_indirect_call, 0
	.section	.AMDGPU.csdata,"",@progbits
; Kernel info:
; codeLenInByte = 0
; TotalNumSgprs: 0
; NumVgprs: 0
; ScratchSize: 0
; MemoryBound: 0
; FloatMode: 240
; IeeeMode: 1
; LDSByteSize: 0 bytes/workgroup (compile time only)
; SGPRBlocks: 0
; VGPRBlocks: 0
; NumSGPRsForWavesPerEU: 1
; NumVGPRsForWavesPerEU: 1
; Occupancy: 16
; WaveLimiterHint : 0
; COMPUTE_PGM_RSRC2:SCRATCH_EN: 0
; COMPUTE_PGM_RSRC2:USER_SGPR: 2
; COMPUTE_PGM_RSRC2:TRAP_HANDLER: 0
; COMPUTE_PGM_RSRC2:TGID_X_EN: 1
; COMPUTE_PGM_RSRC2:TGID_Y_EN: 0
; COMPUTE_PGM_RSRC2:TGID_Z_EN: 0
; COMPUTE_PGM_RSRC2:TIDIG_COMP_CNT: 0
	.section	.text._ZN7rocprim17ROCPRIM_400000_NS6detail17trampoline_kernelINS0_14default_configENS1_25transform_config_selectorIjLb0EEEZNS1_14transform_implILb0ES3_S5_N6thrust23THRUST_200600_302600_NS6detail15normal_iteratorINS8_10device_ptrIjEEEEPjNS0_8identityIjEEEE10hipError_tT2_T3_mT4_P12ihipStream_tbEUlT_E_NS1_11comp_targetILNS1_3genE8ELNS1_11target_archE1030ELNS1_3gpuE2ELNS1_3repE0EEENS1_30default_config_static_selectorELNS0_4arch9wavefront6targetE0EEEvT1_,"axG",@progbits,_ZN7rocprim17ROCPRIM_400000_NS6detail17trampoline_kernelINS0_14default_configENS1_25transform_config_selectorIjLb0EEEZNS1_14transform_implILb0ES3_S5_N6thrust23THRUST_200600_302600_NS6detail15normal_iteratorINS8_10device_ptrIjEEEEPjNS0_8identityIjEEEE10hipError_tT2_T3_mT4_P12ihipStream_tbEUlT_E_NS1_11comp_targetILNS1_3genE8ELNS1_11target_archE1030ELNS1_3gpuE2ELNS1_3repE0EEENS1_30default_config_static_selectorELNS0_4arch9wavefront6targetE0EEEvT1_,comdat
	.protected	_ZN7rocprim17ROCPRIM_400000_NS6detail17trampoline_kernelINS0_14default_configENS1_25transform_config_selectorIjLb0EEEZNS1_14transform_implILb0ES3_S5_N6thrust23THRUST_200600_302600_NS6detail15normal_iteratorINS8_10device_ptrIjEEEEPjNS0_8identityIjEEEE10hipError_tT2_T3_mT4_P12ihipStream_tbEUlT_E_NS1_11comp_targetILNS1_3genE8ELNS1_11target_archE1030ELNS1_3gpuE2ELNS1_3repE0EEENS1_30default_config_static_selectorELNS0_4arch9wavefront6targetE0EEEvT1_ ; -- Begin function _ZN7rocprim17ROCPRIM_400000_NS6detail17trampoline_kernelINS0_14default_configENS1_25transform_config_selectorIjLb0EEEZNS1_14transform_implILb0ES3_S5_N6thrust23THRUST_200600_302600_NS6detail15normal_iteratorINS8_10device_ptrIjEEEEPjNS0_8identityIjEEEE10hipError_tT2_T3_mT4_P12ihipStream_tbEUlT_E_NS1_11comp_targetILNS1_3genE8ELNS1_11target_archE1030ELNS1_3gpuE2ELNS1_3repE0EEENS1_30default_config_static_selectorELNS0_4arch9wavefront6targetE0EEEvT1_
	.globl	_ZN7rocprim17ROCPRIM_400000_NS6detail17trampoline_kernelINS0_14default_configENS1_25transform_config_selectorIjLb0EEEZNS1_14transform_implILb0ES3_S5_N6thrust23THRUST_200600_302600_NS6detail15normal_iteratorINS8_10device_ptrIjEEEEPjNS0_8identityIjEEEE10hipError_tT2_T3_mT4_P12ihipStream_tbEUlT_E_NS1_11comp_targetILNS1_3genE8ELNS1_11target_archE1030ELNS1_3gpuE2ELNS1_3repE0EEENS1_30default_config_static_selectorELNS0_4arch9wavefront6targetE0EEEvT1_
	.p2align	8
	.type	_ZN7rocprim17ROCPRIM_400000_NS6detail17trampoline_kernelINS0_14default_configENS1_25transform_config_selectorIjLb0EEEZNS1_14transform_implILb0ES3_S5_N6thrust23THRUST_200600_302600_NS6detail15normal_iteratorINS8_10device_ptrIjEEEEPjNS0_8identityIjEEEE10hipError_tT2_T3_mT4_P12ihipStream_tbEUlT_E_NS1_11comp_targetILNS1_3genE8ELNS1_11target_archE1030ELNS1_3gpuE2ELNS1_3repE0EEENS1_30default_config_static_selectorELNS0_4arch9wavefront6targetE0EEEvT1_,@function
_ZN7rocprim17ROCPRIM_400000_NS6detail17trampoline_kernelINS0_14default_configENS1_25transform_config_selectorIjLb0EEEZNS1_14transform_implILb0ES3_S5_N6thrust23THRUST_200600_302600_NS6detail15normal_iteratorINS8_10device_ptrIjEEEEPjNS0_8identityIjEEEE10hipError_tT2_T3_mT4_P12ihipStream_tbEUlT_E_NS1_11comp_targetILNS1_3genE8ELNS1_11target_archE1030ELNS1_3gpuE2ELNS1_3repE0EEENS1_30default_config_static_selectorELNS0_4arch9wavefront6targetE0EEEvT1_: ; @_ZN7rocprim17ROCPRIM_400000_NS6detail17trampoline_kernelINS0_14default_configENS1_25transform_config_selectorIjLb0EEEZNS1_14transform_implILb0ES3_S5_N6thrust23THRUST_200600_302600_NS6detail15normal_iteratorINS8_10device_ptrIjEEEEPjNS0_8identityIjEEEE10hipError_tT2_T3_mT4_P12ihipStream_tbEUlT_E_NS1_11comp_targetILNS1_3genE8ELNS1_11target_archE1030ELNS1_3gpuE2ELNS1_3repE0EEENS1_30default_config_static_selectorELNS0_4arch9wavefront6targetE0EEEvT1_
; %bb.0:
	.section	.rodata,"a",@progbits
	.p2align	6, 0x0
	.amdhsa_kernel _ZN7rocprim17ROCPRIM_400000_NS6detail17trampoline_kernelINS0_14default_configENS1_25transform_config_selectorIjLb0EEEZNS1_14transform_implILb0ES3_S5_N6thrust23THRUST_200600_302600_NS6detail15normal_iteratorINS8_10device_ptrIjEEEEPjNS0_8identityIjEEEE10hipError_tT2_T3_mT4_P12ihipStream_tbEUlT_E_NS1_11comp_targetILNS1_3genE8ELNS1_11target_archE1030ELNS1_3gpuE2ELNS1_3repE0EEENS1_30default_config_static_selectorELNS0_4arch9wavefront6targetE0EEEvT1_
		.amdhsa_group_segment_fixed_size 0
		.amdhsa_private_segment_fixed_size 0
		.amdhsa_kernarg_size 40
		.amdhsa_user_sgpr_count 2
		.amdhsa_user_sgpr_dispatch_ptr 0
		.amdhsa_user_sgpr_queue_ptr 0
		.amdhsa_user_sgpr_kernarg_segment_ptr 1
		.amdhsa_user_sgpr_dispatch_id 0
		.amdhsa_user_sgpr_private_segment_size 0
		.amdhsa_wavefront_size32 1
		.amdhsa_uses_dynamic_stack 0
		.amdhsa_enable_private_segment 0
		.amdhsa_system_sgpr_workgroup_id_x 1
		.amdhsa_system_sgpr_workgroup_id_y 0
		.amdhsa_system_sgpr_workgroup_id_z 0
		.amdhsa_system_sgpr_workgroup_info 0
		.amdhsa_system_vgpr_workitem_id 0
		.amdhsa_next_free_vgpr 1
		.amdhsa_next_free_sgpr 1
		.amdhsa_reserve_vcc 0
		.amdhsa_float_round_mode_32 0
		.amdhsa_float_round_mode_16_64 0
		.amdhsa_float_denorm_mode_32 3
		.amdhsa_float_denorm_mode_16_64 3
		.amdhsa_fp16_overflow 0
		.amdhsa_workgroup_processor_mode 1
		.amdhsa_memory_ordered 1
		.amdhsa_forward_progress 1
		.amdhsa_inst_pref_size 0
		.amdhsa_round_robin_scheduling 0
		.amdhsa_exception_fp_ieee_invalid_op 0
		.amdhsa_exception_fp_denorm_src 0
		.amdhsa_exception_fp_ieee_div_zero 0
		.amdhsa_exception_fp_ieee_overflow 0
		.amdhsa_exception_fp_ieee_underflow 0
		.amdhsa_exception_fp_ieee_inexact 0
		.amdhsa_exception_int_div_zero 0
	.end_amdhsa_kernel
	.section	.text._ZN7rocprim17ROCPRIM_400000_NS6detail17trampoline_kernelINS0_14default_configENS1_25transform_config_selectorIjLb0EEEZNS1_14transform_implILb0ES3_S5_N6thrust23THRUST_200600_302600_NS6detail15normal_iteratorINS8_10device_ptrIjEEEEPjNS0_8identityIjEEEE10hipError_tT2_T3_mT4_P12ihipStream_tbEUlT_E_NS1_11comp_targetILNS1_3genE8ELNS1_11target_archE1030ELNS1_3gpuE2ELNS1_3repE0EEENS1_30default_config_static_selectorELNS0_4arch9wavefront6targetE0EEEvT1_,"axG",@progbits,_ZN7rocprim17ROCPRIM_400000_NS6detail17trampoline_kernelINS0_14default_configENS1_25transform_config_selectorIjLb0EEEZNS1_14transform_implILb0ES3_S5_N6thrust23THRUST_200600_302600_NS6detail15normal_iteratorINS8_10device_ptrIjEEEEPjNS0_8identityIjEEEE10hipError_tT2_T3_mT4_P12ihipStream_tbEUlT_E_NS1_11comp_targetILNS1_3genE8ELNS1_11target_archE1030ELNS1_3gpuE2ELNS1_3repE0EEENS1_30default_config_static_selectorELNS0_4arch9wavefront6targetE0EEEvT1_,comdat
.Lfunc_end165:
	.size	_ZN7rocprim17ROCPRIM_400000_NS6detail17trampoline_kernelINS0_14default_configENS1_25transform_config_selectorIjLb0EEEZNS1_14transform_implILb0ES3_S5_N6thrust23THRUST_200600_302600_NS6detail15normal_iteratorINS8_10device_ptrIjEEEEPjNS0_8identityIjEEEE10hipError_tT2_T3_mT4_P12ihipStream_tbEUlT_E_NS1_11comp_targetILNS1_3genE8ELNS1_11target_archE1030ELNS1_3gpuE2ELNS1_3repE0EEENS1_30default_config_static_selectorELNS0_4arch9wavefront6targetE0EEEvT1_, .Lfunc_end165-_ZN7rocprim17ROCPRIM_400000_NS6detail17trampoline_kernelINS0_14default_configENS1_25transform_config_selectorIjLb0EEEZNS1_14transform_implILb0ES3_S5_N6thrust23THRUST_200600_302600_NS6detail15normal_iteratorINS8_10device_ptrIjEEEEPjNS0_8identityIjEEEE10hipError_tT2_T3_mT4_P12ihipStream_tbEUlT_E_NS1_11comp_targetILNS1_3genE8ELNS1_11target_archE1030ELNS1_3gpuE2ELNS1_3repE0EEENS1_30default_config_static_selectorELNS0_4arch9wavefront6targetE0EEEvT1_
                                        ; -- End function
	.set _ZN7rocprim17ROCPRIM_400000_NS6detail17trampoline_kernelINS0_14default_configENS1_25transform_config_selectorIjLb0EEEZNS1_14transform_implILb0ES3_S5_N6thrust23THRUST_200600_302600_NS6detail15normal_iteratorINS8_10device_ptrIjEEEEPjNS0_8identityIjEEEE10hipError_tT2_T3_mT4_P12ihipStream_tbEUlT_E_NS1_11comp_targetILNS1_3genE8ELNS1_11target_archE1030ELNS1_3gpuE2ELNS1_3repE0EEENS1_30default_config_static_selectorELNS0_4arch9wavefront6targetE0EEEvT1_.num_vgpr, 0
	.set _ZN7rocprim17ROCPRIM_400000_NS6detail17trampoline_kernelINS0_14default_configENS1_25transform_config_selectorIjLb0EEEZNS1_14transform_implILb0ES3_S5_N6thrust23THRUST_200600_302600_NS6detail15normal_iteratorINS8_10device_ptrIjEEEEPjNS0_8identityIjEEEE10hipError_tT2_T3_mT4_P12ihipStream_tbEUlT_E_NS1_11comp_targetILNS1_3genE8ELNS1_11target_archE1030ELNS1_3gpuE2ELNS1_3repE0EEENS1_30default_config_static_selectorELNS0_4arch9wavefront6targetE0EEEvT1_.num_agpr, 0
	.set _ZN7rocprim17ROCPRIM_400000_NS6detail17trampoline_kernelINS0_14default_configENS1_25transform_config_selectorIjLb0EEEZNS1_14transform_implILb0ES3_S5_N6thrust23THRUST_200600_302600_NS6detail15normal_iteratorINS8_10device_ptrIjEEEEPjNS0_8identityIjEEEE10hipError_tT2_T3_mT4_P12ihipStream_tbEUlT_E_NS1_11comp_targetILNS1_3genE8ELNS1_11target_archE1030ELNS1_3gpuE2ELNS1_3repE0EEENS1_30default_config_static_selectorELNS0_4arch9wavefront6targetE0EEEvT1_.numbered_sgpr, 0
	.set _ZN7rocprim17ROCPRIM_400000_NS6detail17trampoline_kernelINS0_14default_configENS1_25transform_config_selectorIjLb0EEEZNS1_14transform_implILb0ES3_S5_N6thrust23THRUST_200600_302600_NS6detail15normal_iteratorINS8_10device_ptrIjEEEEPjNS0_8identityIjEEEE10hipError_tT2_T3_mT4_P12ihipStream_tbEUlT_E_NS1_11comp_targetILNS1_3genE8ELNS1_11target_archE1030ELNS1_3gpuE2ELNS1_3repE0EEENS1_30default_config_static_selectorELNS0_4arch9wavefront6targetE0EEEvT1_.num_named_barrier, 0
	.set _ZN7rocprim17ROCPRIM_400000_NS6detail17trampoline_kernelINS0_14default_configENS1_25transform_config_selectorIjLb0EEEZNS1_14transform_implILb0ES3_S5_N6thrust23THRUST_200600_302600_NS6detail15normal_iteratorINS8_10device_ptrIjEEEEPjNS0_8identityIjEEEE10hipError_tT2_T3_mT4_P12ihipStream_tbEUlT_E_NS1_11comp_targetILNS1_3genE8ELNS1_11target_archE1030ELNS1_3gpuE2ELNS1_3repE0EEENS1_30default_config_static_selectorELNS0_4arch9wavefront6targetE0EEEvT1_.private_seg_size, 0
	.set _ZN7rocprim17ROCPRIM_400000_NS6detail17trampoline_kernelINS0_14default_configENS1_25transform_config_selectorIjLb0EEEZNS1_14transform_implILb0ES3_S5_N6thrust23THRUST_200600_302600_NS6detail15normal_iteratorINS8_10device_ptrIjEEEEPjNS0_8identityIjEEEE10hipError_tT2_T3_mT4_P12ihipStream_tbEUlT_E_NS1_11comp_targetILNS1_3genE8ELNS1_11target_archE1030ELNS1_3gpuE2ELNS1_3repE0EEENS1_30default_config_static_selectorELNS0_4arch9wavefront6targetE0EEEvT1_.uses_vcc, 0
	.set _ZN7rocprim17ROCPRIM_400000_NS6detail17trampoline_kernelINS0_14default_configENS1_25transform_config_selectorIjLb0EEEZNS1_14transform_implILb0ES3_S5_N6thrust23THRUST_200600_302600_NS6detail15normal_iteratorINS8_10device_ptrIjEEEEPjNS0_8identityIjEEEE10hipError_tT2_T3_mT4_P12ihipStream_tbEUlT_E_NS1_11comp_targetILNS1_3genE8ELNS1_11target_archE1030ELNS1_3gpuE2ELNS1_3repE0EEENS1_30default_config_static_selectorELNS0_4arch9wavefront6targetE0EEEvT1_.uses_flat_scratch, 0
	.set _ZN7rocprim17ROCPRIM_400000_NS6detail17trampoline_kernelINS0_14default_configENS1_25transform_config_selectorIjLb0EEEZNS1_14transform_implILb0ES3_S5_N6thrust23THRUST_200600_302600_NS6detail15normal_iteratorINS8_10device_ptrIjEEEEPjNS0_8identityIjEEEE10hipError_tT2_T3_mT4_P12ihipStream_tbEUlT_E_NS1_11comp_targetILNS1_3genE8ELNS1_11target_archE1030ELNS1_3gpuE2ELNS1_3repE0EEENS1_30default_config_static_selectorELNS0_4arch9wavefront6targetE0EEEvT1_.has_dyn_sized_stack, 0
	.set _ZN7rocprim17ROCPRIM_400000_NS6detail17trampoline_kernelINS0_14default_configENS1_25transform_config_selectorIjLb0EEEZNS1_14transform_implILb0ES3_S5_N6thrust23THRUST_200600_302600_NS6detail15normal_iteratorINS8_10device_ptrIjEEEEPjNS0_8identityIjEEEE10hipError_tT2_T3_mT4_P12ihipStream_tbEUlT_E_NS1_11comp_targetILNS1_3genE8ELNS1_11target_archE1030ELNS1_3gpuE2ELNS1_3repE0EEENS1_30default_config_static_selectorELNS0_4arch9wavefront6targetE0EEEvT1_.has_recursion, 0
	.set _ZN7rocprim17ROCPRIM_400000_NS6detail17trampoline_kernelINS0_14default_configENS1_25transform_config_selectorIjLb0EEEZNS1_14transform_implILb0ES3_S5_N6thrust23THRUST_200600_302600_NS6detail15normal_iteratorINS8_10device_ptrIjEEEEPjNS0_8identityIjEEEE10hipError_tT2_T3_mT4_P12ihipStream_tbEUlT_E_NS1_11comp_targetILNS1_3genE8ELNS1_11target_archE1030ELNS1_3gpuE2ELNS1_3repE0EEENS1_30default_config_static_selectorELNS0_4arch9wavefront6targetE0EEEvT1_.has_indirect_call, 0
	.section	.AMDGPU.csdata,"",@progbits
; Kernel info:
; codeLenInByte = 0
; TotalNumSgprs: 0
; NumVgprs: 0
; ScratchSize: 0
; MemoryBound: 0
; FloatMode: 240
; IeeeMode: 1
; LDSByteSize: 0 bytes/workgroup (compile time only)
; SGPRBlocks: 0
; VGPRBlocks: 0
; NumSGPRsForWavesPerEU: 1
; NumVGPRsForWavesPerEU: 1
; Occupancy: 16
; WaveLimiterHint : 0
; COMPUTE_PGM_RSRC2:SCRATCH_EN: 0
; COMPUTE_PGM_RSRC2:USER_SGPR: 2
; COMPUTE_PGM_RSRC2:TRAP_HANDLER: 0
; COMPUTE_PGM_RSRC2:TGID_X_EN: 1
; COMPUTE_PGM_RSRC2:TGID_Y_EN: 0
; COMPUTE_PGM_RSRC2:TGID_Z_EN: 0
; COMPUTE_PGM_RSRC2:TIDIG_COMP_CNT: 0
	.section	.text._ZN7rocprim17ROCPRIM_400000_NS6detail17trampoline_kernelINS0_14default_configENS1_25transform_config_selectorIN6thrust23THRUST_200600_302600_NS5tupleIffNS6_9null_typeES8_S8_S8_S8_S8_S8_S8_EELb0EEEZNS1_14transform_implILb0ES3_SA_NS6_6detail15normal_iteratorINS6_10device_ptrIS9_EEEEPS9_NS0_8identityIS9_EEEE10hipError_tT2_T3_mT4_P12ihipStream_tbEUlT_E_NS1_11comp_targetILNS1_3genE0ELNS1_11target_archE4294967295ELNS1_3gpuE0ELNS1_3repE0EEENS1_30default_config_static_selectorELNS0_4arch9wavefront6targetE0EEEvT1_,"axG",@progbits,_ZN7rocprim17ROCPRIM_400000_NS6detail17trampoline_kernelINS0_14default_configENS1_25transform_config_selectorIN6thrust23THRUST_200600_302600_NS5tupleIffNS6_9null_typeES8_S8_S8_S8_S8_S8_S8_EELb0EEEZNS1_14transform_implILb0ES3_SA_NS6_6detail15normal_iteratorINS6_10device_ptrIS9_EEEEPS9_NS0_8identityIS9_EEEE10hipError_tT2_T3_mT4_P12ihipStream_tbEUlT_E_NS1_11comp_targetILNS1_3genE0ELNS1_11target_archE4294967295ELNS1_3gpuE0ELNS1_3repE0EEENS1_30default_config_static_selectorELNS0_4arch9wavefront6targetE0EEEvT1_,comdat
	.protected	_ZN7rocprim17ROCPRIM_400000_NS6detail17trampoline_kernelINS0_14default_configENS1_25transform_config_selectorIN6thrust23THRUST_200600_302600_NS5tupleIffNS6_9null_typeES8_S8_S8_S8_S8_S8_S8_EELb0EEEZNS1_14transform_implILb0ES3_SA_NS6_6detail15normal_iteratorINS6_10device_ptrIS9_EEEEPS9_NS0_8identityIS9_EEEE10hipError_tT2_T3_mT4_P12ihipStream_tbEUlT_E_NS1_11comp_targetILNS1_3genE0ELNS1_11target_archE4294967295ELNS1_3gpuE0ELNS1_3repE0EEENS1_30default_config_static_selectorELNS0_4arch9wavefront6targetE0EEEvT1_ ; -- Begin function _ZN7rocprim17ROCPRIM_400000_NS6detail17trampoline_kernelINS0_14default_configENS1_25transform_config_selectorIN6thrust23THRUST_200600_302600_NS5tupleIffNS6_9null_typeES8_S8_S8_S8_S8_S8_S8_EELb0EEEZNS1_14transform_implILb0ES3_SA_NS6_6detail15normal_iteratorINS6_10device_ptrIS9_EEEEPS9_NS0_8identityIS9_EEEE10hipError_tT2_T3_mT4_P12ihipStream_tbEUlT_E_NS1_11comp_targetILNS1_3genE0ELNS1_11target_archE4294967295ELNS1_3gpuE0ELNS1_3repE0EEENS1_30default_config_static_selectorELNS0_4arch9wavefront6targetE0EEEvT1_
	.globl	_ZN7rocprim17ROCPRIM_400000_NS6detail17trampoline_kernelINS0_14default_configENS1_25transform_config_selectorIN6thrust23THRUST_200600_302600_NS5tupleIffNS6_9null_typeES8_S8_S8_S8_S8_S8_S8_EELb0EEEZNS1_14transform_implILb0ES3_SA_NS6_6detail15normal_iteratorINS6_10device_ptrIS9_EEEEPS9_NS0_8identityIS9_EEEE10hipError_tT2_T3_mT4_P12ihipStream_tbEUlT_E_NS1_11comp_targetILNS1_3genE0ELNS1_11target_archE4294967295ELNS1_3gpuE0ELNS1_3repE0EEENS1_30default_config_static_selectorELNS0_4arch9wavefront6targetE0EEEvT1_
	.p2align	8
	.type	_ZN7rocprim17ROCPRIM_400000_NS6detail17trampoline_kernelINS0_14default_configENS1_25transform_config_selectorIN6thrust23THRUST_200600_302600_NS5tupleIffNS6_9null_typeES8_S8_S8_S8_S8_S8_S8_EELb0EEEZNS1_14transform_implILb0ES3_SA_NS6_6detail15normal_iteratorINS6_10device_ptrIS9_EEEEPS9_NS0_8identityIS9_EEEE10hipError_tT2_T3_mT4_P12ihipStream_tbEUlT_E_NS1_11comp_targetILNS1_3genE0ELNS1_11target_archE4294967295ELNS1_3gpuE0ELNS1_3repE0EEENS1_30default_config_static_selectorELNS0_4arch9wavefront6targetE0EEEvT1_,@function
_ZN7rocprim17ROCPRIM_400000_NS6detail17trampoline_kernelINS0_14default_configENS1_25transform_config_selectorIN6thrust23THRUST_200600_302600_NS5tupleIffNS6_9null_typeES8_S8_S8_S8_S8_S8_S8_EELb0EEEZNS1_14transform_implILb0ES3_SA_NS6_6detail15normal_iteratorINS6_10device_ptrIS9_EEEEPS9_NS0_8identityIS9_EEEE10hipError_tT2_T3_mT4_P12ihipStream_tbEUlT_E_NS1_11comp_targetILNS1_3genE0ELNS1_11target_archE4294967295ELNS1_3gpuE0ELNS1_3repE0EEENS1_30default_config_static_selectorELNS0_4arch9wavefront6targetE0EEEvT1_: ; @_ZN7rocprim17ROCPRIM_400000_NS6detail17trampoline_kernelINS0_14default_configENS1_25transform_config_selectorIN6thrust23THRUST_200600_302600_NS5tupleIffNS6_9null_typeES8_S8_S8_S8_S8_S8_S8_EELb0EEEZNS1_14transform_implILb0ES3_SA_NS6_6detail15normal_iteratorINS6_10device_ptrIS9_EEEEPS9_NS0_8identityIS9_EEEE10hipError_tT2_T3_mT4_P12ihipStream_tbEUlT_E_NS1_11comp_targetILNS1_3genE0ELNS1_11target_archE4294967295ELNS1_3gpuE0ELNS1_3repE0EEENS1_30default_config_static_selectorELNS0_4arch9wavefront6targetE0EEEvT1_
; %bb.0:
	.section	.rodata,"a",@progbits
	.p2align	6, 0x0
	.amdhsa_kernel _ZN7rocprim17ROCPRIM_400000_NS6detail17trampoline_kernelINS0_14default_configENS1_25transform_config_selectorIN6thrust23THRUST_200600_302600_NS5tupleIffNS6_9null_typeES8_S8_S8_S8_S8_S8_S8_EELb0EEEZNS1_14transform_implILb0ES3_SA_NS6_6detail15normal_iteratorINS6_10device_ptrIS9_EEEEPS9_NS0_8identityIS9_EEEE10hipError_tT2_T3_mT4_P12ihipStream_tbEUlT_E_NS1_11comp_targetILNS1_3genE0ELNS1_11target_archE4294967295ELNS1_3gpuE0ELNS1_3repE0EEENS1_30default_config_static_selectorELNS0_4arch9wavefront6targetE0EEEvT1_
		.amdhsa_group_segment_fixed_size 0
		.amdhsa_private_segment_fixed_size 0
		.amdhsa_kernarg_size 40
		.amdhsa_user_sgpr_count 2
		.amdhsa_user_sgpr_dispatch_ptr 0
		.amdhsa_user_sgpr_queue_ptr 0
		.amdhsa_user_sgpr_kernarg_segment_ptr 1
		.amdhsa_user_sgpr_dispatch_id 0
		.amdhsa_user_sgpr_private_segment_size 0
		.amdhsa_wavefront_size32 1
		.amdhsa_uses_dynamic_stack 0
		.amdhsa_enable_private_segment 0
		.amdhsa_system_sgpr_workgroup_id_x 1
		.amdhsa_system_sgpr_workgroup_id_y 0
		.amdhsa_system_sgpr_workgroup_id_z 0
		.amdhsa_system_sgpr_workgroup_info 0
		.amdhsa_system_vgpr_workitem_id 0
		.amdhsa_next_free_vgpr 1
		.amdhsa_next_free_sgpr 1
		.amdhsa_reserve_vcc 0
		.amdhsa_float_round_mode_32 0
		.amdhsa_float_round_mode_16_64 0
		.amdhsa_float_denorm_mode_32 3
		.amdhsa_float_denorm_mode_16_64 3
		.amdhsa_fp16_overflow 0
		.amdhsa_workgroup_processor_mode 1
		.amdhsa_memory_ordered 1
		.amdhsa_forward_progress 1
		.amdhsa_inst_pref_size 0
		.amdhsa_round_robin_scheduling 0
		.amdhsa_exception_fp_ieee_invalid_op 0
		.amdhsa_exception_fp_denorm_src 0
		.amdhsa_exception_fp_ieee_div_zero 0
		.amdhsa_exception_fp_ieee_overflow 0
		.amdhsa_exception_fp_ieee_underflow 0
		.amdhsa_exception_fp_ieee_inexact 0
		.amdhsa_exception_int_div_zero 0
	.end_amdhsa_kernel
	.section	.text._ZN7rocprim17ROCPRIM_400000_NS6detail17trampoline_kernelINS0_14default_configENS1_25transform_config_selectorIN6thrust23THRUST_200600_302600_NS5tupleIffNS6_9null_typeES8_S8_S8_S8_S8_S8_S8_EELb0EEEZNS1_14transform_implILb0ES3_SA_NS6_6detail15normal_iteratorINS6_10device_ptrIS9_EEEEPS9_NS0_8identityIS9_EEEE10hipError_tT2_T3_mT4_P12ihipStream_tbEUlT_E_NS1_11comp_targetILNS1_3genE0ELNS1_11target_archE4294967295ELNS1_3gpuE0ELNS1_3repE0EEENS1_30default_config_static_selectorELNS0_4arch9wavefront6targetE0EEEvT1_,"axG",@progbits,_ZN7rocprim17ROCPRIM_400000_NS6detail17trampoline_kernelINS0_14default_configENS1_25transform_config_selectorIN6thrust23THRUST_200600_302600_NS5tupleIffNS6_9null_typeES8_S8_S8_S8_S8_S8_S8_EELb0EEEZNS1_14transform_implILb0ES3_SA_NS6_6detail15normal_iteratorINS6_10device_ptrIS9_EEEEPS9_NS0_8identityIS9_EEEE10hipError_tT2_T3_mT4_P12ihipStream_tbEUlT_E_NS1_11comp_targetILNS1_3genE0ELNS1_11target_archE4294967295ELNS1_3gpuE0ELNS1_3repE0EEENS1_30default_config_static_selectorELNS0_4arch9wavefront6targetE0EEEvT1_,comdat
.Lfunc_end166:
	.size	_ZN7rocprim17ROCPRIM_400000_NS6detail17trampoline_kernelINS0_14default_configENS1_25transform_config_selectorIN6thrust23THRUST_200600_302600_NS5tupleIffNS6_9null_typeES8_S8_S8_S8_S8_S8_S8_EELb0EEEZNS1_14transform_implILb0ES3_SA_NS6_6detail15normal_iteratorINS6_10device_ptrIS9_EEEEPS9_NS0_8identityIS9_EEEE10hipError_tT2_T3_mT4_P12ihipStream_tbEUlT_E_NS1_11comp_targetILNS1_3genE0ELNS1_11target_archE4294967295ELNS1_3gpuE0ELNS1_3repE0EEENS1_30default_config_static_selectorELNS0_4arch9wavefront6targetE0EEEvT1_, .Lfunc_end166-_ZN7rocprim17ROCPRIM_400000_NS6detail17trampoline_kernelINS0_14default_configENS1_25transform_config_selectorIN6thrust23THRUST_200600_302600_NS5tupleIffNS6_9null_typeES8_S8_S8_S8_S8_S8_S8_EELb0EEEZNS1_14transform_implILb0ES3_SA_NS6_6detail15normal_iteratorINS6_10device_ptrIS9_EEEEPS9_NS0_8identityIS9_EEEE10hipError_tT2_T3_mT4_P12ihipStream_tbEUlT_E_NS1_11comp_targetILNS1_3genE0ELNS1_11target_archE4294967295ELNS1_3gpuE0ELNS1_3repE0EEENS1_30default_config_static_selectorELNS0_4arch9wavefront6targetE0EEEvT1_
                                        ; -- End function
	.set _ZN7rocprim17ROCPRIM_400000_NS6detail17trampoline_kernelINS0_14default_configENS1_25transform_config_selectorIN6thrust23THRUST_200600_302600_NS5tupleIffNS6_9null_typeES8_S8_S8_S8_S8_S8_S8_EELb0EEEZNS1_14transform_implILb0ES3_SA_NS6_6detail15normal_iteratorINS6_10device_ptrIS9_EEEEPS9_NS0_8identityIS9_EEEE10hipError_tT2_T3_mT4_P12ihipStream_tbEUlT_E_NS1_11comp_targetILNS1_3genE0ELNS1_11target_archE4294967295ELNS1_3gpuE0ELNS1_3repE0EEENS1_30default_config_static_selectorELNS0_4arch9wavefront6targetE0EEEvT1_.num_vgpr, 0
	.set _ZN7rocprim17ROCPRIM_400000_NS6detail17trampoline_kernelINS0_14default_configENS1_25transform_config_selectorIN6thrust23THRUST_200600_302600_NS5tupleIffNS6_9null_typeES8_S8_S8_S8_S8_S8_S8_EELb0EEEZNS1_14transform_implILb0ES3_SA_NS6_6detail15normal_iteratorINS6_10device_ptrIS9_EEEEPS9_NS0_8identityIS9_EEEE10hipError_tT2_T3_mT4_P12ihipStream_tbEUlT_E_NS1_11comp_targetILNS1_3genE0ELNS1_11target_archE4294967295ELNS1_3gpuE0ELNS1_3repE0EEENS1_30default_config_static_selectorELNS0_4arch9wavefront6targetE0EEEvT1_.num_agpr, 0
	.set _ZN7rocprim17ROCPRIM_400000_NS6detail17trampoline_kernelINS0_14default_configENS1_25transform_config_selectorIN6thrust23THRUST_200600_302600_NS5tupleIffNS6_9null_typeES8_S8_S8_S8_S8_S8_S8_EELb0EEEZNS1_14transform_implILb0ES3_SA_NS6_6detail15normal_iteratorINS6_10device_ptrIS9_EEEEPS9_NS0_8identityIS9_EEEE10hipError_tT2_T3_mT4_P12ihipStream_tbEUlT_E_NS1_11comp_targetILNS1_3genE0ELNS1_11target_archE4294967295ELNS1_3gpuE0ELNS1_3repE0EEENS1_30default_config_static_selectorELNS0_4arch9wavefront6targetE0EEEvT1_.numbered_sgpr, 0
	.set _ZN7rocprim17ROCPRIM_400000_NS6detail17trampoline_kernelINS0_14default_configENS1_25transform_config_selectorIN6thrust23THRUST_200600_302600_NS5tupleIffNS6_9null_typeES8_S8_S8_S8_S8_S8_S8_EELb0EEEZNS1_14transform_implILb0ES3_SA_NS6_6detail15normal_iteratorINS6_10device_ptrIS9_EEEEPS9_NS0_8identityIS9_EEEE10hipError_tT2_T3_mT4_P12ihipStream_tbEUlT_E_NS1_11comp_targetILNS1_3genE0ELNS1_11target_archE4294967295ELNS1_3gpuE0ELNS1_3repE0EEENS1_30default_config_static_selectorELNS0_4arch9wavefront6targetE0EEEvT1_.num_named_barrier, 0
	.set _ZN7rocprim17ROCPRIM_400000_NS6detail17trampoline_kernelINS0_14default_configENS1_25transform_config_selectorIN6thrust23THRUST_200600_302600_NS5tupleIffNS6_9null_typeES8_S8_S8_S8_S8_S8_S8_EELb0EEEZNS1_14transform_implILb0ES3_SA_NS6_6detail15normal_iteratorINS6_10device_ptrIS9_EEEEPS9_NS0_8identityIS9_EEEE10hipError_tT2_T3_mT4_P12ihipStream_tbEUlT_E_NS1_11comp_targetILNS1_3genE0ELNS1_11target_archE4294967295ELNS1_3gpuE0ELNS1_3repE0EEENS1_30default_config_static_selectorELNS0_4arch9wavefront6targetE0EEEvT1_.private_seg_size, 0
	.set _ZN7rocprim17ROCPRIM_400000_NS6detail17trampoline_kernelINS0_14default_configENS1_25transform_config_selectorIN6thrust23THRUST_200600_302600_NS5tupleIffNS6_9null_typeES8_S8_S8_S8_S8_S8_S8_EELb0EEEZNS1_14transform_implILb0ES3_SA_NS6_6detail15normal_iteratorINS6_10device_ptrIS9_EEEEPS9_NS0_8identityIS9_EEEE10hipError_tT2_T3_mT4_P12ihipStream_tbEUlT_E_NS1_11comp_targetILNS1_3genE0ELNS1_11target_archE4294967295ELNS1_3gpuE0ELNS1_3repE0EEENS1_30default_config_static_selectorELNS0_4arch9wavefront6targetE0EEEvT1_.uses_vcc, 0
	.set _ZN7rocprim17ROCPRIM_400000_NS6detail17trampoline_kernelINS0_14default_configENS1_25transform_config_selectorIN6thrust23THRUST_200600_302600_NS5tupleIffNS6_9null_typeES8_S8_S8_S8_S8_S8_S8_EELb0EEEZNS1_14transform_implILb0ES3_SA_NS6_6detail15normal_iteratorINS6_10device_ptrIS9_EEEEPS9_NS0_8identityIS9_EEEE10hipError_tT2_T3_mT4_P12ihipStream_tbEUlT_E_NS1_11comp_targetILNS1_3genE0ELNS1_11target_archE4294967295ELNS1_3gpuE0ELNS1_3repE0EEENS1_30default_config_static_selectorELNS0_4arch9wavefront6targetE0EEEvT1_.uses_flat_scratch, 0
	.set _ZN7rocprim17ROCPRIM_400000_NS6detail17trampoline_kernelINS0_14default_configENS1_25transform_config_selectorIN6thrust23THRUST_200600_302600_NS5tupleIffNS6_9null_typeES8_S8_S8_S8_S8_S8_S8_EELb0EEEZNS1_14transform_implILb0ES3_SA_NS6_6detail15normal_iteratorINS6_10device_ptrIS9_EEEEPS9_NS0_8identityIS9_EEEE10hipError_tT2_T3_mT4_P12ihipStream_tbEUlT_E_NS1_11comp_targetILNS1_3genE0ELNS1_11target_archE4294967295ELNS1_3gpuE0ELNS1_3repE0EEENS1_30default_config_static_selectorELNS0_4arch9wavefront6targetE0EEEvT1_.has_dyn_sized_stack, 0
	.set _ZN7rocprim17ROCPRIM_400000_NS6detail17trampoline_kernelINS0_14default_configENS1_25transform_config_selectorIN6thrust23THRUST_200600_302600_NS5tupleIffNS6_9null_typeES8_S8_S8_S8_S8_S8_S8_EELb0EEEZNS1_14transform_implILb0ES3_SA_NS6_6detail15normal_iteratorINS6_10device_ptrIS9_EEEEPS9_NS0_8identityIS9_EEEE10hipError_tT2_T3_mT4_P12ihipStream_tbEUlT_E_NS1_11comp_targetILNS1_3genE0ELNS1_11target_archE4294967295ELNS1_3gpuE0ELNS1_3repE0EEENS1_30default_config_static_selectorELNS0_4arch9wavefront6targetE0EEEvT1_.has_recursion, 0
	.set _ZN7rocprim17ROCPRIM_400000_NS6detail17trampoline_kernelINS0_14default_configENS1_25transform_config_selectorIN6thrust23THRUST_200600_302600_NS5tupleIffNS6_9null_typeES8_S8_S8_S8_S8_S8_S8_EELb0EEEZNS1_14transform_implILb0ES3_SA_NS6_6detail15normal_iteratorINS6_10device_ptrIS9_EEEEPS9_NS0_8identityIS9_EEEE10hipError_tT2_T3_mT4_P12ihipStream_tbEUlT_E_NS1_11comp_targetILNS1_3genE0ELNS1_11target_archE4294967295ELNS1_3gpuE0ELNS1_3repE0EEENS1_30default_config_static_selectorELNS0_4arch9wavefront6targetE0EEEvT1_.has_indirect_call, 0
	.section	.AMDGPU.csdata,"",@progbits
; Kernel info:
; codeLenInByte = 0
; TotalNumSgprs: 0
; NumVgprs: 0
; ScratchSize: 0
; MemoryBound: 0
; FloatMode: 240
; IeeeMode: 1
; LDSByteSize: 0 bytes/workgroup (compile time only)
; SGPRBlocks: 0
; VGPRBlocks: 0
; NumSGPRsForWavesPerEU: 1
; NumVGPRsForWavesPerEU: 1
; Occupancy: 16
; WaveLimiterHint : 0
; COMPUTE_PGM_RSRC2:SCRATCH_EN: 0
; COMPUTE_PGM_RSRC2:USER_SGPR: 2
; COMPUTE_PGM_RSRC2:TRAP_HANDLER: 0
; COMPUTE_PGM_RSRC2:TGID_X_EN: 1
; COMPUTE_PGM_RSRC2:TGID_Y_EN: 0
; COMPUTE_PGM_RSRC2:TGID_Z_EN: 0
; COMPUTE_PGM_RSRC2:TIDIG_COMP_CNT: 0
	.section	.text._ZN7rocprim17ROCPRIM_400000_NS6detail17trampoline_kernelINS0_14default_configENS1_25transform_config_selectorIN6thrust23THRUST_200600_302600_NS5tupleIffNS6_9null_typeES8_S8_S8_S8_S8_S8_S8_EELb0EEEZNS1_14transform_implILb0ES3_SA_NS6_6detail15normal_iteratorINS6_10device_ptrIS9_EEEEPS9_NS0_8identityIS9_EEEE10hipError_tT2_T3_mT4_P12ihipStream_tbEUlT_E_NS1_11comp_targetILNS1_3genE5ELNS1_11target_archE942ELNS1_3gpuE9ELNS1_3repE0EEENS1_30default_config_static_selectorELNS0_4arch9wavefront6targetE0EEEvT1_,"axG",@progbits,_ZN7rocprim17ROCPRIM_400000_NS6detail17trampoline_kernelINS0_14default_configENS1_25transform_config_selectorIN6thrust23THRUST_200600_302600_NS5tupleIffNS6_9null_typeES8_S8_S8_S8_S8_S8_S8_EELb0EEEZNS1_14transform_implILb0ES3_SA_NS6_6detail15normal_iteratorINS6_10device_ptrIS9_EEEEPS9_NS0_8identityIS9_EEEE10hipError_tT2_T3_mT4_P12ihipStream_tbEUlT_E_NS1_11comp_targetILNS1_3genE5ELNS1_11target_archE942ELNS1_3gpuE9ELNS1_3repE0EEENS1_30default_config_static_selectorELNS0_4arch9wavefront6targetE0EEEvT1_,comdat
	.protected	_ZN7rocprim17ROCPRIM_400000_NS6detail17trampoline_kernelINS0_14default_configENS1_25transform_config_selectorIN6thrust23THRUST_200600_302600_NS5tupleIffNS6_9null_typeES8_S8_S8_S8_S8_S8_S8_EELb0EEEZNS1_14transform_implILb0ES3_SA_NS6_6detail15normal_iteratorINS6_10device_ptrIS9_EEEEPS9_NS0_8identityIS9_EEEE10hipError_tT2_T3_mT4_P12ihipStream_tbEUlT_E_NS1_11comp_targetILNS1_3genE5ELNS1_11target_archE942ELNS1_3gpuE9ELNS1_3repE0EEENS1_30default_config_static_selectorELNS0_4arch9wavefront6targetE0EEEvT1_ ; -- Begin function _ZN7rocprim17ROCPRIM_400000_NS6detail17trampoline_kernelINS0_14default_configENS1_25transform_config_selectorIN6thrust23THRUST_200600_302600_NS5tupleIffNS6_9null_typeES8_S8_S8_S8_S8_S8_S8_EELb0EEEZNS1_14transform_implILb0ES3_SA_NS6_6detail15normal_iteratorINS6_10device_ptrIS9_EEEEPS9_NS0_8identityIS9_EEEE10hipError_tT2_T3_mT4_P12ihipStream_tbEUlT_E_NS1_11comp_targetILNS1_3genE5ELNS1_11target_archE942ELNS1_3gpuE9ELNS1_3repE0EEENS1_30default_config_static_selectorELNS0_4arch9wavefront6targetE0EEEvT1_
	.globl	_ZN7rocprim17ROCPRIM_400000_NS6detail17trampoline_kernelINS0_14default_configENS1_25transform_config_selectorIN6thrust23THRUST_200600_302600_NS5tupleIffNS6_9null_typeES8_S8_S8_S8_S8_S8_S8_EELb0EEEZNS1_14transform_implILb0ES3_SA_NS6_6detail15normal_iteratorINS6_10device_ptrIS9_EEEEPS9_NS0_8identityIS9_EEEE10hipError_tT2_T3_mT4_P12ihipStream_tbEUlT_E_NS1_11comp_targetILNS1_3genE5ELNS1_11target_archE942ELNS1_3gpuE9ELNS1_3repE0EEENS1_30default_config_static_selectorELNS0_4arch9wavefront6targetE0EEEvT1_
	.p2align	8
	.type	_ZN7rocprim17ROCPRIM_400000_NS6detail17trampoline_kernelINS0_14default_configENS1_25transform_config_selectorIN6thrust23THRUST_200600_302600_NS5tupleIffNS6_9null_typeES8_S8_S8_S8_S8_S8_S8_EELb0EEEZNS1_14transform_implILb0ES3_SA_NS6_6detail15normal_iteratorINS6_10device_ptrIS9_EEEEPS9_NS0_8identityIS9_EEEE10hipError_tT2_T3_mT4_P12ihipStream_tbEUlT_E_NS1_11comp_targetILNS1_3genE5ELNS1_11target_archE942ELNS1_3gpuE9ELNS1_3repE0EEENS1_30default_config_static_selectorELNS0_4arch9wavefront6targetE0EEEvT1_,@function
_ZN7rocprim17ROCPRIM_400000_NS6detail17trampoline_kernelINS0_14default_configENS1_25transform_config_selectorIN6thrust23THRUST_200600_302600_NS5tupleIffNS6_9null_typeES8_S8_S8_S8_S8_S8_S8_EELb0EEEZNS1_14transform_implILb0ES3_SA_NS6_6detail15normal_iteratorINS6_10device_ptrIS9_EEEEPS9_NS0_8identityIS9_EEEE10hipError_tT2_T3_mT4_P12ihipStream_tbEUlT_E_NS1_11comp_targetILNS1_3genE5ELNS1_11target_archE942ELNS1_3gpuE9ELNS1_3repE0EEENS1_30default_config_static_selectorELNS0_4arch9wavefront6targetE0EEEvT1_: ; @_ZN7rocprim17ROCPRIM_400000_NS6detail17trampoline_kernelINS0_14default_configENS1_25transform_config_selectorIN6thrust23THRUST_200600_302600_NS5tupleIffNS6_9null_typeES8_S8_S8_S8_S8_S8_S8_EELb0EEEZNS1_14transform_implILb0ES3_SA_NS6_6detail15normal_iteratorINS6_10device_ptrIS9_EEEEPS9_NS0_8identityIS9_EEEE10hipError_tT2_T3_mT4_P12ihipStream_tbEUlT_E_NS1_11comp_targetILNS1_3genE5ELNS1_11target_archE942ELNS1_3gpuE9ELNS1_3repE0EEENS1_30default_config_static_selectorELNS0_4arch9wavefront6targetE0EEEvT1_
; %bb.0:
	.section	.rodata,"a",@progbits
	.p2align	6, 0x0
	.amdhsa_kernel _ZN7rocprim17ROCPRIM_400000_NS6detail17trampoline_kernelINS0_14default_configENS1_25transform_config_selectorIN6thrust23THRUST_200600_302600_NS5tupleIffNS6_9null_typeES8_S8_S8_S8_S8_S8_S8_EELb0EEEZNS1_14transform_implILb0ES3_SA_NS6_6detail15normal_iteratorINS6_10device_ptrIS9_EEEEPS9_NS0_8identityIS9_EEEE10hipError_tT2_T3_mT4_P12ihipStream_tbEUlT_E_NS1_11comp_targetILNS1_3genE5ELNS1_11target_archE942ELNS1_3gpuE9ELNS1_3repE0EEENS1_30default_config_static_selectorELNS0_4arch9wavefront6targetE0EEEvT1_
		.amdhsa_group_segment_fixed_size 0
		.amdhsa_private_segment_fixed_size 0
		.amdhsa_kernarg_size 40
		.amdhsa_user_sgpr_count 2
		.amdhsa_user_sgpr_dispatch_ptr 0
		.amdhsa_user_sgpr_queue_ptr 0
		.amdhsa_user_sgpr_kernarg_segment_ptr 1
		.amdhsa_user_sgpr_dispatch_id 0
		.amdhsa_user_sgpr_private_segment_size 0
		.amdhsa_wavefront_size32 1
		.amdhsa_uses_dynamic_stack 0
		.amdhsa_enable_private_segment 0
		.amdhsa_system_sgpr_workgroup_id_x 1
		.amdhsa_system_sgpr_workgroup_id_y 0
		.amdhsa_system_sgpr_workgroup_id_z 0
		.amdhsa_system_sgpr_workgroup_info 0
		.amdhsa_system_vgpr_workitem_id 0
		.amdhsa_next_free_vgpr 1
		.amdhsa_next_free_sgpr 1
		.amdhsa_reserve_vcc 0
		.amdhsa_float_round_mode_32 0
		.amdhsa_float_round_mode_16_64 0
		.amdhsa_float_denorm_mode_32 3
		.amdhsa_float_denorm_mode_16_64 3
		.amdhsa_fp16_overflow 0
		.amdhsa_workgroup_processor_mode 1
		.amdhsa_memory_ordered 1
		.amdhsa_forward_progress 1
		.amdhsa_inst_pref_size 0
		.amdhsa_round_robin_scheduling 0
		.amdhsa_exception_fp_ieee_invalid_op 0
		.amdhsa_exception_fp_denorm_src 0
		.amdhsa_exception_fp_ieee_div_zero 0
		.amdhsa_exception_fp_ieee_overflow 0
		.amdhsa_exception_fp_ieee_underflow 0
		.amdhsa_exception_fp_ieee_inexact 0
		.amdhsa_exception_int_div_zero 0
	.end_amdhsa_kernel
	.section	.text._ZN7rocprim17ROCPRIM_400000_NS6detail17trampoline_kernelINS0_14default_configENS1_25transform_config_selectorIN6thrust23THRUST_200600_302600_NS5tupleIffNS6_9null_typeES8_S8_S8_S8_S8_S8_S8_EELb0EEEZNS1_14transform_implILb0ES3_SA_NS6_6detail15normal_iteratorINS6_10device_ptrIS9_EEEEPS9_NS0_8identityIS9_EEEE10hipError_tT2_T3_mT4_P12ihipStream_tbEUlT_E_NS1_11comp_targetILNS1_3genE5ELNS1_11target_archE942ELNS1_3gpuE9ELNS1_3repE0EEENS1_30default_config_static_selectorELNS0_4arch9wavefront6targetE0EEEvT1_,"axG",@progbits,_ZN7rocprim17ROCPRIM_400000_NS6detail17trampoline_kernelINS0_14default_configENS1_25transform_config_selectorIN6thrust23THRUST_200600_302600_NS5tupleIffNS6_9null_typeES8_S8_S8_S8_S8_S8_S8_EELb0EEEZNS1_14transform_implILb0ES3_SA_NS6_6detail15normal_iteratorINS6_10device_ptrIS9_EEEEPS9_NS0_8identityIS9_EEEE10hipError_tT2_T3_mT4_P12ihipStream_tbEUlT_E_NS1_11comp_targetILNS1_3genE5ELNS1_11target_archE942ELNS1_3gpuE9ELNS1_3repE0EEENS1_30default_config_static_selectorELNS0_4arch9wavefront6targetE0EEEvT1_,comdat
.Lfunc_end167:
	.size	_ZN7rocprim17ROCPRIM_400000_NS6detail17trampoline_kernelINS0_14default_configENS1_25transform_config_selectorIN6thrust23THRUST_200600_302600_NS5tupleIffNS6_9null_typeES8_S8_S8_S8_S8_S8_S8_EELb0EEEZNS1_14transform_implILb0ES3_SA_NS6_6detail15normal_iteratorINS6_10device_ptrIS9_EEEEPS9_NS0_8identityIS9_EEEE10hipError_tT2_T3_mT4_P12ihipStream_tbEUlT_E_NS1_11comp_targetILNS1_3genE5ELNS1_11target_archE942ELNS1_3gpuE9ELNS1_3repE0EEENS1_30default_config_static_selectorELNS0_4arch9wavefront6targetE0EEEvT1_, .Lfunc_end167-_ZN7rocprim17ROCPRIM_400000_NS6detail17trampoline_kernelINS0_14default_configENS1_25transform_config_selectorIN6thrust23THRUST_200600_302600_NS5tupleIffNS6_9null_typeES8_S8_S8_S8_S8_S8_S8_EELb0EEEZNS1_14transform_implILb0ES3_SA_NS6_6detail15normal_iteratorINS6_10device_ptrIS9_EEEEPS9_NS0_8identityIS9_EEEE10hipError_tT2_T3_mT4_P12ihipStream_tbEUlT_E_NS1_11comp_targetILNS1_3genE5ELNS1_11target_archE942ELNS1_3gpuE9ELNS1_3repE0EEENS1_30default_config_static_selectorELNS0_4arch9wavefront6targetE0EEEvT1_
                                        ; -- End function
	.set _ZN7rocprim17ROCPRIM_400000_NS6detail17trampoline_kernelINS0_14default_configENS1_25transform_config_selectorIN6thrust23THRUST_200600_302600_NS5tupleIffNS6_9null_typeES8_S8_S8_S8_S8_S8_S8_EELb0EEEZNS1_14transform_implILb0ES3_SA_NS6_6detail15normal_iteratorINS6_10device_ptrIS9_EEEEPS9_NS0_8identityIS9_EEEE10hipError_tT2_T3_mT4_P12ihipStream_tbEUlT_E_NS1_11comp_targetILNS1_3genE5ELNS1_11target_archE942ELNS1_3gpuE9ELNS1_3repE0EEENS1_30default_config_static_selectorELNS0_4arch9wavefront6targetE0EEEvT1_.num_vgpr, 0
	.set _ZN7rocprim17ROCPRIM_400000_NS6detail17trampoline_kernelINS0_14default_configENS1_25transform_config_selectorIN6thrust23THRUST_200600_302600_NS5tupleIffNS6_9null_typeES8_S8_S8_S8_S8_S8_S8_EELb0EEEZNS1_14transform_implILb0ES3_SA_NS6_6detail15normal_iteratorINS6_10device_ptrIS9_EEEEPS9_NS0_8identityIS9_EEEE10hipError_tT2_T3_mT4_P12ihipStream_tbEUlT_E_NS1_11comp_targetILNS1_3genE5ELNS1_11target_archE942ELNS1_3gpuE9ELNS1_3repE0EEENS1_30default_config_static_selectorELNS0_4arch9wavefront6targetE0EEEvT1_.num_agpr, 0
	.set _ZN7rocprim17ROCPRIM_400000_NS6detail17trampoline_kernelINS0_14default_configENS1_25transform_config_selectorIN6thrust23THRUST_200600_302600_NS5tupleIffNS6_9null_typeES8_S8_S8_S8_S8_S8_S8_EELb0EEEZNS1_14transform_implILb0ES3_SA_NS6_6detail15normal_iteratorINS6_10device_ptrIS9_EEEEPS9_NS0_8identityIS9_EEEE10hipError_tT2_T3_mT4_P12ihipStream_tbEUlT_E_NS1_11comp_targetILNS1_3genE5ELNS1_11target_archE942ELNS1_3gpuE9ELNS1_3repE0EEENS1_30default_config_static_selectorELNS0_4arch9wavefront6targetE0EEEvT1_.numbered_sgpr, 0
	.set _ZN7rocprim17ROCPRIM_400000_NS6detail17trampoline_kernelINS0_14default_configENS1_25transform_config_selectorIN6thrust23THRUST_200600_302600_NS5tupleIffNS6_9null_typeES8_S8_S8_S8_S8_S8_S8_EELb0EEEZNS1_14transform_implILb0ES3_SA_NS6_6detail15normal_iteratorINS6_10device_ptrIS9_EEEEPS9_NS0_8identityIS9_EEEE10hipError_tT2_T3_mT4_P12ihipStream_tbEUlT_E_NS1_11comp_targetILNS1_3genE5ELNS1_11target_archE942ELNS1_3gpuE9ELNS1_3repE0EEENS1_30default_config_static_selectorELNS0_4arch9wavefront6targetE0EEEvT1_.num_named_barrier, 0
	.set _ZN7rocprim17ROCPRIM_400000_NS6detail17trampoline_kernelINS0_14default_configENS1_25transform_config_selectorIN6thrust23THRUST_200600_302600_NS5tupleIffNS6_9null_typeES8_S8_S8_S8_S8_S8_S8_EELb0EEEZNS1_14transform_implILb0ES3_SA_NS6_6detail15normal_iteratorINS6_10device_ptrIS9_EEEEPS9_NS0_8identityIS9_EEEE10hipError_tT2_T3_mT4_P12ihipStream_tbEUlT_E_NS1_11comp_targetILNS1_3genE5ELNS1_11target_archE942ELNS1_3gpuE9ELNS1_3repE0EEENS1_30default_config_static_selectorELNS0_4arch9wavefront6targetE0EEEvT1_.private_seg_size, 0
	.set _ZN7rocprim17ROCPRIM_400000_NS6detail17trampoline_kernelINS0_14default_configENS1_25transform_config_selectorIN6thrust23THRUST_200600_302600_NS5tupleIffNS6_9null_typeES8_S8_S8_S8_S8_S8_S8_EELb0EEEZNS1_14transform_implILb0ES3_SA_NS6_6detail15normal_iteratorINS6_10device_ptrIS9_EEEEPS9_NS0_8identityIS9_EEEE10hipError_tT2_T3_mT4_P12ihipStream_tbEUlT_E_NS1_11comp_targetILNS1_3genE5ELNS1_11target_archE942ELNS1_3gpuE9ELNS1_3repE0EEENS1_30default_config_static_selectorELNS0_4arch9wavefront6targetE0EEEvT1_.uses_vcc, 0
	.set _ZN7rocprim17ROCPRIM_400000_NS6detail17trampoline_kernelINS0_14default_configENS1_25transform_config_selectorIN6thrust23THRUST_200600_302600_NS5tupleIffNS6_9null_typeES8_S8_S8_S8_S8_S8_S8_EELb0EEEZNS1_14transform_implILb0ES3_SA_NS6_6detail15normal_iteratorINS6_10device_ptrIS9_EEEEPS9_NS0_8identityIS9_EEEE10hipError_tT2_T3_mT4_P12ihipStream_tbEUlT_E_NS1_11comp_targetILNS1_3genE5ELNS1_11target_archE942ELNS1_3gpuE9ELNS1_3repE0EEENS1_30default_config_static_selectorELNS0_4arch9wavefront6targetE0EEEvT1_.uses_flat_scratch, 0
	.set _ZN7rocprim17ROCPRIM_400000_NS6detail17trampoline_kernelINS0_14default_configENS1_25transform_config_selectorIN6thrust23THRUST_200600_302600_NS5tupleIffNS6_9null_typeES8_S8_S8_S8_S8_S8_S8_EELb0EEEZNS1_14transform_implILb0ES3_SA_NS6_6detail15normal_iteratorINS6_10device_ptrIS9_EEEEPS9_NS0_8identityIS9_EEEE10hipError_tT2_T3_mT4_P12ihipStream_tbEUlT_E_NS1_11comp_targetILNS1_3genE5ELNS1_11target_archE942ELNS1_3gpuE9ELNS1_3repE0EEENS1_30default_config_static_selectorELNS0_4arch9wavefront6targetE0EEEvT1_.has_dyn_sized_stack, 0
	.set _ZN7rocprim17ROCPRIM_400000_NS6detail17trampoline_kernelINS0_14default_configENS1_25transform_config_selectorIN6thrust23THRUST_200600_302600_NS5tupleIffNS6_9null_typeES8_S8_S8_S8_S8_S8_S8_EELb0EEEZNS1_14transform_implILb0ES3_SA_NS6_6detail15normal_iteratorINS6_10device_ptrIS9_EEEEPS9_NS0_8identityIS9_EEEE10hipError_tT2_T3_mT4_P12ihipStream_tbEUlT_E_NS1_11comp_targetILNS1_3genE5ELNS1_11target_archE942ELNS1_3gpuE9ELNS1_3repE0EEENS1_30default_config_static_selectorELNS0_4arch9wavefront6targetE0EEEvT1_.has_recursion, 0
	.set _ZN7rocprim17ROCPRIM_400000_NS6detail17trampoline_kernelINS0_14default_configENS1_25transform_config_selectorIN6thrust23THRUST_200600_302600_NS5tupleIffNS6_9null_typeES8_S8_S8_S8_S8_S8_S8_EELb0EEEZNS1_14transform_implILb0ES3_SA_NS6_6detail15normal_iteratorINS6_10device_ptrIS9_EEEEPS9_NS0_8identityIS9_EEEE10hipError_tT2_T3_mT4_P12ihipStream_tbEUlT_E_NS1_11comp_targetILNS1_3genE5ELNS1_11target_archE942ELNS1_3gpuE9ELNS1_3repE0EEENS1_30default_config_static_selectorELNS0_4arch9wavefront6targetE0EEEvT1_.has_indirect_call, 0
	.section	.AMDGPU.csdata,"",@progbits
; Kernel info:
; codeLenInByte = 0
; TotalNumSgprs: 0
; NumVgprs: 0
; ScratchSize: 0
; MemoryBound: 0
; FloatMode: 240
; IeeeMode: 1
; LDSByteSize: 0 bytes/workgroup (compile time only)
; SGPRBlocks: 0
; VGPRBlocks: 0
; NumSGPRsForWavesPerEU: 1
; NumVGPRsForWavesPerEU: 1
; Occupancy: 16
; WaveLimiterHint : 0
; COMPUTE_PGM_RSRC2:SCRATCH_EN: 0
; COMPUTE_PGM_RSRC2:USER_SGPR: 2
; COMPUTE_PGM_RSRC2:TRAP_HANDLER: 0
; COMPUTE_PGM_RSRC2:TGID_X_EN: 1
; COMPUTE_PGM_RSRC2:TGID_Y_EN: 0
; COMPUTE_PGM_RSRC2:TGID_Z_EN: 0
; COMPUTE_PGM_RSRC2:TIDIG_COMP_CNT: 0
	.section	.text._ZN7rocprim17ROCPRIM_400000_NS6detail17trampoline_kernelINS0_14default_configENS1_25transform_config_selectorIN6thrust23THRUST_200600_302600_NS5tupleIffNS6_9null_typeES8_S8_S8_S8_S8_S8_S8_EELb0EEEZNS1_14transform_implILb0ES3_SA_NS6_6detail15normal_iteratorINS6_10device_ptrIS9_EEEEPS9_NS0_8identityIS9_EEEE10hipError_tT2_T3_mT4_P12ihipStream_tbEUlT_E_NS1_11comp_targetILNS1_3genE4ELNS1_11target_archE910ELNS1_3gpuE8ELNS1_3repE0EEENS1_30default_config_static_selectorELNS0_4arch9wavefront6targetE0EEEvT1_,"axG",@progbits,_ZN7rocprim17ROCPRIM_400000_NS6detail17trampoline_kernelINS0_14default_configENS1_25transform_config_selectorIN6thrust23THRUST_200600_302600_NS5tupleIffNS6_9null_typeES8_S8_S8_S8_S8_S8_S8_EELb0EEEZNS1_14transform_implILb0ES3_SA_NS6_6detail15normal_iteratorINS6_10device_ptrIS9_EEEEPS9_NS0_8identityIS9_EEEE10hipError_tT2_T3_mT4_P12ihipStream_tbEUlT_E_NS1_11comp_targetILNS1_3genE4ELNS1_11target_archE910ELNS1_3gpuE8ELNS1_3repE0EEENS1_30default_config_static_selectorELNS0_4arch9wavefront6targetE0EEEvT1_,comdat
	.protected	_ZN7rocprim17ROCPRIM_400000_NS6detail17trampoline_kernelINS0_14default_configENS1_25transform_config_selectorIN6thrust23THRUST_200600_302600_NS5tupleIffNS6_9null_typeES8_S8_S8_S8_S8_S8_S8_EELb0EEEZNS1_14transform_implILb0ES3_SA_NS6_6detail15normal_iteratorINS6_10device_ptrIS9_EEEEPS9_NS0_8identityIS9_EEEE10hipError_tT2_T3_mT4_P12ihipStream_tbEUlT_E_NS1_11comp_targetILNS1_3genE4ELNS1_11target_archE910ELNS1_3gpuE8ELNS1_3repE0EEENS1_30default_config_static_selectorELNS0_4arch9wavefront6targetE0EEEvT1_ ; -- Begin function _ZN7rocprim17ROCPRIM_400000_NS6detail17trampoline_kernelINS0_14default_configENS1_25transform_config_selectorIN6thrust23THRUST_200600_302600_NS5tupleIffNS6_9null_typeES8_S8_S8_S8_S8_S8_S8_EELb0EEEZNS1_14transform_implILb0ES3_SA_NS6_6detail15normal_iteratorINS6_10device_ptrIS9_EEEEPS9_NS0_8identityIS9_EEEE10hipError_tT2_T3_mT4_P12ihipStream_tbEUlT_E_NS1_11comp_targetILNS1_3genE4ELNS1_11target_archE910ELNS1_3gpuE8ELNS1_3repE0EEENS1_30default_config_static_selectorELNS0_4arch9wavefront6targetE0EEEvT1_
	.globl	_ZN7rocprim17ROCPRIM_400000_NS6detail17trampoline_kernelINS0_14default_configENS1_25transform_config_selectorIN6thrust23THRUST_200600_302600_NS5tupleIffNS6_9null_typeES8_S8_S8_S8_S8_S8_S8_EELb0EEEZNS1_14transform_implILb0ES3_SA_NS6_6detail15normal_iteratorINS6_10device_ptrIS9_EEEEPS9_NS0_8identityIS9_EEEE10hipError_tT2_T3_mT4_P12ihipStream_tbEUlT_E_NS1_11comp_targetILNS1_3genE4ELNS1_11target_archE910ELNS1_3gpuE8ELNS1_3repE0EEENS1_30default_config_static_selectorELNS0_4arch9wavefront6targetE0EEEvT1_
	.p2align	8
	.type	_ZN7rocprim17ROCPRIM_400000_NS6detail17trampoline_kernelINS0_14default_configENS1_25transform_config_selectorIN6thrust23THRUST_200600_302600_NS5tupleIffNS6_9null_typeES8_S8_S8_S8_S8_S8_S8_EELb0EEEZNS1_14transform_implILb0ES3_SA_NS6_6detail15normal_iteratorINS6_10device_ptrIS9_EEEEPS9_NS0_8identityIS9_EEEE10hipError_tT2_T3_mT4_P12ihipStream_tbEUlT_E_NS1_11comp_targetILNS1_3genE4ELNS1_11target_archE910ELNS1_3gpuE8ELNS1_3repE0EEENS1_30default_config_static_selectorELNS0_4arch9wavefront6targetE0EEEvT1_,@function
_ZN7rocprim17ROCPRIM_400000_NS6detail17trampoline_kernelINS0_14default_configENS1_25transform_config_selectorIN6thrust23THRUST_200600_302600_NS5tupleIffNS6_9null_typeES8_S8_S8_S8_S8_S8_S8_EELb0EEEZNS1_14transform_implILb0ES3_SA_NS6_6detail15normal_iteratorINS6_10device_ptrIS9_EEEEPS9_NS0_8identityIS9_EEEE10hipError_tT2_T3_mT4_P12ihipStream_tbEUlT_E_NS1_11comp_targetILNS1_3genE4ELNS1_11target_archE910ELNS1_3gpuE8ELNS1_3repE0EEENS1_30default_config_static_selectorELNS0_4arch9wavefront6targetE0EEEvT1_: ; @_ZN7rocprim17ROCPRIM_400000_NS6detail17trampoline_kernelINS0_14default_configENS1_25transform_config_selectorIN6thrust23THRUST_200600_302600_NS5tupleIffNS6_9null_typeES8_S8_S8_S8_S8_S8_S8_EELb0EEEZNS1_14transform_implILb0ES3_SA_NS6_6detail15normal_iteratorINS6_10device_ptrIS9_EEEEPS9_NS0_8identityIS9_EEEE10hipError_tT2_T3_mT4_P12ihipStream_tbEUlT_E_NS1_11comp_targetILNS1_3genE4ELNS1_11target_archE910ELNS1_3gpuE8ELNS1_3repE0EEENS1_30default_config_static_selectorELNS0_4arch9wavefront6targetE0EEEvT1_
; %bb.0:
	.section	.rodata,"a",@progbits
	.p2align	6, 0x0
	.amdhsa_kernel _ZN7rocprim17ROCPRIM_400000_NS6detail17trampoline_kernelINS0_14default_configENS1_25transform_config_selectorIN6thrust23THRUST_200600_302600_NS5tupleIffNS6_9null_typeES8_S8_S8_S8_S8_S8_S8_EELb0EEEZNS1_14transform_implILb0ES3_SA_NS6_6detail15normal_iteratorINS6_10device_ptrIS9_EEEEPS9_NS0_8identityIS9_EEEE10hipError_tT2_T3_mT4_P12ihipStream_tbEUlT_E_NS1_11comp_targetILNS1_3genE4ELNS1_11target_archE910ELNS1_3gpuE8ELNS1_3repE0EEENS1_30default_config_static_selectorELNS0_4arch9wavefront6targetE0EEEvT1_
		.amdhsa_group_segment_fixed_size 0
		.amdhsa_private_segment_fixed_size 0
		.amdhsa_kernarg_size 40
		.amdhsa_user_sgpr_count 2
		.amdhsa_user_sgpr_dispatch_ptr 0
		.amdhsa_user_sgpr_queue_ptr 0
		.amdhsa_user_sgpr_kernarg_segment_ptr 1
		.amdhsa_user_sgpr_dispatch_id 0
		.amdhsa_user_sgpr_private_segment_size 0
		.amdhsa_wavefront_size32 1
		.amdhsa_uses_dynamic_stack 0
		.amdhsa_enable_private_segment 0
		.amdhsa_system_sgpr_workgroup_id_x 1
		.amdhsa_system_sgpr_workgroup_id_y 0
		.amdhsa_system_sgpr_workgroup_id_z 0
		.amdhsa_system_sgpr_workgroup_info 0
		.amdhsa_system_vgpr_workitem_id 0
		.amdhsa_next_free_vgpr 1
		.amdhsa_next_free_sgpr 1
		.amdhsa_reserve_vcc 0
		.amdhsa_float_round_mode_32 0
		.amdhsa_float_round_mode_16_64 0
		.amdhsa_float_denorm_mode_32 3
		.amdhsa_float_denorm_mode_16_64 3
		.amdhsa_fp16_overflow 0
		.amdhsa_workgroup_processor_mode 1
		.amdhsa_memory_ordered 1
		.amdhsa_forward_progress 1
		.amdhsa_inst_pref_size 0
		.amdhsa_round_robin_scheduling 0
		.amdhsa_exception_fp_ieee_invalid_op 0
		.amdhsa_exception_fp_denorm_src 0
		.amdhsa_exception_fp_ieee_div_zero 0
		.amdhsa_exception_fp_ieee_overflow 0
		.amdhsa_exception_fp_ieee_underflow 0
		.amdhsa_exception_fp_ieee_inexact 0
		.amdhsa_exception_int_div_zero 0
	.end_amdhsa_kernel
	.section	.text._ZN7rocprim17ROCPRIM_400000_NS6detail17trampoline_kernelINS0_14default_configENS1_25transform_config_selectorIN6thrust23THRUST_200600_302600_NS5tupleIffNS6_9null_typeES8_S8_S8_S8_S8_S8_S8_EELb0EEEZNS1_14transform_implILb0ES3_SA_NS6_6detail15normal_iteratorINS6_10device_ptrIS9_EEEEPS9_NS0_8identityIS9_EEEE10hipError_tT2_T3_mT4_P12ihipStream_tbEUlT_E_NS1_11comp_targetILNS1_3genE4ELNS1_11target_archE910ELNS1_3gpuE8ELNS1_3repE0EEENS1_30default_config_static_selectorELNS0_4arch9wavefront6targetE0EEEvT1_,"axG",@progbits,_ZN7rocprim17ROCPRIM_400000_NS6detail17trampoline_kernelINS0_14default_configENS1_25transform_config_selectorIN6thrust23THRUST_200600_302600_NS5tupleIffNS6_9null_typeES8_S8_S8_S8_S8_S8_S8_EELb0EEEZNS1_14transform_implILb0ES3_SA_NS6_6detail15normal_iteratorINS6_10device_ptrIS9_EEEEPS9_NS0_8identityIS9_EEEE10hipError_tT2_T3_mT4_P12ihipStream_tbEUlT_E_NS1_11comp_targetILNS1_3genE4ELNS1_11target_archE910ELNS1_3gpuE8ELNS1_3repE0EEENS1_30default_config_static_selectorELNS0_4arch9wavefront6targetE0EEEvT1_,comdat
.Lfunc_end168:
	.size	_ZN7rocprim17ROCPRIM_400000_NS6detail17trampoline_kernelINS0_14default_configENS1_25transform_config_selectorIN6thrust23THRUST_200600_302600_NS5tupleIffNS6_9null_typeES8_S8_S8_S8_S8_S8_S8_EELb0EEEZNS1_14transform_implILb0ES3_SA_NS6_6detail15normal_iteratorINS6_10device_ptrIS9_EEEEPS9_NS0_8identityIS9_EEEE10hipError_tT2_T3_mT4_P12ihipStream_tbEUlT_E_NS1_11comp_targetILNS1_3genE4ELNS1_11target_archE910ELNS1_3gpuE8ELNS1_3repE0EEENS1_30default_config_static_selectorELNS0_4arch9wavefront6targetE0EEEvT1_, .Lfunc_end168-_ZN7rocprim17ROCPRIM_400000_NS6detail17trampoline_kernelINS0_14default_configENS1_25transform_config_selectorIN6thrust23THRUST_200600_302600_NS5tupleIffNS6_9null_typeES8_S8_S8_S8_S8_S8_S8_EELb0EEEZNS1_14transform_implILb0ES3_SA_NS6_6detail15normal_iteratorINS6_10device_ptrIS9_EEEEPS9_NS0_8identityIS9_EEEE10hipError_tT2_T3_mT4_P12ihipStream_tbEUlT_E_NS1_11comp_targetILNS1_3genE4ELNS1_11target_archE910ELNS1_3gpuE8ELNS1_3repE0EEENS1_30default_config_static_selectorELNS0_4arch9wavefront6targetE0EEEvT1_
                                        ; -- End function
	.set _ZN7rocprim17ROCPRIM_400000_NS6detail17trampoline_kernelINS0_14default_configENS1_25transform_config_selectorIN6thrust23THRUST_200600_302600_NS5tupleIffNS6_9null_typeES8_S8_S8_S8_S8_S8_S8_EELb0EEEZNS1_14transform_implILb0ES3_SA_NS6_6detail15normal_iteratorINS6_10device_ptrIS9_EEEEPS9_NS0_8identityIS9_EEEE10hipError_tT2_T3_mT4_P12ihipStream_tbEUlT_E_NS1_11comp_targetILNS1_3genE4ELNS1_11target_archE910ELNS1_3gpuE8ELNS1_3repE0EEENS1_30default_config_static_selectorELNS0_4arch9wavefront6targetE0EEEvT1_.num_vgpr, 0
	.set _ZN7rocprim17ROCPRIM_400000_NS6detail17trampoline_kernelINS0_14default_configENS1_25transform_config_selectorIN6thrust23THRUST_200600_302600_NS5tupleIffNS6_9null_typeES8_S8_S8_S8_S8_S8_S8_EELb0EEEZNS1_14transform_implILb0ES3_SA_NS6_6detail15normal_iteratorINS6_10device_ptrIS9_EEEEPS9_NS0_8identityIS9_EEEE10hipError_tT2_T3_mT4_P12ihipStream_tbEUlT_E_NS1_11comp_targetILNS1_3genE4ELNS1_11target_archE910ELNS1_3gpuE8ELNS1_3repE0EEENS1_30default_config_static_selectorELNS0_4arch9wavefront6targetE0EEEvT1_.num_agpr, 0
	.set _ZN7rocprim17ROCPRIM_400000_NS6detail17trampoline_kernelINS0_14default_configENS1_25transform_config_selectorIN6thrust23THRUST_200600_302600_NS5tupleIffNS6_9null_typeES8_S8_S8_S8_S8_S8_S8_EELb0EEEZNS1_14transform_implILb0ES3_SA_NS6_6detail15normal_iteratorINS6_10device_ptrIS9_EEEEPS9_NS0_8identityIS9_EEEE10hipError_tT2_T3_mT4_P12ihipStream_tbEUlT_E_NS1_11comp_targetILNS1_3genE4ELNS1_11target_archE910ELNS1_3gpuE8ELNS1_3repE0EEENS1_30default_config_static_selectorELNS0_4arch9wavefront6targetE0EEEvT1_.numbered_sgpr, 0
	.set _ZN7rocprim17ROCPRIM_400000_NS6detail17trampoline_kernelINS0_14default_configENS1_25transform_config_selectorIN6thrust23THRUST_200600_302600_NS5tupleIffNS6_9null_typeES8_S8_S8_S8_S8_S8_S8_EELb0EEEZNS1_14transform_implILb0ES3_SA_NS6_6detail15normal_iteratorINS6_10device_ptrIS9_EEEEPS9_NS0_8identityIS9_EEEE10hipError_tT2_T3_mT4_P12ihipStream_tbEUlT_E_NS1_11comp_targetILNS1_3genE4ELNS1_11target_archE910ELNS1_3gpuE8ELNS1_3repE0EEENS1_30default_config_static_selectorELNS0_4arch9wavefront6targetE0EEEvT1_.num_named_barrier, 0
	.set _ZN7rocprim17ROCPRIM_400000_NS6detail17trampoline_kernelINS0_14default_configENS1_25transform_config_selectorIN6thrust23THRUST_200600_302600_NS5tupleIffNS6_9null_typeES8_S8_S8_S8_S8_S8_S8_EELb0EEEZNS1_14transform_implILb0ES3_SA_NS6_6detail15normal_iteratorINS6_10device_ptrIS9_EEEEPS9_NS0_8identityIS9_EEEE10hipError_tT2_T3_mT4_P12ihipStream_tbEUlT_E_NS1_11comp_targetILNS1_3genE4ELNS1_11target_archE910ELNS1_3gpuE8ELNS1_3repE0EEENS1_30default_config_static_selectorELNS0_4arch9wavefront6targetE0EEEvT1_.private_seg_size, 0
	.set _ZN7rocprim17ROCPRIM_400000_NS6detail17trampoline_kernelINS0_14default_configENS1_25transform_config_selectorIN6thrust23THRUST_200600_302600_NS5tupleIffNS6_9null_typeES8_S8_S8_S8_S8_S8_S8_EELb0EEEZNS1_14transform_implILb0ES3_SA_NS6_6detail15normal_iteratorINS6_10device_ptrIS9_EEEEPS9_NS0_8identityIS9_EEEE10hipError_tT2_T3_mT4_P12ihipStream_tbEUlT_E_NS1_11comp_targetILNS1_3genE4ELNS1_11target_archE910ELNS1_3gpuE8ELNS1_3repE0EEENS1_30default_config_static_selectorELNS0_4arch9wavefront6targetE0EEEvT1_.uses_vcc, 0
	.set _ZN7rocprim17ROCPRIM_400000_NS6detail17trampoline_kernelINS0_14default_configENS1_25transform_config_selectorIN6thrust23THRUST_200600_302600_NS5tupleIffNS6_9null_typeES8_S8_S8_S8_S8_S8_S8_EELb0EEEZNS1_14transform_implILb0ES3_SA_NS6_6detail15normal_iteratorINS6_10device_ptrIS9_EEEEPS9_NS0_8identityIS9_EEEE10hipError_tT2_T3_mT4_P12ihipStream_tbEUlT_E_NS1_11comp_targetILNS1_3genE4ELNS1_11target_archE910ELNS1_3gpuE8ELNS1_3repE0EEENS1_30default_config_static_selectorELNS0_4arch9wavefront6targetE0EEEvT1_.uses_flat_scratch, 0
	.set _ZN7rocprim17ROCPRIM_400000_NS6detail17trampoline_kernelINS0_14default_configENS1_25transform_config_selectorIN6thrust23THRUST_200600_302600_NS5tupleIffNS6_9null_typeES8_S8_S8_S8_S8_S8_S8_EELb0EEEZNS1_14transform_implILb0ES3_SA_NS6_6detail15normal_iteratorINS6_10device_ptrIS9_EEEEPS9_NS0_8identityIS9_EEEE10hipError_tT2_T3_mT4_P12ihipStream_tbEUlT_E_NS1_11comp_targetILNS1_3genE4ELNS1_11target_archE910ELNS1_3gpuE8ELNS1_3repE0EEENS1_30default_config_static_selectorELNS0_4arch9wavefront6targetE0EEEvT1_.has_dyn_sized_stack, 0
	.set _ZN7rocprim17ROCPRIM_400000_NS6detail17trampoline_kernelINS0_14default_configENS1_25transform_config_selectorIN6thrust23THRUST_200600_302600_NS5tupleIffNS6_9null_typeES8_S8_S8_S8_S8_S8_S8_EELb0EEEZNS1_14transform_implILb0ES3_SA_NS6_6detail15normal_iteratorINS6_10device_ptrIS9_EEEEPS9_NS0_8identityIS9_EEEE10hipError_tT2_T3_mT4_P12ihipStream_tbEUlT_E_NS1_11comp_targetILNS1_3genE4ELNS1_11target_archE910ELNS1_3gpuE8ELNS1_3repE0EEENS1_30default_config_static_selectorELNS0_4arch9wavefront6targetE0EEEvT1_.has_recursion, 0
	.set _ZN7rocprim17ROCPRIM_400000_NS6detail17trampoline_kernelINS0_14default_configENS1_25transform_config_selectorIN6thrust23THRUST_200600_302600_NS5tupleIffNS6_9null_typeES8_S8_S8_S8_S8_S8_S8_EELb0EEEZNS1_14transform_implILb0ES3_SA_NS6_6detail15normal_iteratorINS6_10device_ptrIS9_EEEEPS9_NS0_8identityIS9_EEEE10hipError_tT2_T3_mT4_P12ihipStream_tbEUlT_E_NS1_11comp_targetILNS1_3genE4ELNS1_11target_archE910ELNS1_3gpuE8ELNS1_3repE0EEENS1_30default_config_static_selectorELNS0_4arch9wavefront6targetE0EEEvT1_.has_indirect_call, 0
	.section	.AMDGPU.csdata,"",@progbits
; Kernel info:
; codeLenInByte = 0
; TotalNumSgprs: 0
; NumVgprs: 0
; ScratchSize: 0
; MemoryBound: 0
; FloatMode: 240
; IeeeMode: 1
; LDSByteSize: 0 bytes/workgroup (compile time only)
; SGPRBlocks: 0
; VGPRBlocks: 0
; NumSGPRsForWavesPerEU: 1
; NumVGPRsForWavesPerEU: 1
; Occupancy: 16
; WaveLimiterHint : 0
; COMPUTE_PGM_RSRC2:SCRATCH_EN: 0
; COMPUTE_PGM_RSRC2:USER_SGPR: 2
; COMPUTE_PGM_RSRC2:TRAP_HANDLER: 0
; COMPUTE_PGM_RSRC2:TGID_X_EN: 1
; COMPUTE_PGM_RSRC2:TGID_Y_EN: 0
; COMPUTE_PGM_RSRC2:TGID_Z_EN: 0
; COMPUTE_PGM_RSRC2:TIDIG_COMP_CNT: 0
	.section	.text._ZN7rocprim17ROCPRIM_400000_NS6detail17trampoline_kernelINS0_14default_configENS1_25transform_config_selectorIN6thrust23THRUST_200600_302600_NS5tupleIffNS6_9null_typeES8_S8_S8_S8_S8_S8_S8_EELb0EEEZNS1_14transform_implILb0ES3_SA_NS6_6detail15normal_iteratorINS6_10device_ptrIS9_EEEEPS9_NS0_8identityIS9_EEEE10hipError_tT2_T3_mT4_P12ihipStream_tbEUlT_E_NS1_11comp_targetILNS1_3genE3ELNS1_11target_archE908ELNS1_3gpuE7ELNS1_3repE0EEENS1_30default_config_static_selectorELNS0_4arch9wavefront6targetE0EEEvT1_,"axG",@progbits,_ZN7rocprim17ROCPRIM_400000_NS6detail17trampoline_kernelINS0_14default_configENS1_25transform_config_selectorIN6thrust23THRUST_200600_302600_NS5tupleIffNS6_9null_typeES8_S8_S8_S8_S8_S8_S8_EELb0EEEZNS1_14transform_implILb0ES3_SA_NS6_6detail15normal_iteratorINS6_10device_ptrIS9_EEEEPS9_NS0_8identityIS9_EEEE10hipError_tT2_T3_mT4_P12ihipStream_tbEUlT_E_NS1_11comp_targetILNS1_3genE3ELNS1_11target_archE908ELNS1_3gpuE7ELNS1_3repE0EEENS1_30default_config_static_selectorELNS0_4arch9wavefront6targetE0EEEvT1_,comdat
	.protected	_ZN7rocprim17ROCPRIM_400000_NS6detail17trampoline_kernelINS0_14default_configENS1_25transform_config_selectorIN6thrust23THRUST_200600_302600_NS5tupleIffNS6_9null_typeES8_S8_S8_S8_S8_S8_S8_EELb0EEEZNS1_14transform_implILb0ES3_SA_NS6_6detail15normal_iteratorINS6_10device_ptrIS9_EEEEPS9_NS0_8identityIS9_EEEE10hipError_tT2_T3_mT4_P12ihipStream_tbEUlT_E_NS1_11comp_targetILNS1_3genE3ELNS1_11target_archE908ELNS1_3gpuE7ELNS1_3repE0EEENS1_30default_config_static_selectorELNS0_4arch9wavefront6targetE0EEEvT1_ ; -- Begin function _ZN7rocprim17ROCPRIM_400000_NS6detail17trampoline_kernelINS0_14default_configENS1_25transform_config_selectorIN6thrust23THRUST_200600_302600_NS5tupleIffNS6_9null_typeES8_S8_S8_S8_S8_S8_S8_EELb0EEEZNS1_14transform_implILb0ES3_SA_NS6_6detail15normal_iteratorINS6_10device_ptrIS9_EEEEPS9_NS0_8identityIS9_EEEE10hipError_tT2_T3_mT4_P12ihipStream_tbEUlT_E_NS1_11comp_targetILNS1_3genE3ELNS1_11target_archE908ELNS1_3gpuE7ELNS1_3repE0EEENS1_30default_config_static_selectorELNS0_4arch9wavefront6targetE0EEEvT1_
	.globl	_ZN7rocprim17ROCPRIM_400000_NS6detail17trampoline_kernelINS0_14default_configENS1_25transform_config_selectorIN6thrust23THRUST_200600_302600_NS5tupleIffNS6_9null_typeES8_S8_S8_S8_S8_S8_S8_EELb0EEEZNS1_14transform_implILb0ES3_SA_NS6_6detail15normal_iteratorINS6_10device_ptrIS9_EEEEPS9_NS0_8identityIS9_EEEE10hipError_tT2_T3_mT4_P12ihipStream_tbEUlT_E_NS1_11comp_targetILNS1_3genE3ELNS1_11target_archE908ELNS1_3gpuE7ELNS1_3repE0EEENS1_30default_config_static_selectorELNS0_4arch9wavefront6targetE0EEEvT1_
	.p2align	8
	.type	_ZN7rocprim17ROCPRIM_400000_NS6detail17trampoline_kernelINS0_14default_configENS1_25transform_config_selectorIN6thrust23THRUST_200600_302600_NS5tupleIffNS6_9null_typeES8_S8_S8_S8_S8_S8_S8_EELb0EEEZNS1_14transform_implILb0ES3_SA_NS6_6detail15normal_iteratorINS6_10device_ptrIS9_EEEEPS9_NS0_8identityIS9_EEEE10hipError_tT2_T3_mT4_P12ihipStream_tbEUlT_E_NS1_11comp_targetILNS1_3genE3ELNS1_11target_archE908ELNS1_3gpuE7ELNS1_3repE0EEENS1_30default_config_static_selectorELNS0_4arch9wavefront6targetE0EEEvT1_,@function
_ZN7rocprim17ROCPRIM_400000_NS6detail17trampoline_kernelINS0_14default_configENS1_25transform_config_selectorIN6thrust23THRUST_200600_302600_NS5tupleIffNS6_9null_typeES8_S8_S8_S8_S8_S8_S8_EELb0EEEZNS1_14transform_implILb0ES3_SA_NS6_6detail15normal_iteratorINS6_10device_ptrIS9_EEEEPS9_NS0_8identityIS9_EEEE10hipError_tT2_T3_mT4_P12ihipStream_tbEUlT_E_NS1_11comp_targetILNS1_3genE3ELNS1_11target_archE908ELNS1_3gpuE7ELNS1_3repE0EEENS1_30default_config_static_selectorELNS0_4arch9wavefront6targetE0EEEvT1_: ; @_ZN7rocprim17ROCPRIM_400000_NS6detail17trampoline_kernelINS0_14default_configENS1_25transform_config_selectorIN6thrust23THRUST_200600_302600_NS5tupleIffNS6_9null_typeES8_S8_S8_S8_S8_S8_S8_EELb0EEEZNS1_14transform_implILb0ES3_SA_NS6_6detail15normal_iteratorINS6_10device_ptrIS9_EEEEPS9_NS0_8identityIS9_EEEE10hipError_tT2_T3_mT4_P12ihipStream_tbEUlT_E_NS1_11comp_targetILNS1_3genE3ELNS1_11target_archE908ELNS1_3gpuE7ELNS1_3repE0EEENS1_30default_config_static_selectorELNS0_4arch9wavefront6targetE0EEEvT1_
; %bb.0:
	.section	.rodata,"a",@progbits
	.p2align	6, 0x0
	.amdhsa_kernel _ZN7rocprim17ROCPRIM_400000_NS6detail17trampoline_kernelINS0_14default_configENS1_25transform_config_selectorIN6thrust23THRUST_200600_302600_NS5tupleIffNS6_9null_typeES8_S8_S8_S8_S8_S8_S8_EELb0EEEZNS1_14transform_implILb0ES3_SA_NS6_6detail15normal_iteratorINS6_10device_ptrIS9_EEEEPS9_NS0_8identityIS9_EEEE10hipError_tT2_T3_mT4_P12ihipStream_tbEUlT_E_NS1_11comp_targetILNS1_3genE3ELNS1_11target_archE908ELNS1_3gpuE7ELNS1_3repE0EEENS1_30default_config_static_selectorELNS0_4arch9wavefront6targetE0EEEvT1_
		.amdhsa_group_segment_fixed_size 0
		.amdhsa_private_segment_fixed_size 0
		.amdhsa_kernarg_size 40
		.amdhsa_user_sgpr_count 2
		.amdhsa_user_sgpr_dispatch_ptr 0
		.amdhsa_user_sgpr_queue_ptr 0
		.amdhsa_user_sgpr_kernarg_segment_ptr 1
		.amdhsa_user_sgpr_dispatch_id 0
		.amdhsa_user_sgpr_private_segment_size 0
		.amdhsa_wavefront_size32 1
		.amdhsa_uses_dynamic_stack 0
		.amdhsa_enable_private_segment 0
		.amdhsa_system_sgpr_workgroup_id_x 1
		.amdhsa_system_sgpr_workgroup_id_y 0
		.amdhsa_system_sgpr_workgroup_id_z 0
		.amdhsa_system_sgpr_workgroup_info 0
		.amdhsa_system_vgpr_workitem_id 0
		.amdhsa_next_free_vgpr 1
		.amdhsa_next_free_sgpr 1
		.amdhsa_reserve_vcc 0
		.amdhsa_float_round_mode_32 0
		.amdhsa_float_round_mode_16_64 0
		.amdhsa_float_denorm_mode_32 3
		.amdhsa_float_denorm_mode_16_64 3
		.amdhsa_fp16_overflow 0
		.amdhsa_workgroup_processor_mode 1
		.amdhsa_memory_ordered 1
		.amdhsa_forward_progress 1
		.amdhsa_inst_pref_size 0
		.amdhsa_round_robin_scheduling 0
		.amdhsa_exception_fp_ieee_invalid_op 0
		.amdhsa_exception_fp_denorm_src 0
		.amdhsa_exception_fp_ieee_div_zero 0
		.amdhsa_exception_fp_ieee_overflow 0
		.amdhsa_exception_fp_ieee_underflow 0
		.amdhsa_exception_fp_ieee_inexact 0
		.amdhsa_exception_int_div_zero 0
	.end_amdhsa_kernel
	.section	.text._ZN7rocprim17ROCPRIM_400000_NS6detail17trampoline_kernelINS0_14default_configENS1_25transform_config_selectorIN6thrust23THRUST_200600_302600_NS5tupleIffNS6_9null_typeES8_S8_S8_S8_S8_S8_S8_EELb0EEEZNS1_14transform_implILb0ES3_SA_NS6_6detail15normal_iteratorINS6_10device_ptrIS9_EEEEPS9_NS0_8identityIS9_EEEE10hipError_tT2_T3_mT4_P12ihipStream_tbEUlT_E_NS1_11comp_targetILNS1_3genE3ELNS1_11target_archE908ELNS1_3gpuE7ELNS1_3repE0EEENS1_30default_config_static_selectorELNS0_4arch9wavefront6targetE0EEEvT1_,"axG",@progbits,_ZN7rocprim17ROCPRIM_400000_NS6detail17trampoline_kernelINS0_14default_configENS1_25transform_config_selectorIN6thrust23THRUST_200600_302600_NS5tupleIffNS6_9null_typeES8_S8_S8_S8_S8_S8_S8_EELb0EEEZNS1_14transform_implILb0ES3_SA_NS6_6detail15normal_iteratorINS6_10device_ptrIS9_EEEEPS9_NS0_8identityIS9_EEEE10hipError_tT2_T3_mT4_P12ihipStream_tbEUlT_E_NS1_11comp_targetILNS1_3genE3ELNS1_11target_archE908ELNS1_3gpuE7ELNS1_3repE0EEENS1_30default_config_static_selectorELNS0_4arch9wavefront6targetE0EEEvT1_,comdat
.Lfunc_end169:
	.size	_ZN7rocprim17ROCPRIM_400000_NS6detail17trampoline_kernelINS0_14default_configENS1_25transform_config_selectorIN6thrust23THRUST_200600_302600_NS5tupleIffNS6_9null_typeES8_S8_S8_S8_S8_S8_S8_EELb0EEEZNS1_14transform_implILb0ES3_SA_NS6_6detail15normal_iteratorINS6_10device_ptrIS9_EEEEPS9_NS0_8identityIS9_EEEE10hipError_tT2_T3_mT4_P12ihipStream_tbEUlT_E_NS1_11comp_targetILNS1_3genE3ELNS1_11target_archE908ELNS1_3gpuE7ELNS1_3repE0EEENS1_30default_config_static_selectorELNS0_4arch9wavefront6targetE0EEEvT1_, .Lfunc_end169-_ZN7rocprim17ROCPRIM_400000_NS6detail17trampoline_kernelINS0_14default_configENS1_25transform_config_selectorIN6thrust23THRUST_200600_302600_NS5tupleIffNS6_9null_typeES8_S8_S8_S8_S8_S8_S8_EELb0EEEZNS1_14transform_implILb0ES3_SA_NS6_6detail15normal_iteratorINS6_10device_ptrIS9_EEEEPS9_NS0_8identityIS9_EEEE10hipError_tT2_T3_mT4_P12ihipStream_tbEUlT_E_NS1_11comp_targetILNS1_3genE3ELNS1_11target_archE908ELNS1_3gpuE7ELNS1_3repE0EEENS1_30default_config_static_selectorELNS0_4arch9wavefront6targetE0EEEvT1_
                                        ; -- End function
	.set _ZN7rocprim17ROCPRIM_400000_NS6detail17trampoline_kernelINS0_14default_configENS1_25transform_config_selectorIN6thrust23THRUST_200600_302600_NS5tupleIffNS6_9null_typeES8_S8_S8_S8_S8_S8_S8_EELb0EEEZNS1_14transform_implILb0ES3_SA_NS6_6detail15normal_iteratorINS6_10device_ptrIS9_EEEEPS9_NS0_8identityIS9_EEEE10hipError_tT2_T3_mT4_P12ihipStream_tbEUlT_E_NS1_11comp_targetILNS1_3genE3ELNS1_11target_archE908ELNS1_3gpuE7ELNS1_3repE0EEENS1_30default_config_static_selectorELNS0_4arch9wavefront6targetE0EEEvT1_.num_vgpr, 0
	.set _ZN7rocprim17ROCPRIM_400000_NS6detail17trampoline_kernelINS0_14default_configENS1_25transform_config_selectorIN6thrust23THRUST_200600_302600_NS5tupleIffNS6_9null_typeES8_S8_S8_S8_S8_S8_S8_EELb0EEEZNS1_14transform_implILb0ES3_SA_NS6_6detail15normal_iteratorINS6_10device_ptrIS9_EEEEPS9_NS0_8identityIS9_EEEE10hipError_tT2_T3_mT4_P12ihipStream_tbEUlT_E_NS1_11comp_targetILNS1_3genE3ELNS1_11target_archE908ELNS1_3gpuE7ELNS1_3repE0EEENS1_30default_config_static_selectorELNS0_4arch9wavefront6targetE0EEEvT1_.num_agpr, 0
	.set _ZN7rocprim17ROCPRIM_400000_NS6detail17trampoline_kernelINS0_14default_configENS1_25transform_config_selectorIN6thrust23THRUST_200600_302600_NS5tupleIffNS6_9null_typeES8_S8_S8_S8_S8_S8_S8_EELb0EEEZNS1_14transform_implILb0ES3_SA_NS6_6detail15normal_iteratorINS6_10device_ptrIS9_EEEEPS9_NS0_8identityIS9_EEEE10hipError_tT2_T3_mT4_P12ihipStream_tbEUlT_E_NS1_11comp_targetILNS1_3genE3ELNS1_11target_archE908ELNS1_3gpuE7ELNS1_3repE0EEENS1_30default_config_static_selectorELNS0_4arch9wavefront6targetE0EEEvT1_.numbered_sgpr, 0
	.set _ZN7rocprim17ROCPRIM_400000_NS6detail17trampoline_kernelINS0_14default_configENS1_25transform_config_selectorIN6thrust23THRUST_200600_302600_NS5tupleIffNS6_9null_typeES8_S8_S8_S8_S8_S8_S8_EELb0EEEZNS1_14transform_implILb0ES3_SA_NS6_6detail15normal_iteratorINS6_10device_ptrIS9_EEEEPS9_NS0_8identityIS9_EEEE10hipError_tT2_T3_mT4_P12ihipStream_tbEUlT_E_NS1_11comp_targetILNS1_3genE3ELNS1_11target_archE908ELNS1_3gpuE7ELNS1_3repE0EEENS1_30default_config_static_selectorELNS0_4arch9wavefront6targetE0EEEvT1_.num_named_barrier, 0
	.set _ZN7rocprim17ROCPRIM_400000_NS6detail17trampoline_kernelINS0_14default_configENS1_25transform_config_selectorIN6thrust23THRUST_200600_302600_NS5tupleIffNS6_9null_typeES8_S8_S8_S8_S8_S8_S8_EELb0EEEZNS1_14transform_implILb0ES3_SA_NS6_6detail15normal_iteratorINS6_10device_ptrIS9_EEEEPS9_NS0_8identityIS9_EEEE10hipError_tT2_T3_mT4_P12ihipStream_tbEUlT_E_NS1_11comp_targetILNS1_3genE3ELNS1_11target_archE908ELNS1_3gpuE7ELNS1_3repE0EEENS1_30default_config_static_selectorELNS0_4arch9wavefront6targetE0EEEvT1_.private_seg_size, 0
	.set _ZN7rocprim17ROCPRIM_400000_NS6detail17trampoline_kernelINS0_14default_configENS1_25transform_config_selectorIN6thrust23THRUST_200600_302600_NS5tupleIffNS6_9null_typeES8_S8_S8_S8_S8_S8_S8_EELb0EEEZNS1_14transform_implILb0ES3_SA_NS6_6detail15normal_iteratorINS6_10device_ptrIS9_EEEEPS9_NS0_8identityIS9_EEEE10hipError_tT2_T3_mT4_P12ihipStream_tbEUlT_E_NS1_11comp_targetILNS1_3genE3ELNS1_11target_archE908ELNS1_3gpuE7ELNS1_3repE0EEENS1_30default_config_static_selectorELNS0_4arch9wavefront6targetE0EEEvT1_.uses_vcc, 0
	.set _ZN7rocprim17ROCPRIM_400000_NS6detail17trampoline_kernelINS0_14default_configENS1_25transform_config_selectorIN6thrust23THRUST_200600_302600_NS5tupleIffNS6_9null_typeES8_S8_S8_S8_S8_S8_S8_EELb0EEEZNS1_14transform_implILb0ES3_SA_NS6_6detail15normal_iteratorINS6_10device_ptrIS9_EEEEPS9_NS0_8identityIS9_EEEE10hipError_tT2_T3_mT4_P12ihipStream_tbEUlT_E_NS1_11comp_targetILNS1_3genE3ELNS1_11target_archE908ELNS1_3gpuE7ELNS1_3repE0EEENS1_30default_config_static_selectorELNS0_4arch9wavefront6targetE0EEEvT1_.uses_flat_scratch, 0
	.set _ZN7rocprim17ROCPRIM_400000_NS6detail17trampoline_kernelINS0_14default_configENS1_25transform_config_selectorIN6thrust23THRUST_200600_302600_NS5tupleIffNS6_9null_typeES8_S8_S8_S8_S8_S8_S8_EELb0EEEZNS1_14transform_implILb0ES3_SA_NS6_6detail15normal_iteratorINS6_10device_ptrIS9_EEEEPS9_NS0_8identityIS9_EEEE10hipError_tT2_T3_mT4_P12ihipStream_tbEUlT_E_NS1_11comp_targetILNS1_3genE3ELNS1_11target_archE908ELNS1_3gpuE7ELNS1_3repE0EEENS1_30default_config_static_selectorELNS0_4arch9wavefront6targetE0EEEvT1_.has_dyn_sized_stack, 0
	.set _ZN7rocprim17ROCPRIM_400000_NS6detail17trampoline_kernelINS0_14default_configENS1_25transform_config_selectorIN6thrust23THRUST_200600_302600_NS5tupleIffNS6_9null_typeES8_S8_S8_S8_S8_S8_S8_EELb0EEEZNS1_14transform_implILb0ES3_SA_NS6_6detail15normal_iteratorINS6_10device_ptrIS9_EEEEPS9_NS0_8identityIS9_EEEE10hipError_tT2_T3_mT4_P12ihipStream_tbEUlT_E_NS1_11comp_targetILNS1_3genE3ELNS1_11target_archE908ELNS1_3gpuE7ELNS1_3repE0EEENS1_30default_config_static_selectorELNS0_4arch9wavefront6targetE0EEEvT1_.has_recursion, 0
	.set _ZN7rocprim17ROCPRIM_400000_NS6detail17trampoline_kernelINS0_14default_configENS1_25transform_config_selectorIN6thrust23THRUST_200600_302600_NS5tupleIffNS6_9null_typeES8_S8_S8_S8_S8_S8_S8_EELb0EEEZNS1_14transform_implILb0ES3_SA_NS6_6detail15normal_iteratorINS6_10device_ptrIS9_EEEEPS9_NS0_8identityIS9_EEEE10hipError_tT2_T3_mT4_P12ihipStream_tbEUlT_E_NS1_11comp_targetILNS1_3genE3ELNS1_11target_archE908ELNS1_3gpuE7ELNS1_3repE0EEENS1_30default_config_static_selectorELNS0_4arch9wavefront6targetE0EEEvT1_.has_indirect_call, 0
	.section	.AMDGPU.csdata,"",@progbits
; Kernel info:
; codeLenInByte = 0
; TotalNumSgprs: 0
; NumVgprs: 0
; ScratchSize: 0
; MemoryBound: 0
; FloatMode: 240
; IeeeMode: 1
; LDSByteSize: 0 bytes/workgroup (compile time only)
; SGPRBlocks: 0
; VGPRBlocks: 0
; NumSGPRsForWavesPerEU: 1
; NumVGPRsForWavesPerEU: 1
; Occupancy: 16
; WaveLimiterHint : 0
; COMPUTE_PGM_RSRC2:SCRATCH_EN: 0
; COMPUTE_PGM_RSRC2:USER_SGPR: 2
; COMPUTE_PGM_RSRC2:TRAP_HANDLER: 0
; COMPUTE_PGM_RSRC2:TGID_X_EN: 1
; COMPUTE_PGM_RSRC2:TGID_Y_EN: 0
; COMPUTE_PGM_RSRC2:TGID_Z_EN: 0
; COMPUTE_PGM_RSRC2:TIDIG_COMP_CNT: 0
	.section	.text._ZN7rocprim17ROCPRIM_400000_NS6detail17trampoline_kernelINS0_14default_configENS1_25transform_config_selectorIN6thrust23THRUST_200600_302600_NS5tupleIffNS6_9null_typeES8_S8_S8_S8_S8_S8_S8_EELb0EEEZNS1_14transform_implILb0ES3_SA_NS6_6detail15normal_iteratorINS6_10device_ptrIS9_EEEEPS9_NS0_8identityIS9_EEEE10hipError_tT2_T3_mT4_P12ihipStream_tbEUlT_E_NS1_11comp_targetILNS1_3genE2ELNS1_11target_archE906ELNS1_3gpuE6ELNS1_3repE0EEENS1_30default_config_static_selectorELNS0_4arch9wavefront6targetE0EEEvT1_,"axG",@progbits,_ZN7rocprim17ROCPRIM_400000_NS6detail17trampoline_kernelINS0_14default_configENS1_25transform_config_selectorIN6thrust23THRUST_200600_302600_NS5tupleIffNS6_9null_typeES8_S8_S8_S8_S8_S8_S8_EELb0EEEZNS1_14transform_implILb0ES3_SA_NS6_6detail15normal_iteratorINS6_10device_ptrIS9_EEEEPS9_NS0_8identityIS9_EEEE10hipError_tT2_T3_mT4_P12ihipStream_tbEUlT_E_NS1_11comp_targetILNS1_3genE2ELNS1_11target_archE906ELNS1_3gpuE6ELNS1_3repE0EEENS1_30default_config_static_selectorELNS0_4arch9wavefront6targetE0EEEvT1_,comdat
	.protected	_ZN7rocprim17ROCPRIM_400000_NS6detail17trampoline_kernelINS0_14default_configENS1_25transform_config_selectorIN6thrust23THRUST_200600_302600_NS5tupleIffNS6_9null_typeES8_S8_S8_S8_S8_S8_S8_EELb0EEEZNS1_14transform_implILb0ES3_SA_NS6_6detail15normal_iteratorINS6_10device_ptrIS9_EEEEPS9_NS0_8identityIS9_EEEE10hipError_tT2_T3_mT4_P12ihipStream_tbEUlT_E_NS1_11comp_targetILNS1_3genE2ELNS1_11target_archE906ELNS1_3gpuE6ELNS1_3repE0EEENS1_30default_config_static_selectorELNS0_4arch9wavefront6targetE0EEEvT1_ ; -- Begin function _ZN7rocprim17ROCPRIM_400000_NS6detail17trampoline_kernelINS0_14default_configENS1_25transform_config_selectorIN6thrust23THRUST_200600_302600_NS5tupleIffNS6_9null_typeES8_S8_S8_S8_S8_S8_S8_EELb0EEEZNS1_14transform_implILb0ES3_SA_NS6_6detail15normal_iteratorINS6_10device_ptrIS9_EEEEPS9_NS0_8identityIS9_EEEE10hipError_tT2_T3_mT4_P12ihipStream_tbEUlT_E_NS1_11comp_targetILNS1_3genE2ELNS1_11target_archE906ELNS1_3gpuE6ELNS1_3repE0EEENS1_30default_config_static_selectorELNS0_4arch9wavefront6targetE0EEEvT1_
	.globl	_ZN7rocprim17ROCPRIM_400000_NS6detail17trampoline_kernelINS0_14default_configENS1_25transform_config_selectorIN6thrust23THRUST_200600_302600_NS5tupleIffNS6_9null_typeES8_S8_S8_S8_S8_S8_S8_EELb0EEEZNS1_14transform_implILb0ES3_SA_NS6_6detail15normal_iteratorINS6_10device_ptrIS9_EEEEPS9_NS0_8identityIS9_EEEE10hipError_tT2_T3_mT4_P12ihipStream_tbEUlT_E_NS1_11comp_targetILNS1_3genE2ELNS1_11target_archE906ELNS1_3gpuE6ELNS1_3repE0EEENS1_30default_config_static_selectorELNS0_4arch9wavefront6targetE0EEEvT1_
	.p2align	8
	.type	_ZN7rocprim17ROCPRIM_400000_NS6detail17trampoline_kernelINS0_14default_configENS1_25transform_config_selectorIN6thrust23THRUST_200600_302600_NS5tupleIffNS6_9null_typeES8_S8_S8_S8_S8_S8_S8_EELb0EEEZNS1_14transform_implILb0ES3_SA_NS6_6detail15normal_iteratorINS6_10device_ptrIS9_EEEEPS9_NS0_8identityIS9_EEEE10hipError_tT2_T3_mT4_P12ihipStream_tbEUlT_E_NS1_11comp_targetILNS1_3genE2ELNS1_11target_archE906ELNS1_3gpuE6ELNS1_3repE0EEENS1_30default_config_static_selectorELNS0_4arch9wavefront6targetE0EEEvT1_,@function
_ZN7rocprim17ROCPRIM_400000_NS6detail17trampoline_kernelINS0_14default_configENS1_25transform_config_selectorIN6thrust23THRUST_200600_302600_NS5tupleIffNS6_9null_typeES8_S8_S8_S8_S8_S8_S8_EELb0EEEZNS1_14transform_implILb0ES3_SA_NS6_6detail15normal_iteratorINS6_10device_ptrIS9_EEEEPS9_NS0_8identityIS9_EEEE10hipError_tT2_T3_mT4_P12ihipStream_tbEUlT_E_NS1_11comp_targetILNS1_3genE2ELNS1_11target_archE906ELNS1_3gpuE6ELNS1_3repE0EEENS1_30default_config_static_selectorELNS0_4arch9wavefront6targetE0EEEvT1_: ; @_ZN7rocprim17ROCPRIM_400000_NS6detail17trampoline_kernelINS0_14default_configENS1_25transform_config_selectorIN6thrust23THRUST_200600_302600_NS5tupleIffNS6_9null_typeES8_S8_S8_S8_S8_S8_S8_EELb0EEEZNS1_14transform_implILb0ES3_SA_NS6_6detail15normal_iteratorINS6_10device_ptrIS9_EEEEPS9_NS0_8identityIS9_EEEE10hipError_tT2_T3_mT4_P12ihipStream_tbEUlT_E_NS1_11comp_targetILNS1_3genE2ELNS1_11target_archE906ELNS1_3gpuE6ELNS1_3repE0EEENS1_30default_config_static_selectorELNS0_4arch9wavefront6targetE0EEEvT1_
; %bb.0:
	.section	.rodata,"a",@progbits
	.p2align	6, 0x0
	.amdhsa_kernel _ZN7rocprim17ROCPRIM_400000_NS6detail17trampoline_kernelINS0_14default_configENS1_25transform_config_selectorIN6thrust23THRUST_200600_302600_NS5tupleIffNS6_9null_typeES8_S8_S8_S8_S8_S8_S8_EELb0EEEZNS1_14transform_implILb0ES3_SA_NS6_6detail15normal_iteratorINS6_10device_ptrIS9_EEEEPS9_NS0_8identityIS9_EEEE10hipError_tT2_T3_mT4_P12ihipStream_tbEUlT_E_NS1_11comp_targetILNS1_3genE2ELNS1_11target_archE906ELNS1_3gpuE6ELNS1_3repE0EEENS1_30default_config_static_selectorELNS0_4arch9wavefront6targetE0EEEvT1_
		.amdhsa_group_segment_fixed_size 0
		.amdhsa_private_segment_fixed_size 0
		.amdhsa_kernarg_size 40
		.amdhsa_user_sgpr_count 2
		.amdhsa_user_sgpr_dispatch_ptr 0
		.amdhsa_user_sgpr_queue_ptr 0
		.amdhsa_user_sgpr_kernarg_segment_ptr 1
		.amdhsa_user_sgpr_dispatch_id 0
		.amdhsa_user_sgpr_private_segment_size 0
		.amdhsa_wavefront_size32 1
		.amdhsa_uses_dynamic_stack 0
		.amdhsa_enable_private_segment 0
		.amdhsa_system_sgpr_workgroup_id_x 1
		.amdhsa_system_sgpr_workgroup_id_y 0
		.amdhsa_system_sgpr_workgroup_id_z 0
		.amdhsa_system_sgpr_workgroup_info 0
		.amdhsa_system_vgpr_workitem_id 0
		.amdhsa_next_free_vgpr 1
		.amdhsa_next_free_sgpr 1
		.amdhsa_reserve_vcc 0
		.amdhsa_float_round_mode_32 0
		.amdhsa_float_round_mode_16_64 0
		.amdhsa_float_denorm_mode_32 3
		.amdhsa_float_denorm_mode_16_64 3
		.amdhsa_fp16_overflow 0
		.amdhsa_workgroup_processor_mode 1
		.amdhsa_memory_ordered 1
		.amdhsa_forward_progress 1
		.amdhsa_inst_pref_size 0
		.amdhsa_round_robin_scheduling 0
		.amdhsa_exception_fp_ieee_invalid_op 0
		.amdhsa_exception_fp_denorm_src 0
		.amdhsa_exception_fp_ieee_div_zero 0
		.amdhsa_exception_fp_ieee_overflow 0
		.amdhsa_exception_fp_ieee_underflow 0
		.amdhsa_exception_fp_ieee_inexact 0
		.amdhsa_exception_int_div_zero 0
	.end_amdhsa_kernel
	.section	.text._ZN7rocprim17ROCPRIM_400000_NS6detail17trampoline_kernelINS0_14default_configENS1_25transform_config_selectorIN6thrust23THRUST_200600_302600_NS5tupleIffNS6_9null_typeES8_S8_S8_S8_S8_S8_S8_EELb0EEEZNS1_14transform_implILb0ES3_SA_NS6_6detail15normal_iteratorINS6_10device_ptrIS9_EEEEPS9_NS0_8identityIS9_EEEE10hipError_tT2_T3_mT4_P12ihipStream_tbEUlT_E_NS1_11comp_targetILNS1_3genE2ELNS1_11target_archE906ELNS1_3gpuE6ELNS1_3repE0EEENS1_30default_config_static_selectorELNS0_4arch9wavefront6targetE0EEEvT1_,"axG",@progbits,_ZN7rocprim17ROCPRIM_400000_NS6detail17trampoline_kernelINS0_14default_configENS1_25transform_config_selectorIN6thrust23THRUST_200600_302600_NS5tupleIffNS6_9null_typeES8_S8_S8_S8_S8_S8_S8_EELb0EEEZNS1_14transform_implILb0ES3_SA_NS6_6detail15normal_iteratorINS6_10device_ptrIS9_EEEEPS9_NS0_8identityIS9_EEEE10hipError_tT2_T3_mT4_P12ihipStream_tbEUlT_E_NS1_11comp_targetILNS1_3genE2ELNS1_11target_archE906ELNS1_3gpuE6ELNS1_3repE0EEENS1_30default_config_static_selectorELNS0_4arch9wavefront6targetE0EEEvT1_,comdat
.Lfunc_end170:
	.size	_ZN7rocprim17ROCPRIM_400000_NS6detail17trampoline_kernelINS0_14default_configENS1_25transform_config_selectorIN6thrust23THRUST_200600_302600_NS5tupleIffNS6_9null_typeES8_S8_S8_S8_S8_S8_S8_EELb0EEEZNS1_14transform_implILb0ES3_SA_NS6_6detail15normal_iteratorINS6_10device_ptrIS9_EEEEPS9_NS0_8identityIS9_EEEE10hipError_tT2_T3_mT4_P12ihipStream_tbEUlT_E_NS1_11comp_targetILNS1_3genE2ELNS1_11target_archE906ELNS1_3gpuE6ELNS1_3repE0EEENS1_30default_config_static_selectorELNS0_4arch9wavefront6targetE0EEEvT1_, .Lfunc_end170-_ZN7rocprim17ROCPRIM_400000_NS6detail17trampoline_kernelINS0_14default_configENS1_25transform_config_selectorIN6thrust23THRUST_200600_302600_NS5tupleIffNS6_9null_typeES8_S8_S8_S8_S8_S8_S8_EELb0EEEZNS1_14transform_implILb0ES3_SA_NS6_6detail15normal_iteratorINS6_10device_ptrIS9_EEEEPS9_NS0_8identityIS9_EEEE10hipError_tT2_T3_mT4_P12ihipStream_tbEUlT_E_NS1_11comp_targetILNS1_3genE2ELNS1_11target_archE906ELNS1_3gpuE6ELNS1_3repE0EEENS1_30default_config_static_selectorELNS0_4arch9wavefront6targetE0EEEvT1_
                                        ; -- End function
	.set _ZN7rocprim17ROCPRIM_400000_NS6detail17trampoline_kernelINS0_14default_configENS1_25transform_config_selectorIN6thrust23THRUST_200600_302600_NS5tupleIffNS6_9null_typeES8_S8_S8_S8_S8_S8_S8_EELb0EEEZNS1_14transform_implILb0ES3_SA_NS6_6detail15normal_iteratorINS6_10device_ptrIS9_EEEEPS9_NS0_8identityIS9_EEEE10hipError_tT2_T3_mT4_P12ihipStream_tbEUlT_E_NS1_11comp_targetILNS1_3genE2ELNS1_11target_archE906ELNS1_3gpuE6ELNS1_3repE0EEENS1_30default_config_static_selectorELNS0_4arch9wavefront6targetE0EEEvT1_.num_vgpr, 0
	.set _ZN7rocprim17ROCPRIM_400000_NS6detail17trampoline_kernelINS0_14default_configENS1_25transform_config_selectorIN6thrust23THRUST_200600_302600_NS5tupleIffNS6_9null_typeES8_S8_S8_S8_S8_S8_S8_EELb0EEEZNS1_14transform_implILb0ES3_SA_NS6_6detail15normal_iteratorINS6_10device_ptrIS9_EEEEPS9_NS0_8identityIS9_EEEE10hipError_tT2_T3_mT4_P12ihipStream_tbEUlT_E_NS1_11comp_targetILNS1_3genE2ELNS1_11target_archE906ELNS1_3gpuE6ELNS1_3repE0EEENS1_30default_config_static_selectorELNS0_4arch9wavefront6targetE0EEEvT1_.num_agpr, 0
	.set _ZN7rocprim17ROCPRIM_400000_NS6detail17trampoline_kernelINS0_14default_configENS1_25transform_config_selectorIN6thrust23THRUST_200600_302600_NS5tupleIffNS6_9null_typeES8_S8_S8_S8_S8_S8_S8_EELb0EEEZNS1_14transform_implILb0ES3_SA_NS6_6detail15normal_iteratorINS6_10device_ptrIS9_EEEEPS9_NS0_8identityIS9_EEEE10hipError_tT2_T3_mT4_P12ihipStream_tbEUlT_E_NS1_11comp_targetILNS1_3genE2ELNS1_11target_archE906ELNS1_3gpuE6ELNS1_3repE0EEENS1_30default_config_static_selectorELNS0_4arch9wavefront6targetE0EEEvT1_.numbered_sgpr, 0
	.set _ZN7rocprim17ROCPRIM_400000_NS6detail17trampoline_kernelINS0_14default_configENS1_25transform_config_selectorIN6thrust23THRUST_200600_302600_NS5tupleIffNS6_9null_typeES8_S8_S8_S8_S8_S8_S8_EELb0EEEZNS1_14transform_implILb0ES3_SA_NS6_6detail15normal_iteratorINS6_10device_ptrIS9_EEEEPS9_NS0_8identityIS9_EEEE10hipError_tT2_T3_mT4_P12ihipStream_tbEUlT_E_NS1_11comp_targetILNS1_3genE2ELNS1_11target_archE906ELNS1_3gpuE6ELNS1_3repE0EEENS1_30default_config_static_selectorELNS0_4arch9wavefront6targetE0EEEvT1_.num_named_barrier, 0
	.set _ZN7rocprim17ROCPRIM_400000_NS6detail17trampoline_kernelINS0_14default_configENS1_25transform_config_selectorIN6thrust23THRUST_200600_302600_NS5tupleIffNS6_9null_typeES8_S8_S8_S8_S8_S8_S8_EELb0EEEZNS1_14transform_implILb0ES3_SA_NS6_6detail15normal_iteratorINS6_10device_ptrIS9_EEEEPS9_NS0_8identityIS9_EEEE10hipError_tT2_T3_mT4_P12ihipStream_tbEUlT_E_NS1_11comp_targetILNS1_3genE2ELNS1_11target_archE906ELNS1_3gpuE6ELNS1_3repE0EEENS1_30default_config_static_selectorELNS0_4arch9wavefront6targetE0EEEvT1_.private_seg_size, 0
	.set _ZN7rocprim17ROCPRIM_400000_NS6detail17trampoline_kernelINS0_14default_configENS1_25transform_config_selectorIN6thrust23THRUST_200600_302600_NS5tupleIffNS6_9null_typeES8_S8_S8_S8_S8_S8_S8_EELb0EEEZNS1_14transform_implILb0ES3_SA_NS6_6detail15normal_iteratorINS6_10device_ptrIS9_EEEEPS9_NS0_8identityIS9_EEEE10hipError_tT2_T3_mT4_P12ihipStream_tbEUlT_E_NS1_11comp_targetILNS1_3genE2ELNS1_11target_archE906ELNS1_3gpuE6ELNS1_3repE0EEENS1_30default_config_static_selectorELNS0_4arch9wavefront6targetE0EEEvT1_.uses_vcc, 0
	.set _ZN7rocprim17ROCPRIM_400000_NS6detail17trampoline_kernelINS0_14default_configENS1_25transform_config_selectorIN6thrust23THRUST_200600_302600_NS5tupleIffNS6_9null_typeES8_S8_S8_S8_S8_S8_S8_EELb0EEEZNS1_14transform_implILb0ES3_SA_NS6_6detail15normal_iteratorINS6_10device_ptrIS9_EEEEPS9_NS0_8identityIS9_EEEE10hipError_tT2_T3_mT4_P12ihipStream_tbEUlT_E_NS1_11comp_targetILNS1_3genE2ELNS1_11target_archE906ELNS1_3gpuE6ELNS1_3repE0EEENS1_30default_config_static_selectorELNS0_4arch9wavefront6targetE0EEEvT1_.uses_flat_scratch, 0
	.set _ZN7rocprim17ROCPRIM_400000_NS6detail17trampoline_kernelINS0_14default_configENS1_25transform_config_selectorIN6thrust23THRUST_200600_302600_NS5tupleIffNS6_9null_typeES8_S8_S8_S8_S8_S8_S8_EELb0EEEZNS1_14transform_implILb0ES3_SA_NS6_6detail15normal_iteratorINS6_10device_ptrIS9_EEEEPS9_NS0_8identityIS9_EEEE10hipError_tT2_T3_mT4_P12ihipStream_tbEUlT_E_NS1_11comp_targetILNS1_3genE2ELNS1_11target_archE906ELNS1_3gpuE6ELNS1_3repE0EEENS1_30default_config_static_selectorELNS0_4arch9wavefront6targetE0EEEvT1_.has_dyn_sized_stack, 0
	.set _ZN7rocprim17ROCPRIM_400000_NS6detail17trampoline_kernelINS0_14default_configENS1_25transform_config_selectorIN6thrust23THRUST_200600_302600_NS5tupleIffNS6_9null_typeES8_S8_S8_S8_S8_S8_S8_EELb0EEEZNS1_14transform_implILb0ES3_SA_NS6_6detail15normal_iteratorINS6_10device_ptrIS9_EEEEPS9_NS0_8identityIS9_EEEE10hipError_tT2_T3_mT4_P12ihipStream_tbEUlT_E_NS1_11comp_targetILNS1_3genE2ELNS1_11target_archE906ELNS1_3gpuE6ELNS1_3repE0EEENS1_30default_config_static_selectorELNS0_4arch9wavefront6targetE0EEEvT1_.has_recursion, 0
	.set _ZN7rocprim17ROCPRIM_400000_NS6detail17trampoline_kernelINS0_14default_configENS1_25transform_config_selectorIN6thrust23THRUST_200600_302600_NS5tupleIffNS6_9null_typeES8_S8_S8_S8_S8_S8_S8_EELb0EEEZNS1_14transform_implILb0ES3_SA_NS6_6detail15normal_iteratorINS6_10device_ptrIS9_EEEEPS9_NS0_8identityIS9_EEEE10hipError_tT2_T3_mT4_P12ihipStream_tbEUlT_E_NS1_11comp_targetILNS1_3genE2ELNS1_11target_archE906ELNS1_3gpuE6ELNS1_3repE0EEENS1_30default_config_static_selectorELNS0_4arch9wavefront6targetE0EEEvT1_.has_indirect_call, 0
	.section	.AMDGPU.csdata,"",@progbits
; Kernel info:
; codeLenInByte = 0
; TotalNumSgprs: 0
; NumVgprs: 0
; ScratchSize: 0
; MemoryBound: 0
; FloatMode: 240
; IeeeMode: 1
; LDSByteSize: 0 bytes/workgroup (compile time only)
; SGPRBlocks: 0
; VGPRBlocks: 0
; NumSGPRsForWavesPerEU: 1
; NumVGPRsForWavesPerEU: 1
; Occupancy: 16
; WaveLimiterHint : 0
; COMPUTE_PGM_RSRC2:SCRATCH_EN: 0
; COMPUTE_PGM_RSRC2:USER_SGPR: 2
; COMPUTE_PGM_RSRC2:TRAP_HANDLER: 0
; COMPUTE_PGM_RSRC2:TGID_X_EN: 1
; COMPUTE_PGM_RSRC2:TGID_Y_EN: 0
; COMPUTE_PGM_RSRC2:TGID_Z_EN: 0
; COMPUTE_PGM_RSRC2:TIDIG_COMP_CNT: 0
	.section	.text._ZN7rocprim17ROCPRIM_400000_NS6detail17trampoline_kernelINS0_14default_configENS1_25transform_config_selectorIN6thrust23THRUST_200600_302600_NS5tupleIffNS6_9null_typeES8_S8_S8_S8_S8_S8_S8_EELb0EEEZNS1_14transform_implILb0ES3_SA_NS6_6detail15normal_iteratorINS6_10device_ptrIS9_EEEEPS9_NS0_8identityIS9_EEEE10hipError_tT2_T3_mT4_P12ihipStream_tbEUlT_E_NS1_11comp_targetILNS1_3genE10ELNS1_11target_archE1201ELNS1_3gpuE5ELNS1_3repE0EEENS1_30default_config_static_selectorELNS0_4arch9wavefront6targetE0EEEvT1_,"axG",@progbits,_ZN7rocprim17ROCPRIM_400000_NS6detail17trampoline_kernelINS0_14default_configENS1_25transform_config_selectorIN6thrust23THRUST_200600_302600_NS5tupleIffNS6_9null_typeES8_S8_S8_S8_S8_S8_S8_EELb0EEEZNS1_14transform_implILb0ES3_SA_NS6_6detail15normal_iteratorINS6_10device_ptrIS9_EEEEPS9_NS0_8identityIS9_EEEE10hipError_tT2_T3_mT4_P12ihipStream_tbEUlT_E_NS1_11comp_targetILNS1_3genE10ELNS1_11target_archE1201ELNS1_3gpuE5ELNS1_3repE0EEENS1_30default_config_static_selectorELNS0_4arch9wavefront6targetE0EEEvT1_,comdat
	.protected	_ZN7rocprim17ROCPRIM_400000_NS6detail17trampoline_kernelINS0_14default_configENS1_25transform_config_selectorIN6thrust23THRUST_200600_302600_NS5tupleIffNS6_9null_typeES8_S8_S8_S8_S8_S8_S8_EELb0EEEZNS1_14transform_implILb0ES3_SA_NS6_6detail15normal_iteratorINS6_10device_ptrIS9_EEEEPS9_NS0_8identityIS9_EEEE10hipError_tT2_T3_mT4_P12ihipStream_tbEUlT_E_NS1_11comp_targetILNS1_3genE10ELNS1_11target_archE1201ELNS1_3gpuE5ELNS1_3repE0EEENS1_30default_config_static_selectorELNS0_4arch9wavefront6targetE0EEEvT1_ ; -- Begin function _ZN7rocprim17ROCPRIM_400000_NS6detail17trampoline_kernelINS0_14default_configENS1_25transform_config_selectorIN6thrust23THRUST_200600_302600_NS5tupleIffNS6_9null_typeES8_S8_S8_S8_S8_S8_S8_EELb0EEEZNS1_14transform_implILb0ES3_SA_NS6_6detail15normal_iteratorINS6_10device_ptrIS9_EEEEPS9_NS0_8identityIS9_EEEE10hipError_tT2_T3_mT4_P12ihipStream_tbEUlT_E_NS1_11comp_targetILNS1_3genE10ELNS1_11target_archE1201ELNS1_3gpuE5ELNS1_3repE0EEENS1_30default_config_static_selectorELNS0_4arch9wavefront6targetE0EEEvT1_
	.globl	_ZN7rocprim17ROCPRIM_400000_NS6detail17trampoline_kernelINS0_14default_configENS1_25transform_config_selectorIN6thrust23THRUST_200600_302600_NS5tupleIffNS6_9null_typeES8_S8_S8_S8_S8_S8_S8_EELb0EEEZNS1_14transform_implILb0ES3_SA_NS6_6detail15normal_iteratorINS6_10device_ptrIS9_EEEEPS9_NS0_8identityIS9_EEEE10hipError_tT2_T3_mT4_P12ihipStream_tbEUlT_E_NS1_11comp_targetILNS1_3genE10ELNS1_11target_archE1201ELNS1_3gpuE5ELNS1_3repE0EEENS1_30default_config_static_selectorELNS0_4arch9wavefront6targetE0EEEvT1_
	.p2align	8
	.type	_ZN7rocprim17ROCPRIM_400000_NS6detail17trampoline_kernelINS0_14default_configENS1_25transform_config_selectorIN6thrust23THRUST_200600_302600_NS5tupleIffNS6_9null_typeES8_S8_S8_S8_S8_S8_S8_EELb0EEEZNS1_14transform_implILb0ES3_SA_NS6_6detail15normal_iteratorINS6_10device_ptrIS9_EEEEPS9_NS0_8identityIS9_EEEE10hipError_tT2_T3_mT4_P12ihipStream_tbEUlT_E_NS1_11comp_targetILNS1_3genE10ELNS1_11target_archE1201ELNS1_3gpuE5ELNS1_3repE0EEENS1_30default_config_static_selectorELNS0_4arch9wavefront6targetE0EEEvT1_,@function
_ZN7rocprim17ROCPRIM_400000_NS6detail17trampoline_kernelINS0_14default_configENS1_25transform_config_selectorIN6thrust23THRUST_200600_302600_NS5tupleIffNS6_9null_typeES8_S8_S8_S8_S8_S8_S8_EELb0EEEZNS1_14transform_implILb0ES3_SA_NS6_6detail15normal_iteratorINS6_10device_ptrIS9_EEEEPS9_NS0_8identityIS9_EEEE10hipError_tT2_T3_mT4_P12ihipStream_tbEUlT_E_NS1_11comp_targetILNS1_3genE10ELNS1_11target_archE1201ELNS1_3gpuE5ELNS1_3repE0EEENS1_30default_config_static_selectorELNS0_4arch9wavefront6targetE0EEEvT1_: ; @_ZN7rocprim17ROCPRIM_400000_NS6detail17trampoline_kernelINS0_14default_configENS1_25transform_config_selectorIN6thrust23THRUST_200600_302600_NS5tupleIffNS6_9null_typeES8_S8_S8_S8_S8_S8_S8_EELb0EEEZNS1_14transform_implILb0ES3_SA_NS6_6detail15normal_iteratorINS6_10device_ptrIS9_EEEEPS9_NS0_8identityIS9_EEEE10hipError_tT2_T3_mT4_P12ihipStream_tbEUlT_E_NS1_11comp_targetILNS1_3genE10ELNS1_11target_archE1201ELNS1_3gpuE5ELNS1_3repE0EEENS1_30default_config_static_selectorELNS0_4arch9wavefront6targetE0EEEvT1_
; %bb.0:
	s_clause 0x1
	s_load_b256 s[4:11], s[0:1], 0x0
	s_load_b32 s12, s[0:1], 0x28
	s_lshl_b32 s0, ttmp9, 11
	s_mov_b32 s1, 0
	v_lshlrev_b32_e32 v5, 3, v0
	s_wait_kmcnt 0x0
	s_mov_b32 s9, -1
	s_lshl_b64 s[2:3], s[6:7], 3
	s_add_co_i32 s12, s12, -1
	s_add_nc_u64 s[6:7], s[4:5], s[2:3]
	s_lshl_b64 s[4:5], s[0:1], 3
	s_add_nc_u64 s[2:3], s[10:11], s[2:3]
	s_cmp_lg_u32 ttmp9, s12
	s_add_nc_u64 s[6:7], s[6:7], s[4:5]
	s_cbranch_scc0 .LBB171_2
; %bb.1:
	v_add_co_u32 v1, s1, s6, v5
	s_delay_alu instid0(VALU_DEP_1)
	v_add_co_ci_u32_e64 v2, null, s7, 0, s1
	s_add_nc_u64 s[10:11], s[2:3], s[4:5]
	s_mov_b32 s9, 0
	s_clause 0x1
	flat_load_b64 v[3:4], v[1:2]
	flat_load_b64 v[1:2], v[1:2] offset:8192
	s_wait_loadcnt_dscnt 0x101
	global_store_b64 v5, v[3:4], s[10:11]
	s_wait_loadcnt_dscnt 0x0
	global_store_b64 v5, v[1:2], s[10:11] offset:8192
.LBB171_2:
	s_and_not1_b32 vcc_lo, exec_lo, s9
	s_cbranch_vccnz .LBB171_13
; %bb.3:
	s_sub_co_i32 s1, s8, s0
	v_dual_mov_b32 v2, 0 :: v_dual_mov_b32 v1, 0
	s_wait_alu 0xfffe
	v_cmp_gt_u32_e32 vcc_lo, s1, v0
	s_and_saveexec_b32 s0, vcc_lo
	s_cbranch_execz .LBB171_5
; %bb.4:
	v_add_co_u32 v1, s8, s6, v5
	s_delay_alu instid0(VALU_DEP_1)
	v_add_co_ci_u32_e64 v2, null, s7, 0, s8
	flat_load_b64 v[1:2], v[1:2]
.LBB171_5:
	s_wait_alu 0xfffe
	s_or_b32 exec_lo, exec_lo, s0
	v_or_b32_e32 v3, 0x400, v0
	s_delay_alu instid0(VALU_DEP_1)
	v_cmp_gt_u32_e64 s0, s1, v3
	v_cmp_le_u32_e64 s1, s1, v3
	s_and_saveexec_b32 s8, s1
	s_wait_alu 0xfffe
	s_xor_b32 s1, exec_lo, s8
; %bb.6:
                                        ; implicit-def: $vgpr5
; %bb.7:
	s_wait_alu 0xfffe
	s_or_saveexec_b32 s1, s1
	v_dual_mov_b32 v3, 0 :: v_dual_mov_b32 v4, 0
	s_wait_alu 0xfffe
	s_xor_b32 exec_lo, exec_lo, s1
	s_cbranch_execz .LBB171_9
; %bb.8:
	v_add_co_u32 v3, s6, s6, v5
	s_wait_alu 0xf1ff
	v_add_co_ci_u32_e64 v4, null, s7, 0, s6
	flat_load_b64 v[3:4], v[3:4] offset:8192
.LBB171_9:
	s_or_b32 exec_lo, exec_lo, s1
	v_lshlrev_b32_e32 v0, 3, v0
	s_add_nc_u64 s[2:3], s[2:3], s[4:5]
	s_delay_alu instid0(VALU_DEP_1) | instid1(SALU_CYCLE_1)
	v_add_co_u32 v5, s1, s2, v0
	s_wait_alu 0xf1ff
	v_add_co_ci_u32_e64 v6, null, s3, 0, s1
	s_and_saveexec_b32 s1, vcc_lo
	s_cbranch_execz .LBB171_11
; %bb.10:
	s_wait_loadcnt_dscnt 0x0
	global_store_b64 v[5:6], v[1:2], off
.LBB171_11:
	s_wait_alu 0xfffe
	s_or_b32 exec_lo, exec_lo, s1
	s_and_saveexec_b32 s1, s0
	s_cbranch_execz .LBB171_13
; %bb.12:
	s_wait_loadcnt_dscnt 0x0
	global_store_b64 v[5:6], v[3:4], off offset:8192
.LBB171_13:
	s_endpgm
	.section	.rodata,"a",@progbits
	.p2align	6, 0x0
	.amdhsa_kernel _ZN7rocprim17ROCPRIM_400000_NS6detail17trampoline_kernelINS0_14default_configENS1_25transform_config_selectorIN6thrust23THRUST_200600_302600_NS5tupleIffNS6_9null_typeES8_S8_S8_S8_S8_S8_S8_EELb0EEEZNS1_14transform_implILb0ES3_SA_NS6_6detail15normal_iteratorINS6_10device_ptrIS9_EEEEPS9_NS0_8identityIS9_EEEE10hipError_tT2_T3_mT4_P12ihipStream_tbEUlT_E_NS1_11comp_targetILNS1_3genE10ELNS1_11target_archE1201ELNS1_3gpuE5ELNS1_3repE0EEENS1_30default_config_static_selectorELNS0_4arch9wavefront6targetE0EEEvT1_
		.amdhsa_group_segment_fixed_size 0
		.amdhsa_private_segment_fixed_size 0
		.amdhsa_kernarg_size 296
		.amdhsa_user_sgpr_count 2
		.amdhsa_user_sgpr_dispatch_ptr 0
		.amdhsa_user_sgpr_queue_ptr 0
		.amdhsa_user_sgpr_kernarg_segment_ptr 1
		.amdhsa_user_sgpr_dispatch_id 0
		.amdhsa_user_sgpr_private_segment_size 0
		.amdhsa_wavefront_size32 1
		.amdhsa_uses_dynamic_stack 0
		.amdhsa_enable_private_segment 0
		.amdhsa_system_sgpr_workgroup_id_x 1
		.amdhsa_system_sgpr_workgroup_id_y 0
		.amdhsa_system_sgpr_workgroup_id_z 0
		.amdhsa_system_sgpr_workgroup_info 0
		.amdhsa_system_vgpr_workitem_id 0
		.amdhsa_next_free_vgpr 7
		.amdhsa_next_free_sgpr 13
		.amdhsa_reserve_vcc 1
		.amdhsa_float_round_mode_32 0
		.amdhsa_float_round_mode_16_64 0
		.amdhsa_float_denorm_mode_32 3
		.amdhsa_float_denorm_mode_16_64 3
		.amdhsa_fp16_overflow 0
		.amdhsa_workgroup_processor_mode 1
		.amdhsa_memory_ordered 1
		.amdhsa_forward_progress 1
		.amdhsa_inst_pref_size 4
		.amdhsa_round_robin_scheduling 0
		.amdhsa_exception_fp_ieee_invalid_op 0
		.amdhsa_exception_fp_denorm_src 0
		.amdhsa_exception_fp_ieee_div_zero 0
		.amdhsa_exception_fp_ieee_overflow 0
		.amdhsa_exception_fp_ieee_underflow 0
		.amdhsa_exception_fp_ieee_inexact 0
		.amdhsa_exception_int_div_zero 0
	.end_amdhsa_kernel
	.section	.text._ZN7rocprim17ROCPRIM_400000_NS6detail17trampoline_kernelINS0_14default_configENS1_25transform_config_selectorIN6thrust23THRUST_200600_302600_NS5tupleIffNS6_9null_typeES8_S8_S8_S8_S8_S8_S8_EELb0EEEZNS1_14transform_implILb0ES3_SA_NS6_6detail15normal_iteratorINS6_10device_ptrIS9_EEEEPS9_NS0_8identityIS9_EEEE10hipError_tT2_T3_mT4_P12ihipStream_tbEUlT_E_NS1_11comp_targetILNS1_3genE10ELNS1_11target_archE1201ELNS1_3gpuE5ELNS1_3repE0EEENS1_30default_config_static_selectorELNS0_4arch9wavefront6targetE0EEEvT1_,"axG",@progbits,_ZN7rocprim17ROCPRIM_400000_NS6detail17trampoline_kernelINS0_14default_configENS1_25transform_config_selectorIN6thrust23THRUST_200600_302600_NS5tupleIffNS6_9null_typeES8_S8_S8_S8_S8_S8_S8_EELb0EEEZNS1_14transform_implILb0ES3_SA_NS6_6detail15normal_iteratorINS6_10device_ptrIS9_EEEEPS9_NS0_8identityIS9_EEEE10hipError_tT2_T3_mT4_P12ihipStream_tbEUlT_E_NS1_11comp_targetILNS1_3genE10ELNS1_11target_archE1201ELNS1_3gpuE5ELNS1_3repE0EEENS1_30default_config_static_selectorELNS0_4arch9wavefront6targetE0EEEvT1_,comdat
.Lfunc_end171:
	.size	_ZN7rocprim17ROCPRIM_400000_NS6detail17trampoline_kernelINS0_14default_configENS1_25transform_config_selectorIN6thrust23THRUST_200600_302600_NS5tupleIffNS6_9null_typeES8_S8_S8_S8_S8_S8_S8_EELb0EEEZNS1_14transform_implILb0ES3_SA_NS6_6detail15normal_iteratorINS6_10device_ptrIS9_EEEEPS9_NS0_8identityIS9_EEEE10hipError_tT2_T3_mT4_P12ihipStream_tbEUlT_E_NS1_11comp_targetILNS1_3genE10ELNS1_11target_archE1201ELNS1_3gpuE5ELNS1_3repE0EEENS1_30default_config_static_selectorELNS0_4arch9wavefront6targetE0EEEvT1_, .Lfunc_end171-_ZN7rocprim17ROCPRIM_400000_NS6detail17trampoline_kernelINS0_14default_configENS1_25transform_config_selectorIN6thrust23THRUST_200600_302600_NS5tupleIffNS6_9null_typeES8_S8_S8_S8_S8_S8_S8_EELb0EEEZNS1_14transform_implILb0ES3_SA_NS6_6detail15normal_iteratorINS6_10device_ptrIS9_EEEEPS9_NS0_8identityIS9_EEEE10hipError_tT2_T3_mT4_P12ihipStream_tbEUlT_E_NS1_11comp_targetILNS1_3genE10ELNS1_11target_archE1201ELNS1_3gpuE5ELNS1_3repE0EEENS1_30default_config_static_selectorELNS0_4arch9wavefront6targetE0EEEvT1_
                                        ; -- End function
	.set _ZN7rocprim17ROCPRIM_400000_NS6detail17trampoline_kernelINS0_14default_configENS1_25transform_config_selectorIN6thrust23THRUST_200600_302600_NS5tupleIffNS6_9null_typeES8_S8_S8_S8_S8_S8_S8_EELb0EEEZNS1_14transform_implILb0ES3_SA_NS6_6detail15normal_iteratorINS6_10device_ptrIS9_EEEEPS9_NS0_8identityIS9_EEEE10hipError_tT2_T3_mT4_P12ihipStream_tbEUlT_E_NS1_11comp_targetILNS1_3genE10ELNS1_11target_archE1201ELNS1_3gpuE5ELNS1_3repE0EEENS1_30default_config_static_selectorELNS0_4arch9wavefront6targetE0EEEvT1_.num_vgpr, 7
	.set _ZN7rocprim17ROCPRIM_400000_NS6detail17trampoline_kernelINS0_14default_configENS1_25transform_config_selectorIN6thrust23THRUST_200600_302600_NS5tupleIffNS6_9null_typeES8_S8_S8_S8_S8_S8_S8_EELb0EEEZNS1_14transform_implILb0ES3_SA_NS6_6detail15normal_iteratorINS6_10device_ptrIS9_EEEEPS9_NS0_8identityIS9_EEEE10hipError_tT2_T3_mT4_P12ihipStream_tbEUlT_E_NS1_11comp_targetILNS1_3genE10ELNS1_11target_archE1201ELNS1_3gpuE5ELNS1_3repE0EEENS1_30default_config_static_selectorELNS0_4arch9wavefront6targetE0EEEvT1_.num_agpr, 0
	.set _ZN7rocprim17ROCPRIM_400000_NS6detail17trampoline_kernelINS0_14default_configENS1_25transform_config_selectorIN6thrust23THRUST_200600_302600_NS5tupleIffNS6_9null_typeES8_S8_S8_S8_S8_S8_S8_EELb0EEEZNS1_14transform_implILb0ES3_SA_NS6_6detail15normal_iteratorINS6_10device_ptrIS9_EEEEPS9_NS0_8identityIS9_EEEE10hipError_tT2_T3_mT4_P12ihipStream_tbEUlT_E_NS1_11comp_targetILNS1_3genE10ELNS1_11target_archE1201ELNS1_3gpuE5ELNS1_3repE0EEENS1_30default_config_static_selectorELNS0_4arch9wavefront6targetE0EEEvT1_.numbered_sgpr, 13
	.set _ZN7rocprim17ROCPRIM_400000_NS6detail17trampoline_kernelINS0_14default_configENS1_25transform_config_selectorIN6thrust23THRUST_200600_302600_NS5tupleIffNS6_9null_typeES8_S8_S8_S8_S8_S8_S8_EELb0EEEZNS1_14transform_implILb0ES3_SA_NS6_6detail15normal_iteratorINS6_10device_ptrIS9_EEEEPS9_NS0_8identityIS9_EEEE10hipError_tT2_T3_mT4_P12ihipStream_tbEUlT_E_NS1_11comp_targetILNS1_3genE10ELNS1_11target_archE1201ELNS1_3gpuE5ELNS1_3repE0EEENS1_30default_config_static_selectorELNS0_4arch9wavefront6targetE0EEEvT1_.num_named_barrier, 0
	.set _ZN7rocprim17ROCPRIM_400000_NS6detail17trampoline_kernelINS0_14default_configENS1_25transform_config_selectorIN6thrust23THRUST_200600_302600_NS5tupleIffNS6_9null_typeES8_S8_S8_S8_S8_S8_S8_EELb0EEEZNS1_14transform_implILb0ES3_SA_NS6_6detail15normal_iteratorINS6_10device_ptrIS9_EEEEPS9_NS0_8identityIS9_EEEE10hipError_tT2_T3_mT4_P12ihipStream_tbEUlT_E_NS1_11comp_targetILNS1_3genE10ELNS1_11target_archE1201ELNS1_3gpuE5ELNS1_3repE0EEENS1_30default_config_static_selectorELNS0_4arch9wavefront6targetE0EEEvT1_.private_seg_size, 0
	.set _ZN7rocprim17ROCPRIM_400000_NS6detail17trampoline_kernelINS0_14default_configENS1_25transform_config_selectorIN6thrust23THRUST_200600_302600_NS5tupleIffNS6_9null_typeES8_S8_S8_S8_S8_S8_S8_EELb0EEEZNS1_14transform_implILb0ES3_SA_NS6_6detail15normal_iteratorINS6_10device_ptrIS9_EEEEPS9_NS0_8identityIS9_EEEE10hipError_tT2_T3_mT4_P12ihipStream_tbEUlT_E_NS1_11comp_targetILNS1_3genE10ELNS1_11target_archE1201ELNS1_3gpuE5ELNS1_3repE0EEENS1_30default_config_static_selectorELNS0_4arch9wavefront6targetE0EEEvT1_.uses_vcc, 1
	.set _ZN7rocprim17ROCPRIM_400000_NS6detail17trampoline_kernelINS0_14default_configENS1_25transform_config_selectorIN6thrust23THRUST_200600_302600_NS5tupleIffNS6_9null_typeES8_S8_S8_S8_S8_S8_S8_EELb0EEEZNS1_14transform_implILb0ES3_SA_NS6_6detail15normal_iteratorINS6_10device_ptrIS9_EEEEPS9_NS0_8identityIS9_EEEE10hipError_tT2_T3_mT4_P12ihipStream_tbEUlT_E_NS1_11comp_targetILNS1_3genE10ELNS1_11target_archE1201ELNS1_3gpuE5ELNS1_3repE0EEENS1_30default_config_static_selectorELNS0_4arch9wavefront6targetE0EEEvT1_.uses_flat_scratch, 1
	.set _ZN7rocprim17ROCPRIM_400000_NS6detail17trampoline_kernelINS0_14default_configENS1_25transform_config_selectorIN6thrust23THRUST_200600_302600_NS5tupleIffNS6_9null_typeES8_S8_S8_S8_S8_S8_S8_EELb0EEEZNS1_14transform_implILb0ES3_SA_NS6_6detail15normal_iteratorINS6_10device_ptrIS9_EEEEPS9_NS0_8identityIS9_EEEE10hipError_tT2_T3_mT4_P12ihipStream_tbEUlT_E_NS1_11comp_targetILNS1_3genE10ELNS1_11target_archE1201ELNS1_3gpuE5ELNS1_3repE0EEENS1_30default_config_static_selectorELNS0_4arch9wavefront6targetE0EEEvT1_.has_dyn_sized_stack, 0
	.set _ZN7rocprim17ROCPRIM_400000_NS6detail17trampoline_kernelINS0_14default_configENS1_25transform_config_selectorIN6thrust23THRUST_200600_302600_NS5tupleIffNS6_9null_typeES8_S8_S8_S8_S8_S8_S8_EELb0EEEZNS1_14transform_implILb0ES3_SA_NS6_6detail15normal_iteratorINS6_10device_ptrIS9_EEEEPS9_NS0_8identityIS9_EEEE10hipError_tT2_T3_mT4_P12ihipStream_tbEUlT_E_NS1_11comp_targetILNS1_3genE10ELNS1_11target_archE1201ELNS1_3gpuE5ELNS1_3repE0EEENS1_30default_config_static_selectorELNS0_4arch9wavefront6targetE0EEEvT1_.has_recursion, 0
	.set _ZN7rocprim17ROCPRIM_400000_NS6detail17trampoline_kernelINS0_14default_configENS1_25transform_config_selectorIN6thrust23THRUST_200600_302600_NS5tupleIffNS6_9null_typeES8_S8_S8_S8_S8_S8_S8_EELb0EEEZNS1_14transform_implILb0ES3_SA_NS6_6detail15normal_iteratorINS6_10device_ptrIS9_EEEEPS9_NS0_8identityIS9_EEEE10hipError_tT2_T3_mT4_P12ihipStream_tbEUlT_E_NS1_11comp_targetILNS1_3genE10ELNS1_11target_archE1201ELNS1_3gpuE5ELNS1_3repE0EEENS1_30default_config_static_selectorELNS0_4arch9wavefront6targetE0EEEvT1_.has_indirect_call, 0
	.section	.AMDGPU.csdata,"",@progbits
; Kernel info:
; codeLenInByte = 432
; TotalNumSgprs: 15
; NumVgprs: 7
; ScratchSize: 0
; MemoryBound: 0
; FloatMode: 240
; IeeeMode: 1
; LDSByteSize: 0 bytes/workgroup (compile time only)
; SGPRBlocks: 0
; VGPRBlocks: 0
; NumSGPRsForWavesPerEU: 15
; NumVGPRsForWavesPerEU: 7
; Occupancy: 16
; WaveLimiterHint : 1
; COMPUTE_PGM_RSRC2:SCRATCH_EN: 0
; COMPUTE_PGM_RSRC2:USER_SGPR: 2
; COMPUTE_PGM_RSRC2:TRAP_HANDLER: 0
; COMPUTE_PGM_RSRC2:TGID_X_EN: 1
; COMPUTE_PGM_RSRC2:TGID_Y_EN: 0
; COMPUTE_PGM_RSRC2:TGID_Z_EN: 0
; COMPUTE_PGM_RSRC2:TIDIG_COMP_CNT: 0
	.section	.text._ZN7rocprim17ROCPRIM_400000_NS6detail17trampoline_kernelINS0_14default_configENS1_25transform_config_selectorIN6thrust23THRUST_200600_302600_NS5tupleIffNS6_9null_typeES8_S8_S8_S8_S8_S8_S8_EELb0EEEZNS1_14transform_implILb0ES3_SA_NS6_6detail15normal_iteratorINS6_10device_ptrIS9_EEEEPS9_NS0_8identityIS9_EEEE10hipError_tT2_T3_mT4_P12ihipStream_tbEUlT_E_NS1_11comp_targetILNS1_3genE10ELNS1_11target_archE1200ELNS1_3gpuE4ELNS1_3repE0EEENS1_30default_config_static_selectorELNS0_4arch9wavefront6targetE0EEEvT1_,"axG",@progbits,_ZN7rocprim17ROCPRIM_400000_NS6detail17trampoline_kernelINS0_14default_configENS1_25transform_config_selectorIN6thrust23THRUST_200600_302600_NS5tupleIffNS6_9null_typeES8_S8_S8_S8_S8_S8_S8_EELb0EEEZNS1_14transform_implILb0ES3_SA_NS6_6detail15normal_iteratorINS6_10device_ptrIS9_EEEEPS9_NS0_8identityIS9_EEEE10hipError_tT2_T3_mT4_P12ihipStream_tbEUlT_E_NS1_11comp_targetILNS1_3genE10ELNS1_11target_archE1200ELNS1_3gpuE4ELNS1_3repE0EEENS1_30default_config_static_selectorELNS0_4arch9wavefront6targetE0EEEvT1_,comdat
	.protected	_ZN7rocprim17ROCPRIM_400000_NS6detail17trampoline_kernelINS0_14default_configENS1_25transform_config_selectorIN6thrust23THRUST_200600_302600_NS5tupleIffNS6_9null_typeES8_S8_S8_S8_S8_S8_S8_EELb0EEEZNS1_14transform_implILb0ES3_SA_NS6_6detail15normal_iteratorINS6_10device_ptrIS9_EEEEPS9_NS0_8identityIS9_EEEE10hipError_tT2_T3_mT4_P12ihipStream_tbEUlT_E_NS1_11comp_targetILNS1_3genE10ELNS1_11target_archE1200ELNS1_3gpuE4ELNS1_3repE0EEENS1_30default_config_static_selectorELNS0_4arch9wavefront6targetE0EEEvT1_ ; -- Begin function _ZN7rocprim17ROCPRIM_400000_NS6detail17trampoline_kernelINS0_14default_configENS1_25transform_config_selectorIN6thrust23THRUST_200600_302600_NS5tupleIffNS6_9null_typeES8_S8_S8_S8_S8_S8_S8_EELb0EEEZNS1_14transform_implILb0ES3_SA_NS6_6detail15normal_iteratorINS6_10device_ptrIS9_EEEEPS9_NS0_8identityIS9_EEEE10hipError_tT2_T3_mT4_P12ihipStream_tbEUlT_E_NS1_11comp_targetILNS1_3genE10ELNS1_11target_archE1200ELNS1_3gpuE4ELNS1_3repE0EEENS1_30default_config_static_selectorELNS0_4arch9wavefront6targetE0EEEvT1_
	.globl	_ZN7rocprim17ROCPRIM_400000_NS6detail17trampoline_kernelINS0_14default_configENS1_25transform_config_selectorIN6thrust23THRUST_200600_302600_NS5tupleIffNS6_9null_typeES8_S8_S8_S8_S8_S8_S8_EELb0EEEZNS1_14transform_implILb0ES3_SA_NS6_6detail15normal_iteratorINS6_10device_ptrIS9_EEEEPS9_NS0_8identityIS9_EEEE10hipError_tT2_T3_mT4_P12ihipStream_tbEUlT_E_NS1_11comp_targetILNS1_3genE10ELNS1_11target_archE1200ELNS1_3gpuE4ELNS1_3repE0EEENS1_30default_config_static_selectorELNS0_4arch9wavefront6targetE0EEEvT1_
	.p2align	8
	.type	_ZN7rocprim17ROCPRIM_400000_NS6detail17trampoline_kernelINS0_14default_configENS1_25transform_config_selectorIN6thrust23THRUST_200600_302600_NS5tupleIffNS6_9null_typeES8_S8_S8_S8_S8_S8_S8_EELb0EEEZNS1_14transform_implILb0ES3_SA_NS6_6detail15normal_iteratorINS6_10device_ptrIS9_EEEEPS9_NS0_8identityIS9_EEEE10hipError_tT2_T3_mT4_P12ihipStream_tbEUlT_E_NS1_11comp_targetILNS1_3genE10ELNS1_11target_archE1200ELNS1_3gpuE4ELNS1_3repE0EEENS1_30default_config_static_selectorELNS0_4arch9wavefront6targetE0EEEvT1_,@function
_ZN7rocprim17ROCPRIM_400000_NS6detail17trampoline_kernelINS0_14default_configENS1_25transform_config_selectorIN6thrust23THRUST_200600_302600_NS5tupleIffNS6_9null_typeES8_S8_S8_S8_S8_S8_S8_EELb0EEEZNS1_14transform_implILb0ES3_SA_NS6_6detail15normal_iteratorINS6_10device_ptrIS9_EEEEPS9_NS0_8identityIS9_EEEE10hipError_tT2_T3_mT4_P12ihipStream_tbEUlT_E_NS1_11comp_targetILNS1_3genE10ELNS1_11target_archE1200ELNS1_3gpuE4ELNS1_3repE0EEENS1_30default_config_static_selectorELNS0_4arch9wavefront6targetE0EEEvT1_: ; @_ZN7rocprim17ROCPRIM_400000_NS6detail17trampoline_kernelINS0_14default_configENS1_25transform_config_selectorIN6thrust23THRUST_200600_302600_NS5tupleIffNS6_9null_typeES8_S8_S8_S8_S8_S8_S8_EELb0EEEZNS1_14transform_implILb0ES3_SA_NS6_6detail15normal_iteratorINS6_10device_ptrIS9_EEEEPS9_NS0_8identityIS9_EEEE10hipError_tT2_T3_mT4_P12ihipStream_tbEUlT_E_NS1_11comp_targetILNS1_3genE10ELNS1_11target_archE1200ELNS1_3gpuE4ELNS1_3repE0EEENS1_30default_config_static_selectorELNS0_4arch9wavefront6targetE0EEEvT1_
; %bb.0:
	.section	.rodata,"a",@progbits
	.p2align	6, 0x0
	.amdhsa_kernel _ZN7rocprim17ROCPRIM_400000_NS6detail17trampoline_kernelINS0_14default_configENS1_25transform_config_selectorIN6thrust23THRUST_200600_302600_NS5tupleIffNS6_9null_typeES8_S8_S8_S8_S8_S8_S8_EELb0EEEZNS1_14transform_implILb0ES3_SA_NS6_6detail15normal_iteratorINS6_10device_ptrIS9_EEEEPS9_NS0_8identityIS9_EEEE10hipError_tT2_T3_mT4_P12ihipStream_tbEUlT_E_NS1_11comp_targetILNS1_3genE10ELNS1_11target_archE1200ELNS1_3gpuE4ELNS1_3repE0EEENS1_30default_config_static_selectorELNS0_4arch9wavefront6targetE0EEEvT1_
		.amdhsa_group_segment_fixed_size 0
		.amdhsa_private_segment_fixed_size 0
		.amdhsa_kernarg_size 40
		.amdhsa_user_sgpr_count 2
		.amdhsa_user_sgpr_dispatch_ptr 0
		.amdhsa_user_sgpr_queue_ptr 0
		.amdhsa_user_sgpr_kernarg_segment_ptr 1
		.amdhsa_user_sgpr_dispatch_id 0
		.amdhsa_user_sgpr_private_segment_size 0
		.amdhsa_wavefront_size32 1
		.amdhsa_uses_dynamic_stack 0
		.amdhsa_enable_private_segment 0
		.amdhsa_system_sgpr_workgroup_id_x 1
		.amdhsa_system_sgpr_workgroup_id_y 0
		.amdhsa_system_sgpr_workgroup_id_z 0
		.amdhsa_system_sgpr_workgroup_info 0
		.amdhsa_system_vgpr_workitem_id 0
		.amdhsa_next_free_vgpr 1
		.amdhsa_next_free_sgpr 1
		.amdhsa_reserve_vcc 0
		.amdhsa_float_round_mode_32 0
		.amdhsa_float_round_mode_16_64 0
		.amdhsa_float_denorm_mode_32 3
		.amdhsa_float_denorm_mode_16_64 3
		.amdhsa_fp16_overflow 0
		.amdhsa_workgroup_processor_mode 1
		.amdhsa_memory_ordered 1
		.amdhsa_forward_progress 1
		.amdhsa_inst_pref_size 0
		.amdhsa_round_robin_scheduling 0
		.amdhsa_exception_fp_ieee_invalid_op 0
		.amdhsa_exception_fp_denorm_src 0
		.amdhsa_exception_fp_ieee_div_zero 0
		.amdhsa_exception_fp_ieee_overflow 0
		.amdhsa_exception_fp_ieee_underflow 0
		.amdhsa_exception_fp_ieee_inexact 0
		.amdhsa_exception_int_div_zero 0
	.end_amdhsa_kernel
	.section	.text._ZN7rocprim17ROCPRIM_400000_NS6detail17trampoline_kernelINS0_14default_configENS1_25transform_config_selectorIN6thrust23THRUST_200600_302600_NS5tupleIffNS6_9null_typeES8_S8_S8_S8_S8_S8_S8_EELb0EEEZNS1_14transform_implILb0ES3_SA_NS6_6detail15normal_iteratorINS6_10device_ptrIS9_EEEEPS9_NS0_8identityIS9_EEEE10hipError_tT2_T3_mT4_P12ihipStream_tbEUlT_E_NS1_11comp_targetILNS1_3genE10ELNS1_11target_archE1200ELNS1_3gpuE4ELNS1_3repE0EEENS1_30default_config_static_selectorELNS0_4arch9wavefront6targetE0EEEvT1_,"axG",@progbits,_ZN7rocprim17ROCPRIM_400000_NS6detail17trampoline_kernelINS0_14default_configENS1_25transform_config_selectorIN6thrust23THRUST_200600_302600_NS5tupleIffNS6_9null_typeES8_S8_S8_S8_S8_S8_S8_EELb0EEEZNS1_14transform_implILb0ES3_SA_NS6_6detail15normal_iteratorINS6_10device_ptrIS9_EEEEPS9_NS0_8identityIS9_EEEE10hipError_tT2_T3_mT4_P12ihipStream_tbEUlT_E_NS1_11comp_targetILNS1_3genE10ELNS1_11target_archE1200ELNS1_3gpuE4ELNS1_3repE0EEENS1_30default_config_static_selectorELNS0_4arch9wavefront6targetE0EEEvT1_,comdat
.Lfunc_end172:
	.size	_ZN7rocprim17ROCPRIM_400000_NS6detail17trampoline_kernelINS0_14default_configENS1_25transform_config_selectorIN6thrust23THRUST_200600_302600_NS5tupleIffNS6_9null_typeES8_S8_S8_S8_S8_S8_S8_EELb0EEEZNS1_14transform_implILb0ES3_SA_NS6_6detail15normal_iteratorINS6_10device_ptrIS9_EEEEPS9_NS0_8identityIS9_EEEE10hipError_tT2_T3_mT4_P12ihipStream_tbEUlT_E_NS1_11comp_targetILNS1_3genE10ELNS1_11target_archE1200ELNS1_3gpuE4ELNS1_3repE0EEENS1_30default_config_static_selectorELNS0_4arch9wavefront6targetE0EEEvT1_, .Lfunc_end172-_ZN7rocprim17ROCPRIM_400000_NS6detail17trampoline_kernelINS0_14default_configENS1_25transform_config_selectorIN6thrust23THRUST_200600_302600_NS5tupleIffNS6_9null_typeES8_S8_S8_S8_S8_S8_S8_EELb0EEEZNS1_14transform_implILb0ES3_SA_NS6_6detail15normal_iteratorINS6_10device_ptrIS9_EEEEPS9_NS0_8identityIS9_EEEE10hipError_tT2_T3_mT4_P12ihipStream_tbEUlT_E_NS1_11comp_targetILNS1_3genE10ELNS1_11target_archE1200ELNS1_3gpuE4ELNS1_3repE0EEENS1_30default_config_static_selectorELNS0_4arch9wavefront6targetE0EEEvT1_
                                        ; -- End function
	.set _ZN7rocprim17ROCPRIM_400000_NS6detail17trampoline_kernelINS0_14default_configENS1_25transform_config_selectorIN6thrust23THRUST_200600_302600_NS5tupleIffNS6_9null_typeES8_S8_S8_S8_S8_S8_S8_EELb0EEEZNS1_14transform_implILb0ES3_SA_NS6_6detail15normal_iteratorINS6_10device_ptrIS9_EEEEPS9_NS0_8identityIS9_EEEE10hipError_tT2_T3_mT4_P12ihipStream_tbEUlT_E_NS1_11comp_targetILNS1_3genE10ELNS1_11target_archE1200ELNS1_3gpuE4ELNS1_3repE0EEENS1_30default_config_static_selectorELNS0_4arch9wavefront6targetE0EEEvT1_.num_vgpr, 0
	.set _ZN7rocprim17ROCPRIM_400000_NS6detail17trampoline_kernelINS0_14default_configENS1_25transform_config_selectorIN6thrust23THRUST_200600_302600_NS5tupleIffNS6_9null_typeES8_S8_S8_S8_S8_S8_S8_EELb0EEEZNS1_14transform_implILb0ES3_SA_NS6_6detail15normal_iteratorINS6_10device_ptrIS9_EEEEPS9_NS0_8identityIS9_EEEE10hipError_tT2_T3_mT4_P12ihipStream_tbEUlT_E_NS1_11comp_targetILNS1_3genE10ELNS1_11target_archE1200ELNS1_3gpuE4ELNS1_3repE0EEENS1_30default_config_static_selectorELNS0_4arch9wavefront6targetE0EEEvT1_.num_agpr, 0
	.set _ZN7rocprim17ROCPRIM_400000_NS6detail17trampoline_kernelINS0_14default_configENS1_25transform_config_selectorIN6thrust23THRUST_200600_302600_NS5tupleIffNS6_9null_typeES8_S8_S8_S8_S8_S8_S8_EELb0EEEZNS1_14transform_implILb0ES3_SA_NS6_6detail15normal_iteratorINS6_10device_ptrIS9_EEEEPS9_NS0_8identityIS9_EEEE10hipError_tT2_T3_mT4_P12ihipStream_tbEUlT_E_NS1_11comp_targetILNS1_3genE10ELNS1_11target_archE1200ELNS1_3gpuE4ELNS1_3repE0EEENS1_30default_config_static_selectorELNS0_4arch9wavefront6targetE0EEEvT1_.numbered_sgpr, 0
	.set _ZN7rocprim17ROCPRIM_400000_NS6detail17trampoline_kernelINS0_14default_configENS1_25transform_config_selectorIN6thrust23THRUST_200600_302600_NS5tupleIffNS6_9null_typeES8_S8_S8_S8_S8_S8_S8_EELb0EEEZNS1_14transform_implILb0ES3_SA_NS6_6detail15normal_iteratorINS6_10device_ptrIS9_EEEEPS9_NS0_8identityIS9_EEEE10hipError_tT2_T3_mT4_P12ihipStream_tbEUlT_E_NS1_11comp_targetILNS1_3genE10ELNS1_11target_archE1200ELNS1_3gpuE4ELNS1_3repE0EEENS1_30default_config_static_selectorELNS0_4arch9wavefront6targetE0EEEvT1_.num_named_barrier, 0
	.set _ZN7rocprim17ROCPRIM_400000_NS6detail17trampoline_kernelINS0_14default_configENS1_25transform_config_selectorIN6thrust23THRUST_200600_302600_NS5tupleIffNS6_9null_typeES8_S8_S8_S8_S8_S8_S8_EELb0EEEZNS1_14transform_implILb0ES3_SA_NS6_6detail15normal_iteratorINS6_10device_ptrIS9_EEEEPS9_NS0_8identityIS9_EEEE10hipError_tT2_T3_mT4_P12ihipStream_tbEUlT_E_NS1_11comp_targetILNS1_3genE10ELNS1_11target_archE1200ELNS1_3gpuE4ELNS1_3repE0EEENS1_30default_config_static_selectorELNS0_4arch9wavefront6targetE0EEEvT1_.private_seg_size, 0
	.set _ZN7rocprim17ROCPRIM_400000_NS6detail17trampoline_kernelINS0_14default_configENS1_25transform_config_selectorIN6thrust23THRUST_200600_302600_NS5tupleIffNS6_9null_typeES8_S8_S8_S8_S8_S8_S8_EELb0EEEZNS1_14transform_implILb0ES3_SA_NS6_6detail15normal_iteratorINS6_10device_ptrIS9_EEEEPS9_NS0_8identityIS9_EEEE10hipError_tT2_T3_mT4_P12ihipStream_tbEUlT_E_NS1_11comp_targetILNS1_3genE10ELNS1_11target_archE1200ELNS1_3gpuE4ELNS1_3repE0EEENS1_30default_config_static_selectorELNS0_4arch9wavefront6targetE0EEEvT1_.uses_vcc, 0
	.set _ZN7rocprim17ROCPRIM_400000_NS6detail17trampoline_kernelINS0_14default_configENS1_25transform_config_selectorIN6thrust23THRUST_200600_302600_NS5tupleIffNS6_9null_typeES8_S8_S8_S8_S8_S8_S8_EELb0EEEZNS1_14transform_implILb0ES3_SA_NS6_6detail15normal_iteratorINS6_10device_ptrIS9_EEEEPS9_NS0_8identityIS9_EEEE10hipError_tT2_T3_mT4_P12ihipStream_tbEUlT_E_NS1_11comp_targetILNS1_3genE10ELNS1_11target_archE1200ELNS1_3gpuE4ELNS1_3repE0EEENS1_30default_config_static_selectorELNS0_4arch9wavefront6targetE0EEEvT1_.uses_flat_scratch, 0
	.set _ZN7rocprim17ROCPRIM_400000_NS6detail17trampoline_kernelINS0_14default_configENS1_25transform_config_selectorIN6thrust23THRUST_200600_302600_NS5tupleIffNS6_9null_typeES8_S8_S8_S8_S8_S8_S8_EELb0EEEZNS1_14transform_implILb0ES3_SA_NS6_6detail15normal_iteratorINS6_10device_ptrIS9_EEEEPS9_NS0_8identityIS9_EEEE10hipError_tT2_T3_mT4_P12ihipStream_tbEUlT_E_NS1_11comp_targetILNS1_3genE10ELNS1_11target_archE1200ELNS1_3gpuE4ELNS1_3repE0EEENS1_30default_config_static_selectorELNS0_4arch9wavefront6targetE0EEEvT1_.has_dyn_sized_stack, 0
	.set _ZN7rocprim17ROCPRIM_400000_NS6detail17trampoline_kernelINS0_14default_configENS1_25transform_config_selectorIN6thrust23THRUST_200600_302600_NS5tupleIffNS6_9null_typeES8_S8_S8_S8_S8_S8_S8_EELb0EEEZNS1_14transform_implILb0ES3_SA_NS6_6detail15normal_iteratorINS6_10device_ptrIS9_EEEEPS9_NS0_8identityIS9_EEEE10hipError_tT2_T3_mT4_P12ihipStream_tbEUlT_E_NS1_11comp_targetILNS1_3genE10ELNS1_11target_archE1200ELNS1_3gpuE4ELNS1_3repE0EEENS1_30default_config_static_selectorELNS0_4arch9wavefront6targetE0EEEvT1_.has_recursion, 0
	.set _ZN7rocprim17ROCPRIM_400000_NS6detail17trampoline_kernelINS0_14default_configENS1_25transform_config_selectorIN6thrust23THRUST_200600_302600_NS5tupleIffNS6_9null_typeES8_S8_S8_S8_S8_S8_S8_EELb0EEEZNS1_14transform_implILb0ES3_SA_NS6_6detail15normal_iteratorINS6_10device_ptrIS9_EEEEPS9_NS0_8identityIS9_EEEE10hipError_tT2_T3_mT4_P12ihipStream_tbEUlT_E_NS1_11comp_targetILNS1_3genE10ELNS1_11target_archE1200ELNS1_3gpuE4ELNS1_3repE0EEENS1_30default_config_static_selectorELNS0_4arch9wavefront6targetE0EEEvT1_.has_indirect_call, 0
	.section	.AMDGPU.csdata,"",@progbits
; Kernel info:
; codeLenInByte = 0
; TotalNumSgprs: 0
; NumVgprs: 0
; ScratchSize: 0
; MemoryBound: 0
; FloatMode: 240
; IeeeMode: 1
; LDSByteSize: 0 bytes/workgroup (compile time only)
; SGPRBlocks: 0
; VGPRBlocks: 0
; NumSGPRsForWavesPerEU: 1
; NumVGPRsForWavesPerEU: 1
; Occupancy: 16
; WaveLimiterHint : 0
; COMPUTE_PGM_RSRC2:SCRATCH_EN: 0
; COMPUTE_PGM_RSRC2:USER_SGPR: 2
; COMPUTE_PGM_RSRC2:TRAP_HANDLER: 0
; COMPUTE_PGM_RSRC2:TGID_X_EN: 1
; COMPUTE_PGM_RSRC2:TGID_Y_EN: 0
; COMPUTE_PGM_RSRC2:TGID_Z_EN: 0
; COMPUTE_PGM_RSRC2:TIDIG_COMP_CNT: 0
	.section	.text._ZN7rocprim17ROCPRIM_400000_NS6detail17trampoline_kernelINS0_14default_configENS1_25transform_config_selectorIN6thrust23THRUST_200600_302600_NS5tupleIffNS6_9null_typeES8_S8_S8_S8_S8_S8_S8_EELb0EEEZNS1_14transform_implILb0ES3_SA_NS6_6detail15normal_iteratorINS6_10device_ptrIS9_EEEEPS9_NS0_8identityIS9_EEEE10hipError_tT2_T3_mT4_P12ihipStream_tbEUlT_E_NS1_11comp_targetILNS1_3genE9ELNS1_11target_archE1100ELNS1_3gpuE3ELNS1_3repE0EEENS1_30default_config_static_selectorELNS0_4arch9wavefront6targetE0EEEvT1_,"axG",@progbits,_ZN7rocprim17ROCPRIM_400000_NS6detail17trampoline_kernelINS0_14default_configENS1_25transform_config_selectorIN6thrust23THRUST_200600_302600_NS5tupleIffNS6_9null_typeES8_S8_S8_S8_S8_S8_S8_EELb0EEEZNS1_14transform_implILb0ES3_SA_NS6_6detail15normal_iteratorINS6_10device_ptrIS9_EEEEPS9_NS0_8identityIS9_EEEE10hipError_tT2_T3_mT4_P12ihipStream_tbEUlT_E_NS1_11comp_targetILNS1_3genE9ELNS1_11target_archE1100ELNS1_3gpuE3ELNS1_3repE0EEENS1_30default_config_static_selectorELNS0_4arch9wavefront6targetE0EEEvT1_,comdat
	.protected	_ZN7rocprim17ROCPRIM_400000_NS6detail17trampoline_kernelINS0_14default_configENS1_25transform_config_selectorIN6thrust23THRUST_200600_302600_NS5tupleIffNS6_9null_typeES8_S8_S8_S8_S8_S8_S8_EELb0EEEZNS1_14transform_implILb0ES3_SA_NS6_6detail15normal_iteratorINS6_10device_ptrIS9_EEEEPS9_NS0_8identityIS9_EEEE10hipError_tT2_T3_mT4_P12ihipStream_tbEUlT_E_NS1_11comp_targetILNS1_3genE9ELNS1_11target_archE1100ELNS1_3gpuE3ELNS1_3repE0EEENS1_30default_config_static_selectorELNS0_4arch9wavefront6targetE0EEEvT1_ ; -- Begin function _ZN7rocprim17ROCPRIM_400000_NS6detail17trampoline_kernelINS0_14default_configENS1_25transform_config_selectorIN6thrust23THRUST_200600_302600_NS5tupleIffNS6_9null_typeES8_S8_S8_S8_S8_S8_S8_EELb0EEEZNS1_14transform_implILb0ES3_SA_NS6_6detail15normal_iteratorINS6_10device_ptrIS9_EEEEPS9_NS0_8identityIS9_EEEE10hipError_tT2_T3_mT4_P12ihipStream_tbEUlT_E_NS1_11comp_targetILNS1_3genE9ELNS1_11target_archE1100ELNS1_3gpuE3ELNS1_3repE0EEENS1_30default_config_static_selectorELNS0_4arch9wavefront6targetE0EEEvT1_
	.globl	_ZN7rocprim17ROCPRIM_400000_NS6detail17trampoline_kernelINS0_14default_configENS1_25transform_config_selectorIN6thrust23THRUST_200600_302600_NS5tupleIffNS6_9null_typeES8_S8_S8_S8_S8_S8_S8_EELb0EEEZNS1_14transform_implILb0ES3_SA_NS6_6detail15normal_iteratorINS6_10device_ptrIS9_EEEEPS9_NS0_8identityIS9_EEEE10hipError_tT2_T3_mT4_P12ihipStream_tbEUlT_E_NS1_11comp_targetILNS1_3genE9ELNS1_11target_archE1100ELNS1_3gpuE3ELNS1_3repE0EEENS1_30default_config_static_selectorELNS0_4arch9wavefront6targetE0EEEvT1_
	.p2align	8
	.type	_ZN7rocprim17ROCPRIM_400000_NS6detail17trampoline_kernelINS0_14default_configENS1_25transform_config_selectorIN6thrust23THRUST_200600_302600_NS5tupleIffNS6_9null_typeES8_S8_S8_S8_S8_S8_S8_EELb0EEEZNS1_14transform_implILb0ES3_SA_NS6_6detail15normal_iteratorINS6_10device_ptrIS9_EEEEPS9_NS0_8identityIS9_EEEE10hipError_tT2_T3_mT4_P12ihipStream_tbEUlT_E_NS1_11comp_targetILNS1_3genE9ELNS1_11target_archE1100ELNS1_3gpuE3ELNS1_3repE0EEENS1_30default_config_static_selectorELNS0_4arch9wavefront6targetE0EEEvT1_,@function
_ZN7rocprim17ROCPRIM_400000_NS6detail17trampoline_kernelINS0_14default_configENS1_25transform_config_selectorIN6thrust23THRUST_200600_302600_NS5tupleIffNS6_9null_typeES8_S8_S8_S8_S8_S8_S8_EELb0EEEZNS1_14transform_implILb0ES3_SA_NS6_6detail15normal_iteratorINS6_10device_ptrIS9_EEEEPS9_NS0_8identityIS9_EEEE10hipError_tT2_T3_mT4_P12ihipStream_tbEUlT_E_NS1_11comp_targetILNS1_3genE9ELNS1_11target_archE1100ELNS1_3gpuE3ELNS1_3repE0EEENS1_30default_config_static_selectorELNS0_4arch9wavefront6targetE0EEEvT1_: ; @_ZN7rocprim17ROCPRIM_400000_NS6detail17trampoline_kernelINS0_14default_configENS1_25transform_config_selectorIN6thrust23THRUST_200600_302600_NS5tupleIffNS6_9null_typeES8_S8_S8_S8_S8_S8_S8_EELb0EEEZNS1_14transform_implILb0ES3_SA_NS6_6detail15normal_iteratorINS6_10device_ptrIS9_EEEEPS9_NS0_8identityIS9_EEEE10hipError_tT2_T3_mT4_P12ihipStream_tbEUlT_E_NS1_11comp_targetILNS1_3genE9ELNS1_11target_archE1100ELNS1_3gpuE3ELNS1_3repE0EEENS1_30default_config_static_selectorELNS0_4arch9wavefront6targetE0EEEvT1_
; %bb.0:
	.section	.rodata,"a",@progbits
	.p2align	6, 0x0
	.amdhsa_kernel _ZN7rocprim17ROCPRIM_400000_NS6detail17trampoline_kernelINS0_14default_configENS1_25transform_config_selectorIN6thrust23THRUST_200600_302600_NS5tupleIffNS6_9null_typeES8_S8_S8_S8_S8_S8_S8_EELb0EEEZNS1_14transform_implILb0ES3_SA_NS6_6detail15normal_iteratorINS6_10device_ptrIS9_EEEEPS9_NS0_8identityIS9_EEEE10hipError_tT2_T3_mT4_P12ihipStream_tbEUlT_E_NS1_11comp_targetILNS1_3genE9ELNS1_11target_archE1100ELNS1_3gpuE3ELNS1_3repE0EEENS1_30default_config_static_selectorELNS0_4arch9wavefront6targetE0EEEvT1_
		.amdhsa_group_segment_fixed_size 0
		.amdhsa_private_segment_fixed_size 0
		.amdhsa_kernarg_size 40
		.amdhsa_user_sgpr_count 2
		.amdhsa_user_sgpr_dispatch_ptr 0
		.amdhsa_user_sgpr_queue_ptr 0
		.amdhsa_user_sgpr_kernarg_segment_ptr 1
		.amdhsa_user_sgpr_dispatch_id 0
		.amdhsa_user_sgpr_private_segment_size 0
		.amdhsa_wavefront_size32 1
		.amdhsa_uses_dynamic_stack 0
		.amdhsa_enable_private_segment 0
		.amdhsa_system_sgpr_workgroup_id_x 1
		.amdhsa_system_sgpr_workgroup_id_y 0
		.amdhsa_system_sgpr_workgroup_id_z 0
		.amdhsa_system_sgpr_workgroup_info 0
		.amdhsa_system_vgpr_workitem_id 0
		.amdhsa_next_free_vgpr 1
		.amdhsa_next_free_sgpr 1
		.amdhsa_reserve_vcc 0
		.amdhsa_float_round_mode_32 0
		.amdhsa_float_round_mode_16_64 0
		.amdhsa_float_denorm_mode_32 3
		.amdhsa_float_denorm_mode_16_64 3
		.amdhsa_fp16_overflow 0
		.amdhsa_workgroup_processor_mode 1
		.amdhsa_memory_ordered 1
		.amdhsa_forward_progress 1
		.amdhsa_inst_pref_size 0
		.amdhsa_round_robin_scheduling 0
		.amdhsa_exception_fp_ieee_invalid_op 0
		.amdhsa_exception_fp_denorm_src 0
		.amdhsa_exception_fp_ieee_div_zero 0
		.amdhsa_exception_fp_ieee_overflow 0
		.amdhsa_exception_fp_ieee_underflow 0
		.amdhsa_exception_fp_ieee_inexact 0
		.amdhsa_exception_int_div_zero 0
	.end_amdhsa_kernel
	.section	.text._ZN7rocprim17ROCPRIM_400000_NS6detail17trampoline_kernelINS0_14default_configENS1_25transform_config_selectorIN6thrust23THRUST_200600_302600_NS5tupleIffNS6_9null_typeES8_S8_S8_S8_S8_S8_S8_EELb0EEEZNS1_14transform_implILb0ES3_SA_NS6_6detail15normal_iteratorINS6_10device_ptrIS9_EEEEPS9_NS0_8identityIS9_EEEE10hipError_tT2_T3_mT4_P12ihipStream_tbEUlT_E_NS1_11comp_targetILNS1_3genE9ELNS1_11target_archE1100ELNS1_3gpuE3ELNS1_3repE0EEENS1_30default_config_static_selectorELNS0_4arch9wavefront6targetE0EEEvT1_,"axG",@progbits,_ZN7rocprim17ROCPRIM_400000_NS6detail17trampoline_kernelINS0_14default_configENS1_25transform_config_selectorIN6thrust23THRUST_200600_302600_NS5tupleIffNS6_9null_typeES8_S8_S8_S8_S8_S8_S8_EELb0EEEZNS1_14transform_implILb0ES3_SA_NS6_6detail15normal_iteratorINS6_10device_ptrIS9_EEEEPS9_NS0_8identityIS9_EEEE10hipError_tT2_T3_mT4_P12ihipStream_tbEUlT_E_NS1_11comp_targetILNS1_3genE9ELNS1_11target_archE1100ELNS1_3gpuE3ELNS1_3repE0EEENS1_30default_config_static_selectorELNS0_4arch9wavefront6targetE0EEEvT1_,comdat
.Lfunc_end173:
	.size	_ZN7rocprim17ROCPRIM_400000_NS6detail17trampoline_kernelINS0_14default_configENS1_25transform_config_selectorIN6thrust23THRUST_200600_302600_NS5tupleIffNS6_9null_typeES8_S8_S8_S8_S8_S8_S8_EELb0EEEZNS1_14transform_implILb0ES3_SA_NS6_6detail15normal_iteratorINS6_10device_ptrIS9_EEEEPS9_NS0_8identityIS9_EEEE10hipError_tT2_T3_mT4_P12ihipStream_tbEUlT_E_NS1_11comp_targetILNS1_3genE9ELNS1_11target_archE1100ELNS1_3gpuE3ELNS1_3repE0EEENS1_30default_config_static_selectorELNS0_4arch9wavefront6targetE0EEEvT1_, .Lfunc_end173-_ZN7rocprim17ROCPRIM_400000_NS6detail17trampoline_kernelINS0_14default_configENS1_25transform_config_selectorIN6thrust23THRUST_200600_302600_NS5tupleIffNS6_9null_typeES8_S8_S8_S8_S8_S8_S8_EELb0EEEZNS1_14transform_implILb0ES3_SA_NS6_6detail15normal_iteratorINS6_10device_ptrIS9_EEEEPS9_NS0_8identityIS9_EEEE10hipError_tT2_T3_mT4_P12ihipStream_tbEUlT_E_NS1_11comp_targetILNS1_3genE9ELNS1_11target_archE1100ELNS1_3gpuE3ELNS1_3repE0EEENS1_30default_config_static_selectorELNS0_4arch9wavefront6targetE0EEEvT1_
                                        ; -- End function
	.set _ZN7rocprim17ROCPRIM_400000_NS6detail17trampoline_kernelINS0_14default_configENS1_25transform_config_selectorIN6thrust23THRUST_200600_302600_NS5tupleIffNS6_9null_typeES8_S8_S8_S8_S8_S8_S8_EELb0EEEZNS1_14transform_implILb0ES3_SA_NS6_6detail15normal_iteratorINS6_10device_ptrIS9_EEEEPS9_NS0_8identityIS9_EEEE10hipError_tT2_T3_mT4_P12ihipStream_tbEUlT_E_NS1_11comp_targetILNS1_3genE9ELNS1_11target_archE1100ELNS1_3gpuE3ELNS1_3repE0EEENS1_30default_config_static_selectorELNS0_4arch9wavefront6targetE0EEEvT1_.num_vgpr, 0
	.set _ZN7rocprim17ROCPRIM_400000_NS6detail17trampoline_kernelINS0_14default_configENS1_25transform_config_selectorIN6thrust23THRUST_200600_302600_NS5tupleIffNS6_9null_typeES8_S8_S8_S8_S8_S8_S8_EELb0EEEZNS1_14transform_implILb0ES3_SA_NS6_6detail15normal_iteratorINS6_10device_ptrIS9_EEEEPS9_NS0_8identityIS9_EEEE10hipError_tT2_T3_mT4_P12ihipStream_tbEUlT_E_NS1_11comp_targetILNS1_3genE9ELNS1_11target_archE1100ELNS1_3gpuE3ELNS1_3repE0EEENS1_30default_config_static_selectorELNS0_4arch9wavefront6targetE0EEEvT1_.num_agpr, 0
	.set _ZN7rocprim17ROCPRIM_400000_NS6detail17trampoline_kernelINS0_14default_configENS1_25transform_config_selectorIN6thrust23THRUST_200600_302600_NS5tupleIffNS6_9null_typeES8_S8_S8_S8_S8_S8_S8_EELb0EEEZNS1_14transform_implILb0ES3_SA_NS6_6detail15normal_iteratorINS6_10device_ptrIS9_EEEEPS9_NS0_8identityIS9_EEEE10hipError_tT2_T3_mT4_P12ihipStream_tbEUlT_E_NS1_11comp_targetILNS1_3genE9ELNS1_11target_archE1100ELNS1_3gpuE3ELNS1_3repE0EEENS1_30default_config_static_selectorELNS0_4arch9wavefront6targetE0EEEvT1_.numbered_sgpr, 0
	.set _ZN7rocprim17ROCPRIM_400000_NS6detail17trampoline_kernelINS0_14default_configENS1_25transform_config_selectorIN6thrust23THRUST_200600_302600_NS5tupleIffNS6_9null_typeES8_S8_S8_S8_S8_S8_S8_EELb0EEEZNS1_14transform_implILb0ES3_SA_NS6_6detail15normal_iteratorINS6_10device_ptrIS9_EEEEPS9_NS0_8identityIS9_EEEE10hipError_tT2_T3_mT4_P12ihipStream_tbEUlT_E_NS1_11comp_targetILNS1_3genE9ELNS1_11target_archE1100ELNS1_3gpuE3ELNS1_3repE0EEENS1_30default_config_static_selectorELNS0_4arch9wavefront6targetE0EEEvT1_.num_named_barrier, 0
	.set _ZN7rocprim17ROCPRIM_400000_NS6detail17trampoline_kernelINS0_14default_configENS1_25transform_config_selectorIN6thrust23THRUST_200600_302600_NS5tupleIffNS6_9null_typeES8_S8_S8_S8_S8_S8_S8_EELb0EEEZNS1_14transform_implILb0ES3_SA_NS6_6detail15normal_iteratorINS6_10device_ptrIS9_EEEEPS9_NS0_8identityIS9_EEEE10hipError_tT2_T3_mT4_P12ihipStream_tbEUlT_E_NS1_11comp_targetILNS1_3genE9ELNS1_11target_archE1100ELNS1_3gpuE3ELNS1_3repE0EEENS1_30default_config_static_selectorELNS0_4arch9wavefront6targetE0EEEvT1_.private_seg_size, 0
	.set _ZN7rocprim17ROCPRIM_400000_NS6detail17trampoline_kernelINS0_14default_configENS1_25transform_config_selectorIN6thrust23THRUST_200600_302600_NS5tupleIffNS6_9null_typeES8_S8_S8_S8_S8_S8_S8_EELb0EEEZNS1_14transform_implILb0ES3_SA_NS6_6detail15normal_iteratorINS6_10device_ptrIS9_EEEEPS9_NS0_8identityIS9_EEEE10hipError_tT2_T3_mT4_P12ihipStream_tbEUlT_E_NS1_11comp_targetILNS1_3genE9ELNS1_11target_archE1100ELNS1_3gpuE3ELNS1_3repE0EEENS1_30default_config_static_selectorELNS0_4arch9wavefront6targetE0EEEvT1_.uses_vcc, 0
	.set _ZN7rocprim17ROCPRIM_400000_NS6detail17trampoline_kernelINS0_14default_configENS1_25transform_config_selectorIN6thrust23THRUST_200600_302600_NS5tupleIffNS6_9null_typeES8_S8_S8_S8_S8_S8_S8_EELb0EEEZNS1_14transform_implILb0ES3_SA_NS6_6detail15normal_iteratorINS6_10device_ptrIS9_EEEEPS9_NS0_8identityIS9_EEEE10hipError_tT2_T3_mT4_P12ihipStream_tbEUlT_E_NS1_11comp_targetILNS1_3genE9ELNS1_11target_archE1100ELNS1_3gpuE3ELNS1_3repE0EEENS1_30default_config_static_selectorELNS0_4arch9wavefront6targetE0EEEvT1_.uses_flat_scratch, 0
	.set _ZN7rocprim17ROCPRIM_400000_NS6detail17trampoline_kernelINS0_14default_configENS1_25transform_config_selectorIN6thrust23THRUST_200600_302600_NS5tupleIffNS6_9null_typeES8_S8_S8_S8_S8_S8_S8_EELb0EEEZNS1_14transform_implILb0ES3_SA_NS6_6detail15normal_iteratorINS6_10device_ptrIS9_EEEEPS9_NS0_8identityIS9_EEEE10hipError_tT2_T3_mT4_P12ihipStream_tbEUlT_E_NS1_11comp_targetILNS1_3genE9ELNS1_11target_archE1100ELNS1_3gpuE3ELNS1_3repE0EEENS1_30default_config_static_selectorELNS0_4arch9wavefront6targetE0EEEvT1_.has_dyn_sized_stack, 0
	.set _ZN7rocprim17ROCPRIM_400000_NS6detail17trampoline_kernelINS0_14default_configENS1_25transform_config_selectorIN6thrust23THRUST_200600_302600_NS5tupleIffNS6_9null_typeES8_S8_S8_S8_S8_S8_S8_EELb0EEEZNS1_14transform_implILb0ES3_SA_NS6_6detail15normal_iteratorINS6_10device_ptrIS9_EEEEPS9_NS0_8identityIS9_EEEE10hipError_tT2_T3_mT4_P12ihipStream_tbEUlT_E_NS1_11comp_targetILNS1_3genE9ELNS1_11target_archE1100ELNS1_3gpuE3ELNS1_3repE0EEENS1_30default_config_static_selectorELNS0_4arch9wavefront6targetE0EEEvT1_.has_recursion, 0
	.set _ZN7rocprim17ROCPRIM_400000_NS6detail17trampoline_kernelINS0_14default_configENS1_25transform_config_selectorIN6thrust23THRUST_200600_302600_NS5tupleIffNS6_9null_typeES8_S8_S8_S8_S8_S8_S8_EELb0EEEZNS1_14transform_implILb0ES3_SA_NS6_6detail15normal_iteratorINS6_10device_ptrIS9_EEEEPS9_NS0_8identityIS9_EEEE10hipError_tT2_T3_mT4_P12ihipStream_tbEUlT_E_NS1_11comp_targetILNS1_3genE9ELNS1_11target_archE1100ELNS1_3gpuE3ELNS1_3repE0EEENS1_30default_config_static_selectorELNS0_4arch9wavefront6targetE0EEEvT1_.has_indirect_call, 0
	.section	.AMDGPU.csdata,"",@progbits
; Kernel info:
; codeLenInByte = 0
; TotalNumSgprs: 0
; NumVgprs: 0
; ScratchSize: 0
; MemoryBound: 0
; FloatMode: 240
; IeeeMode: 1
; LDSByteSize: 0 bytes/workgroup (compile time only)
; SGPRBlocks: 0
; VGPRBlocks: 0
; NumSGPRsForWavesPerEU: 1
; NumVGPRsForWavesPerEU: 1
; Occupancy: 16
; WaveLimiterHint : 0
; COMPUTE_PGM_RSRC2:SCRATCH_EN: 0
; COMPUTE_PGM_RSRC2:USER_SGPR: 2
; COMPUTE_PGM_RSRC2:TRAP_HANDLER: 0
; COMPUTE_PGM_RSRC2:TGID_X_EN: 1
; COMPUTE_PGM_RSRC2:TGID_Y_EN: 0
; COMPUTE_PGM_RSRC2:TGID_Z_EN: 0
; COMPUTE_PGM_RSRC2:TIDIG_COMP_CNT: 0
	.section	.text._ZN7rocprim17ROCPRIM_400000_NS6detail17trampoline_kernelINS0_14default_configENS1_25transform_config_selectorIN6thrust23THRUST_200600_302600_NS5tupleIffNS6_9null_typeES8_S8_S8_S8_S8_S8_S8_EELb0EEEZNS1_14transform_implILb0ES3_SA_NS6_6detail15normal_iteratorINS6_10device_ptrIS9_EEEEPS9_NS0_8identityIS9_EEEE10hipError_tT2_T3_mT4_P12ihipStream_tbEUlT_E_NS1_11comp_targetILNS1_3genE8ELNS1_11target_archE1030ELNS1_3gpuE2ELNS1_3repE0EEENS1_30default_config_static_selectorELNS0_4arch9wavefront6targetE0EEEvT1_,"axG",@progbits,_ZN7rocprim17ROCPRIM_400000_NS6detail17trampoline_kernelINS0_14default_configENS1_25transform_config_selectorIN6thrust23THRUST_200600_302600_NS5tupleIffNS6_9null_typeES8_S8_S8_S8_S8_S8_S8_EELb0EEEZNS1_14transform_implILb0ES3_SA_NS6_6detail15normal_iteratorINS6_10device_ptrIS9_EEEEPS9_NS0_8identityIS9_EEEE10hipError_tT2_T3_mT4_P12ihipStream_tbEUlT_E_NS1_11comp_targetILNS1_3genE8ELNS1_11target_archE1030ELNS1_3gpuE2ELNS1_3repE0EEENS1_30default_config_static_selectorELNS0_4arch9wavefront6targetE0EEEvT1_,comdat
	.protected	_ZN7rocprim17ROCPRIM_400000_NS6detail17trampoline_kernelINS0_14default_configENS1_25transform_config_selectorIN6thrust23THRUST_200600_302600_NS5tupleIffNS6_9null_typeES8_S8_S8_S8_S8_S8_S8_EELb0EEEZNS1_14transform_implILb0ES3_SA_NS6_6detail15normal_iteratorINS6_10device_ptrIS9_EEEEPS9_NS0_8identityIS9_EEEE10hipError_tT2_T3_mT4_P12ihipStream_tbEUlT_E_NS1_11comp_targetILNS1_3genE8ELNS1_11target_archE1030ELNS1_3gpuE2ELNS1_3repE0EEENS1_30default_config_static_selectorELNS0_4arch9wavefront6targetE0EEEvT1_ ; -- Begin function _ZN7rocprim17ROCPRIM_400000_NS6detail17trampoline_kernelINS0_14default_configENS1_25transform_config_selectorIN6thrust23THRUST_200600_302600_NS5tupleIffNS6_9null_typeES8_S8_S8_S8_S8_S8_S8_EELb0EEEZNS1_14transform_implILb0ES3_SA_NS6_6detail15normal_iteratorINS6_10device_ptrIS9_EEEEPS9_NS0_8identityIS9_EEEE10hipError_tT2_T3_mT4_P12ihipStream_tbEUlT_E_NS1_11comp_targetILNS1_3genE8ELNS1_11target_archE1030ELNS1_3gpuE2ELNS1_3repE0EEENS1_30default_config_static_selectorELNS0_4arch9wavefront6targetE0EEEvT1_
	.globl	_ZN7rocprim17ROCPRIM_400000_NS6detail17trampoline_kernelINS0_14default_configENS1_25transform_config_selectorIN6thrust23THRUST_200600_302600_NS5tupleIffNS6_9null_typeES8_S8_S8_S8_S8_S8_S8_EELb0EEEZNS1_14transform_implILb0ES3_SA_NS6_6detail15normal_iteratorINS6_10device_ptrIS9_EEEEPS9_NS0_8identityIS9_EEEE10hipError_tT2_T3_mT4_P12ihipStream_tbEUlT_E_NS1_11comp_targetILNS1_3genE8ELNS1_11target_archE1030ELNS1_3gpuE2ELNS1_3repE0EEENS1_30default_config_static_selectorELNS0_4arch9wavefront6targetE0EEEvT1_
	.p2align	8
	.type	_ZN7rocprim17ROCPRIM_400000_NS6detail17trampoline_kernelINS0_14default_configENS1_25transform_config_selectorIN6thrust23THRUST_200600_302600_NS5tupleIffNS6_9null_typeES8_S8_S8_S8_S8_S8_S8_EELb0EEEZNS1_14transform_implILb0ES3_SA_NS6_6detail15normal_iteratorINS6_10device_ptrIS9_EEEEPS9_NS0_8identityIS9_EEEE10hipError_tT2_T3_mT4_P12ihipStream_tbEUlT_E_NS1_11comp_targetILNS1_3genE8ELNS1_11target_archE1030ELNS1_3gpuE2ELNS1_3repE0EEENS1_30default_config_static_selectorELNS0_4arch9wavefront6targetE0EEEvT1_,@function
_ZN7rocprim17ROCPRIM_400000_NS6detail17trampoline_kernelINS0_14default_configENS1_25transform_config_selectorIN6thrust23THRUST_200600_302600_NS5tupleIffNS6_9null_typeES8_S8_S8_S8_S8_S8_S8_EELb0EEEZNS1_14transform_implILb0ES3_SA_NS6_6detail15normal_iteratorINS6_10device_ptrIS9_EEEEPS9_NS0_8identityIS9_EEEE10hipError_tT2_T3_mT4_P12ihipStream_tbEUlT_E_NS1_11comp_targetILNS1_3genE8ELNS1_11target_archE1030ELNS1_3gpuE2ELNS1_3repE0EEENS1_30default_config_static_selectorELNS0_4arch9wavefront6targetE0EEEvT1_: ; @_ZN7rocprim17ROCPRIM_400000_NS6detail17trampoline_kernelINS0_14default_configENS1_25transform_config_selectorIN6thrust23THRUST_200600_302600_NS5tupleIffNS6_9null_typeES8_S8_S8_S8_S8_S8_S8_EELb0EEEZNS1_14transform_implILb0ES3_SA_NS6_6detail15normal_iteratorINS6_10device_ptrIS9_EEEEPS9_NS0_8identityIS9_EEEE10hipError_tT2_T3_mT4_P12ihipStream_tbEUlT_E_NS1_11comp_targetILNS1_3genE8ELNS1_11target_archE1030ELNS1_3gpuE2ELNS1_3repE0EEENS1_30default_config_static_selectorELNS0_4arch9wavefront6targetE0EEEvT1_
; %bb.0:
	.section	.rodata,"a",@progbits
	.p2align	6, 0x0
	.amdhsa_kernel _ZN7rocprim17ROCPRIM_400000_NS6detail17trampoline_kernelINS0_14default_configENS1_25transform_config_selectorIN6thrust23THRUST_200600_302600_NS5tupleIffNS6_9null_typeES8_S8_S8_S8_S8_S8_S8_EELb0EEEZNS1_14transform_implILb0ES3_SA_NS6_6detail15normal_iteratorINS6_10device_ptrIS9_EEEEPS9_NS0_8identityIS9_EEEE10hipError_tT2_T3_mT4_P12ihipStream_tbEUlT_E_NS1_11comp_targetILNS1_3genE8ELNS1_11target_archE1030ELNS1_3gpuE2ELNS1_3repE0EEENS1_30default_config_static_selectorELNS0_4arch9wavefront6targetE0EEEvT1_
		.amdhsa_group_segment_fixed_size 0
		.amdhsa_private_segment_fixed_size 0
		.amdhsa_kernarg_size 40
		.amdhsa_user_sgpr_count 2
		.amdhsa_user_sgpr_dispatch_ptr 0
		.amdhsa_user_sgpr_queue_ptr 0
		.amdhsa_user_sgpr_kernarg_segment_ptr 1
		.amdhsa_user_sgpr_dispatch_id 0
		.amdhsa_user_sgpr_private_segment_size 0
		.amdhsa_wavefront_size32 1
		.amdhsa_uses_dynamic_stack 0
		.amdhsa_enable_private_segment 0
		.amdhsa_system_sgpr_workgroup_id_x 1
		.amdhsa_system_sgpr_workgroup_id_y 0
		.amdhsa_system_sgpr_workgroup_id_z 0
		.amdhsa_system_sgpr_workgroup_info 0
		.amdhsa_system_vgpr_workitem_id 0
		.amdhsa_next_free_vgpr 1
		.amdhsa_next_free_sgpr 1
		.amdhsa_reserve_vcc 0
		.amdhsa_float_round_mode_32 0
		.amdhsa_float_round_mode_16_64 0
		.amdhsa_float_denorm_mode_32 3
		.amdhsa_float_denorm_mode_16_64 3
		.amdhsa_fp16_overflow 0
		.amdhsa_workgroup_processor_mode 1
		.amdhsa_memory_ordered 1
		.amdhsa_forward_progress 1
		.amdhsa_inst_pref_size 0
		.amdhsa_round_robin_scheduling 0
		.amdhsa_exception_fp_ieee_invalid_op 0
		.amdhsa_exception_fp_denorm_src 0
		.amdhsa_exception_fp_ieee_div_zero 0
		.amdhsa_exception_fp_ieee_overflow 0
		.amdhsa_exception_fp_ieee_underflow 0
		.amdhsa_exception_fp_ieee_inexact 0
		.amdhsa_exception_int_div_zero 0
	.end_amdhsa_kernel
	.section	.text._ZN7rocprim17ROCPRIM_400000_NS6detail17trampoline_kernelINS0_14default_configENS1_25transform_config_selectorIN6thrust23THRUST_200600_302600_NS5tupleIffNS6_9null_typeES8_S8_S8_S8_S8_S8_S8_EELb0EEEZNS1_14transform_implILb0ES3_SA_NS6_6detail15normal_iteratorINS6_10device_ptrIS9_EEEEPS9_NS0_8identityIS9_EEEE10hipError_tT2_T3_mT4_P12ihipStream_tbEUlT_E_NS1_11comp_targetILNS1_3genE8ELNS1_11target_archE1030ELNS1_3gpuE2ELNS1_3repE0EEENS1_30default_config_static_selectorELNS0_4arch9wavefront6targetE0EEEvT1_,"axG",@progbits,_ZN7rocprim17ROCPRIM_400000_NS6detail17trampoline_kernelINS0_14default_configENS1_25transform_config_selectorIN6thrust23THRUST_200600_302600_NS5tupleIffNS6_9null_typeES8_S8_S8_S8_S8_S8_S8_EELb0EEEZNS1_14transform_implILb0ES3_SA_NS6_6detail15normal_iteratorINS6_10device_ptrIS9_EEEEPS9_NS0_8identityIS9_EEEE10hipError_tT2_T3_mT4_P12ihipStream_tbEUlT_E_NS1_11comp_targetILNS1_3genE8ELNS1_11target_archE1030ELNS1_3gpuE2ELNS1_3repE0EEENS1_30default_config_static_selectorELNS0_4arch9wavefront6targetE0EEEvT1_,comdat
.Lfunc_end174:
	.size	_ZN7rocprim17ROCPRIM_400000_NS6detail17trampoline_kernelINS0_14default_configENS1_25transform_config_selectorIN6thrust23THRUST_200600_302600_NS5tupleIffNS6_9null_typeES8_S8_S8_S8_S8_S8_S8_EELb0EEEZNS1_14transform_implILb0ES3_SA_NS6_6detail15normal_iteratorINS6_10device_ptrIS9_EEEEPS9_NS0_8identityIS9_EEEE10hipError_tT2_T3_mT4_P12ihipStream_tbEUlT_E_NS1_11comp_targetILNS1_3genE8ELNS1_11target_archE1030ELNS1_3gpuE2ELNS1_3repE0EEENS1_30default_config_static_selectorELNS0_4arch9wavefront6targetE0EEEvT1_, .Lfunc_end174-_ZN7rocprim17ROCPRIM_400000_NS6detail17trampoline_kernelINS0_14default_configENS1_25transform_config_selectorIN6thrust23THRUST_200600_302600_NS5tupleIffNS6_9null_typeES8_S8_S8_S8_S8_S8_S8_EELb0EEEZNS1_14transform_implILb0ES3_SA_NS6_6detail15normal_iteratorINS6_10device_ptrIS9_EEEEPS9_NS0_8identityIS9_EEEE10hipError_tT2_T3_mT4_P12ihipStream_tbEUlT_E_NS1_11comp_targetILNS1_3genE8ELNS1_11target_archE1030ELNS1_3gpuE2ELNS1_3repE0EEENS1_30default_config_static_selectorELNS0_4arch9wavefront6targetE0EEEvT1_
                                        ; -- End function
	.set _ZN7rocprim17ROCPRIM_400000_NS6detail17trampoline_kernelINS0_14default_configENS1_25transform_config_selectorIN6thrust23THRUST_200600_302600_NS5tupleIffNS6_9null_typeES8_S8_S8_S8_S8_S8_S8_EELb0EEEZNS1_14transform_implILb0ES3_SA_NS6_6detail15normal_iteratorINS6_10device_ptrIS9_EEEEPS9_NS0_8identityIS9_EEEE10hipError_tT2_T3_mT4_P12ihipStream_tbEUlT_E_NS1_11comp_targetILNS1_3genE8ELNS1_11target_archE1030ELNS1_3gpuE2ELNS1_3repE0EEENS1_30default_config_static_selectorELNS0_4arch9wavefront6targetE0EEEvT1_.num_vgpr, 0
	.set _ZN7rocprim17ROCPRIM_400000_NS6detail17trampoline_kernelINS0_14default_configENS1_25transform_config_selectorIN6thrust23THRUST_200600_302600_NS5tupleIffNS6_9null_typeES8_S8_S8_S8_S8_S8_S8_EELb0EEEZNS1_14transform_implILb0ES3_SA_NS6_6detail15normal_iteratorINS6_10device_ptrIS9_EEEEPS9_NS0_8identityIS9_EEEE10hipError_tT2_T3_mT4_P12ihipStream_tbEUlT_E_NS1_11comp_targetILNS1_3genE8ELNS1_11target_archE1030ELNS1_3gpuE2ELNS1_3repE0EEENS1_30default_config_static_selectorELNS0_4arch9wavefront6targetE0EEEvT1_.num_agpr, 0
	.set _ZN7rocprim17ROCPRIM_400000_NS6detail17trampoline_kernelINS0_14default_configENS1_25transform_config_selectorIN6thrust23THRUST_200600_302600_NS5tupleIffNS6_9null_typeES8_S8_S8_S8_S8_S8_S8_EELb0EEEZNS1_14transform_implILb0ES3_SA_NS6_6detail15normal_iteratorINS6_10device_ptrIS9_EEEEPS9_NS0_8identityIS9_EEEE10hipError_tT2_T3_mT4_P12ihipStream_tbEUlT_E_NS1_11comp_targetILNS1_3genE8ELNS1_11target_archE1030ELNS1_3gpuE2ELNS1_3repE0EEENS1_30default_config_static_selectorELNS0_4arch9wavefront6targetE0EEEvT1_.numbered_sgpr, 0
	.set _ZN7rocprim17ROCPRIM_400000_NS6detail17trampoline_kernelINS0_14default_configENS1_25transform_config_selectorIN6thrust23THRUST_200600_302600_NS5tupleIffNS6_9null_typeES8_S8_S8_S8_S8_S8_S8_EELb0EEEZNS1_14transform_implILb0ES3_SA_NS6_6detail15normal_iteratorINS6_10device_ptrIS9_EEEEPS9_NS0_8identityIS9_EEEE10hipError_tT2_T3_mT4_P12ihipStream_tbEUlT_E_NS1_11comp_targetILNS1_3genE8ELNS1_11target_archE1030ELNS1_3gpuE2ELNS1_3repE0EEENS1_30default_config_static_selectorELNS0_4arch9wavefront6targetE0EEEvT1_.num_named_barrier, 0
	.set _ZN7rocprim17ROCPRIM_400000_NS6detail17trampoline_kernelINS0_14default_configENS1_25transform_config_selectorIN6thrust23THRUST_200600_302600_NS5tupleIffNS6_9null_typeES8_S8_S8_S8_S8_S8_S8_EELb0EEEZNS1_14transform_implILb0ES3_SA_NS6_6detail15normal_iteratorINS6_10device_ptrIS9_EEEEPS9_NS0_8identityIS9_EEEE10hipError_tT2_T3_mT4_P12ihipStream_tbEUlT_E_NS1_11comp_targetILNS1_3genE8ELNS1_11target_archE1030ELNS1_3gpuE2ELNS1_3repE0EEENS1_30default_config_static_selectorELNS0_4arch9wavefront6targetE0EEEvT1_.private_seg_size, 0
	.set _ZN7rocprim17ROCPRIM_400000_NS6detail17trampoline_kernelINS0_14default_configENS1_25transform_config_selectorIN6thrust23THRUST_200600_302600_NS5tupleIffNS6_9null_typeES8_S8_S8_S8_S8_S8_S8_EELb0EEEZNS1_14transform_implILb0ES3_SA_NS6_6detail15normal_iteratorINS6_10device_ptrIS9_EEEEPS9_NS0_8identityIS9_EEEE10hipError_tT2_T3_mT4_P12ihipStream_tbEUlT_E_NS1_11comp_targetILNS1_3genE8ELNS1_11target_archE1030ELNS1_3gpuE2ELNS1_3repE0EEENS1_30default_config_static_selectorELNS0_4arch9wavefront6targetE0EEEvT1_.uses_vcc, 0
	.set _ZN7rocprim17ROCPRIM_400000_NS6detail17trampoline_kernelINS0_14default_configENS1_25transform_config_selectorIN6thrust23THRUST_200600_302600_NS5tupleIffNS6_9null_typeES8_S8_S8_S8_S8_S8_S8_EELb0EEEZNS1_14transform_implILb0ES3_SA_NS6_6detail15normal_iteratorINS6_10device_ptrIS9_EEEEPS9_NS0_8identityIS9_EEEE10hipError_tT2_T3_mT4_P12ihipStream_tbEUlT_E_NS1_11comp_targetILNS1_3genE8ELNS1_11target_archE1030ELNS1_3gpuE2ELNS1_3repE0EEENS1_30default_config_static_selectorELNS0_4arch9wavefront6targetE0EEEvT1_.uses_flat_scratch, 0
	.set _ZN7rocprim17ROCPRIM_400000_NS6detail17trampoline_kernelINS0_14default_configENS1_25transform_config_selectorIN6thrust23THRUST_200600_302600_NS5tupleIffNS6_9null_typeES8_S8_S8_S8_S8_S8_S8_EELb0EEEZNS1_14transform_implILb0ES3_SA_NS6_6detail15normal_iteratorINS6_10device_ptrIS9_EEEEPS9_NS0_8identityIS9_EEEE10hipError_tT2_T3_mT4_P12ihipStream_tbEUlT_E_NS1_11comp_targetILNS1_3genE8ELNS1_11target_archE1030ELNS1_3gpuE2ELNS1_3repE0EEENS1_30default_config_static_selectorELNS0_4arch9wavefront6targetE0EEEvT1_.has_dyn_sized_stack, 0
	.set _ZN7rocprim17ROCPRIM_400000_NS6detail17trampoline_kernelINS0_14default_configENS1_25transform_config_selectorIN6thrust23THRUST_200600_302600_NS5tupleIffNS6_9null_typeES8_S8_S8_S8_S8_S8_S8_EELb0EEEZNS1_14transform_implILb0ES3_SA_NS6_6detail15normal_iteratorINS6_10device_ptrIS9_EEEEPS9_NS0_8identityIS9_EEEE10hipError_tT2_T3_mT4_P12ihipStream_tbEUlT_E_NS1_11comp_targetILNS1_3genE8ELNS1_11target_archE1030ELNS1_3gpuE2ELNS1_3repE0EEENS1_30default_config_static_selectorELNS0_4arch9wavefront6targetE0EEEvT1_.has_recursion, 0
	.set _ZN7rocprim17ROCPRIM_400000_NS6detail17trampoline_kernelINS0_14default_configENS1_25transform_config_selectorIN6thrust23THRUST_200600_302600_NS5tupleIffNS6_9null_typeES8_S8_S8_S8_S8_S8_S8_EELb0EEEZNS1_14transform_implILb0ES3_SA_NS6_6detail15normal_iteratorINS6_10device_ptrIS9_EEEEPS9_NS0_8identityIS9_EEEE10hipError_tT2_T3_mT4_P12ihipStream_tbEUlT_E_NS1_11comp_targetILNS1_3genE8ELNS1_11target_archE1030ELNS1_3gpuE2ELNS1_3repE0EEENS1_30default_config_static_selectorELNS0_4arch9wavefront6targetE0EEEvT1_.has_indirect_call, 0
	.section	.AMDGPU.csdata,"",@progbits
; Kernel info:
; codeLenInByte = 0
; TotalNumSgprs: 0
; NumVgprs: 0
; ScratchSize: 0
; MemoryBound: 0
; FloatMode: 240
; IeeeMode: 1
; LDSByteSize: 0 bytes/workgroup (compile time only)
; SGPRBlocks: 0
; VGPRBlocks: 0
; NumSGPRsForWavesPerEU: 1
; NumVGPRsForWavesPerEU: 1
; Occupancy: 16
; WaveLimiterHint : 0
; COMPUTE_PGM_RSRC2:SCRATCH_EN: 0
; COMPUTE_PGM_RSRC2:USER_SGPR: 2
; COMPUTE_PGM_RSRC2:TRAP_HANDLER: 0
; COMPUTE_PGM_RSRC2:TGID_X_EN: 1
; COMPUTE_PGM_RSRC2:TGID_Y_EN: 0
; COMPUTE_PGM_RSRC2:TGID_Z_EN: 0
; COMPUTE_PGM_RSRC2:TIDIG_COMP_CNT: 0
	.section	.text._ZN7rocprim17ROCPRIM_400000_NS6detail17trampoline_kernelINS0_14default_configENS1_35radix_sort_onesweep_config_selectorIjN6thrust23THRUST_200600_302600_NS5tupleIffNS6_9null_typeES8_S8_S8_S8_S8_S8_S8_EEEEZZNS1_29radix_sort_onesweep_iterationIS3_Lb0ENS6_6detail15normal_iteratorINS6_10device_ptrIjEEEESG_NSD_INSE_IS9_EEEESI_jNS0_19identity_decomposerENS1_16block_id_wrapperIjLb1EEEEE10hipError_tT1_PNSt15iterator_traitsISN_E10value_typeET2_T3_PNSO_IST_E10value_typeET4_T5_PSY_SZ_PNS1_23onesweep_lookback_stateEbbT6_jjT7_P12ihipStream_tbENKUlT_T0_SN_SS_E_clISG_SG_SI_SI_EEDaS16_S17_SN_SS_EUlS16_E_NS1_11comp_targetILNS1_3genE0ELNS1_11target_archE4294967295ELNS1_3gpuE0ELNS1_3repE0EEENS1_47radix_sort_onesweep_sort_config_static_selectorELNS0_4arch9wavefront6targetE0EEEvSN_,"axG",@progbits,_ZN7rocprim17ROCPRIM_400000_NS6detail17trampoline_kernelINS0_14default_configENS1_35radix_sort_onesweep_config_selectorIjN6thrust23THRUST_200600_302600_NS5tupleIffNS6_9null_typeES8_S8_S8_S8_S8_S8_S8_EEEEZZNS1_29radix_sort_onesweep_iterationIS3_Lb0ENS6_6detail15normal_iteratorINS6_10device_ptrIjEEEESG_NSD_INSE_IS9_EEEESI_jNS0_19identity_decomposerENS1_16block_id_wrapperIjLb1EEEEE10hipError_tT1_PNSt15iterator_traitsISN_E10value_typeET2_T3_PNSO_IST_E10value_typeET4_T5_PSY_SZ_PNS1_23onesweep_lookback_stateEbbT6_jjT7_P12ihipStream_tbENKUlT_T0_SN_SS_E_clISG_SG_SI_SI_EEDaS16_S17_SN_SS_EUlS16_E_NS1_11comp_targetILNS1_3genE0ELNS1_11target_archE4294967295ELNS1_3gpuE0ELNS1_3repE0EEENS1_47radix_sort_onesweep_sort_config_static_selectorELNS0_4arch9wavefront6targetE0EEEvSN_,comdat
	.protected	_ZN7rocprim17ROCPRIM_400000_NS6detail17trampoline_kernelINS0_14default_configENS1_35radix_sort_onesweep_config_selectorIjN6thrust23THRUST_200600_302600_NS5tupleIffNS6_9null_typeES8_S8_S8_S8_S8_S8_S8_EEEEZZNS1_29radix_sort_onesweep_iterationIS3_Lb0ENS6_6detail15normal_iteratorINS6_10device_ptrIjEEEESG_NSD_INSE_IS9_EEEESI_jNS0_19identity_decomposerENS1_16block_id_wrapperIjLb1EEEEE10hipError_tT1_PNSt15iterator_traitsISN_E10value_typeET2_T3_PNSO_IST_E10value_typeET4_T5_PSY_SZ_PNS1_23onesweep_lookback_stateEbbT6_jjT7_P12ihipStream_tbENKUlT_T0_SN_SS_E_clISG_SG_SI_SI_EEDaS16_S17_SN_SS_EUlS16_E_NS1_11comp_targetILNS1_3genE0ELNS1_11target_archE4294967295ELNS1_3gpuE0ELNS1_3repE0EEENS1_47radix_sort_onesweep_sort_config_static_selectorELNS0_4arch9wavefront6targetE0EEEvSN_ ; -- Begin function _ZN7rocprim17ROCPRIM_400000_NS6detail17trampoline_kernelINS0_14default_configENS1_35radix_sort_onesweep_config_selectorIjN6thrust23THRUST_200600_302600_NS5tupleIffNS6_9null_typeES8_S8_S8_S8_S8_S8_S8_EEEEZZNS1_29radix_sort_onesweep_iterationIS3_Lb0ENS6_6detail15normal_iteratorINS6_10device_ptrIjEEEESG_NSD_INSE_IS9_EEEESI_jNS0_19identity_decomposerENS1_16block_id_wrapperIjLb1EEEEE10hipError_tT1_PNSt15iterator_traitsISN_E10value_typeET2_T3_PNSO_IST_E10value_typeET4_T5_PSY_SZ_PNS1_23onesweep_lookback_stateEbbT6_jjT7_P12ihipStream_tbENKUlT_T0_SN_SS_E_clISG_SG_SI_SI_EEDaS16_S17_SN_SS_EUlS16_E_NS1_11comp_targetILNS1_3genE0ELNS1_11target_archE4294967295ELNS1_3gpuE0ELNS1_3repE0EEENS1_47radix_sort_onesweep_sort_config_static_selectorELNS0_4arch9wavefront6targetE0EEEvSN_
	.globl	_ZN7rocprim17ROCPRIM_400000_NS6detail17trampoline_kernelINS0_14default_configENS1_35radix_sort_onesweep_config_selectorIjN6thrust23THRUST_200600_302600_NS5tupleIffNS6_9null_typeES8_S8_S8_S8_S8_S8_S8_EEEEZZNS1_29radix_sort_onesweep_iterationIS3_Lb0ENS6_6detail15normal_iteratorINS6_10device_ptrIjEEEESG_NSD_INSE_IS9_EEEESI_jNS0_19identity_decomposerENS1_16block_id_wrapperIjLb1EEEEE10hipError_tT1_PNSt15iterator_traitsISN_E10value_typeET2_T3_PNSO_IST_E10value_typeET4_T5_PSY_SZ_PNS1_23onesweep_lookback_stateEbbT6_jjT7_P12ihipStream_tbENKUlT_T0_SN_SS_E_clISG_SG_SI_SI_EEDaS16_S17_SN_SS_EUlS16_E_NS1_11comp_targetILNS1_3genE0ELNS1_11target_archE4294967295ELNS1_3gpuE0ELNS1_3repE0EEENS1_47radix_sort_onesweep_sort_config_static_selectorELNS0_4arch9wavefront6targetE0EEEvSN_
	.p2align	8
	.type	_ZN7rocprim17ROCPRIM_400000_NS6detail17trampoline_kernelINS0_14default_configENS1_35radix_sort_onesweep_config_selectorIjN6thrust23THRUST_200600_302600_NS5tupleIffNS6_9null_typeES8_S8_S8_S8_S8_S8_S8_EEEEZZNS1_29radix_sort_onesweep_iterationIS3_Lb0ENS6_6detail15normal_iteratorINS6_10device_ptrIjEEEESG_NSD_INSE_IS9_EEEESI_jNS0_19identity_decomposerENS1_16block_id_wrapperIjLb1EEEEE10hipError_tT1_PNSt15iterator_traitsISN_E10value_typeET2_T3_PNSO_IST_E10value_typeET4_T5_PSY_SZ_PNS1_23onesweep_lookback_stateEbbT6_jjT7_P12ihipStream_tbENKUlT_T0_SN_SS_E_clISG_SG_SI_SI_EEDaS16_S17_SN_SS_EUlS16_E_NS1_11comp_targetILNS1_3genE0ELNS1_11target_archE4294967295ELNS1_3gpuE0ELNS1_3repE0EEENS1_47radix_sort_onesweep_sort_config_static_selectorELNS0_4arch9wavefront6targetE0EEEvSN_,@function
_ZN7rocprim17ROCPRIM_400000_NS6detail17trampoline_kernelINS0_14default_configENS1_35radix_sort_onesweep_config_selectorIjN6thrust23THRUST_200600_302600_NS5tupleIffNS6_9null_typeES8_S8_S8_S8_S8_S8_S8_EEEEZZNS1_29radix_sort_onesweep_iterationIS3_Lb0ENS6_6detail15normal_iteratorINS6_10device_ptrIjEEEESG_NSD_INSE_IS9_EEEESI_jNS0_19identity_decomposerENS1_16block_id_wrapperIjLb1EEEEE10hipError_tT1_PNSt15iterator_traitsISN_E10value_typeET2_T3_PNSO_IST_E10value_typeET4_T5_PSY_SZ_PNS1_23onesweep_lookback_stateEbbT6_jjT7_P12ihipStream_tbENKUlT_T0_SN_SS_E_clISG_SG_SI_SI_EEDaS16_S17_SN_SS_EUlS16_E_NS1_11comp_targetILNS1_3genE0ELNS1_11target_archE4294967295ELNS1_3gpuE0ELNS1_3repE0EEENS1_47radix_sort_onesweep_sort_config_static_selectorELNS0_4arch9wavefront6targetE0EEEvSN_: ; @_ZN7rocprim17ROCPRIM_400000_NS6detail17trampoline_kernelINS0_14default_configENS1_35radix_sort_onesweep_config_selectorIjN6thrust23THRUST_200600_302600_NS5tupleIffNS6_9null_typeES8_S8_S8_S8_S8_S8_S8_EEEEZZNS1_29radix_sort_onesweep_iterationIS3_Lb0ENS6_6detail15normal_iteratorINS6_10device_ptrIjEEEESG_NSD_INSE_IS9_EEEESI_jNS0_19identity_decomposerENS1_16block_id_wrapperIjLb1EEEEE10hipError_tT1_PNSt15iterator_traitsISN_E10value_typeET2_T3_PNSO_IST_E10value_typeET4_T5_PSY_SZ_PNS1_23onesweep_lookback_stateEbbT6_jjT7_P12ihipStream_tbENKUlT_T0_SN_SS_E_clISG_SG_SI_SI_EEDaS16_S17_SN_SS_EUlS16_E_NS1_11comp_targetILNS1_3genE0ELNS1_11target_archE4294967295ELNS1_3gpuE0ELNS1_3repE0EEENS1_47radix_sort_onesweep_sort_config_static_selectorELNS0_4arch9wavefront6targetE0EEEvSN_
; %bb.0:
	.section	.rodata,"a",@progbits
	.p2align	6, 0x0
	.amdhsa_kernel _ZN7rocprim17ROCPRIM_400000_NS6detail17trampoline_kernelINS0_14default_configENS1_35radix_sort_onesweep_config_selectorIjN6thrust23THRUST_200600_302600_NS5tupleIffNS6_9null_typeES8_S8_S8_S8_S8_S8_S8_EEEEZZNS1_29radix_sort_onesweep_iterationIS3_Lb0ENS6_6detail15normal_iteratorINS6_10device_ptrIjEEEESG_NSD_INSE_IS9_EEEESI_jNS0_19identity_decomposerENS1_16block_id_wrapperIjLb1EEEEE10hipError_tT1_PNSt15iterator_traitsISN_E10value_typeET2_T3_PNSO_IST_E10value_typeET4_T5_PSY_SZ_PNS1_23onesweep_lookback_stateEbbT6_jjT7_P12ihipStream_tbENKUlT_T0_SN_SS_E_clISG_SG_SI_SI_EEDaS16_S17_SN_SS_EUlS16_E_NS1_11comp_targetILNS1_3genE0ELNS1_11target_archE4294967295ELNS1_3gpuE0ELNS1_3repE0EEENS1_47radix_sort_onesweep_sort_config_static_selectorELNS0_4arch9wavefront6targetE0EEEvSN_
		.amdhsa_group_segment_fixed_size 0
		.amdhsa_private_segment_fixed_size 0
		.amdhsa_kernarg_size 88
		.amdhsa_user_sgpr_count 2
		.amdhsa_user_sgpr_dispatch_ptr 0
		.amdhsa_user_sgpr_queue_ptr 0
		.amdhsa_user_sgpr_kernarg_segment_ptr 1
		.amdhsa_user_sgpr_dispatch_id 0
		.amdhsa_user_sgpr_private_segment_size 0
		.amdhsa_wavefront_size32 1
		.amdhsa_uses_dynamic_stack 0
		.amdhsa_enable_private_segment 0
		.amdhsa_system_sgpr_workgroup_id_x 1
		.amdhsa_system_sgpr_workgroup_id_y 0
		.amdhsa_system_sgpr_workgroup_id_z 0
		.amdhsa_system_sgpr_workgroup_info 0
		.amdhsa_system_vgpr_workitem_id 0
		.amdhsa_next_free_vgpr 1
		.amdhsa_next_free_sgpr 1
		.amdhsa_reserve_vcc 0
		.amdhsa_float_round_mode_32 0
		.amdhsa_float_round_mode_16_64 0
		.amdhsa_float_denorm_mode_32 3
		.amdhsa_float_denorm_mode_16_64 3
		.amdhsa_fp16_overflow 0
		.amdhsa_workgroup_processor_mode 1
		.amdhsa_memory_ordered 1
		.amdhsa_forward_progress 1
		.amdhsa_inst_pref_size 0
		.amdhsa_round_robin_scheduling 0
		.amdhsa_exception_fp_ieee_invalid_op 0
		.amdhsa_exception_fp_denorm_src 0
		.amdhsa_exception_fp_ieee_div_zero 0
		.amdhsa_exception_fp_ieee_overflow 0
		.amdhsa_exception_fp_ieee_underflow 0
		.amdhsa_exception_fp_ieee_inexact 0
		.amdhsa_exception_int_div_zero 0
	.end_amdhsa_kernel
	.section	.text._ZN7rocprim17ROCPRIM_400000_NS6detail17trampoline_kernelINS0_14default_configENS1_35radix_sort_onesweep_config_selectorIjN6thrust23THRUST_200600_302600_NS5tupleIffNS6_9null_typeES8_S8_S8_S8_S8_S8_S8_EEEEZZNS1_29radix_sort_onesweep_iterationIS3_Lb0ENS6_6detail15normal_iteratorINS6_10device_ptrIjEEEESG_NSD_INSE_IS9_EEEESI_jNS0_19identity_decomposerENS1_16block_id_wrapperIjLb1EEEEE10hipError_tT1_PNSt15iterator_traitsISN_E10value_typeET2_T3_PNSO_IST_E10value_typeET4_T5_PSY_SZ_PNS1_23onesweep_lookback_stateEbbT6_jjT7_P12ihipStream_tbENKUlT_T0_SN_SS_E_clISG_SG_SI_SI_EEDaS16_S17_SN_SS_EUlS16_E_NS1_11comp_targetILNS1_3genE0ELNS1_11target_archE4294967295ELNS1_3gpuE0ELNS1_3repE0EEENS1_47radix_sort_onesweep_sort_config_static_selectorELNS0_4arch9wavefront6targetE0EEEvSN_,"axG",@progbits,_ZN7rocprim17ROCPRIM_400000_NS6detail17trampoline_kernelINS0_14default_configENS1_35radix_sort_onesweep_config_selectorIjN6thrust23THRUST_200600_302600_NS5tupleIffNS6_9null_typeES8_S8_S8_S8_S8_S8_S8_EEEEZZNS1_29radix_sort_onesweep_iterationIS3_Lb0ENS6_6detail15normal_iteratorINS6_10device_ptrIjEEEESG_NSD_INSE_IS9_EEEESI_jNS0_19identity_decomposerENS1_16block_id_wrapperIjLb1EEEEE10hipError_tT1_PNSt15iterator_traitsISN_E10value_typeET2_T3_PNSO_IST_E10value_typeET4_T5_PSY_SZ_PNS1_23onesweep_lookback_stateEbbT6_jjT7_P12ihipStream_tbENKUlT_T0_SN_SS_E_clISG_SG_SI_SI_EEDaS16_S17_SN_SS_EUlS16_E_NS1_11comp_targetILNS1_3genE0ELNS1_11target_archE4294967295ELNS1_3gpuE0ELNS1_3repE0EEENS1_47radix_sort_onesweep_sort_config_static_selectorELNS0_4arch9wavefront6targetE0EEEvSN_,comdat
.Lfunc_end175:
	.size	_ZN7rocprim17ROCPRIM_400000_NS6detail17trampoline_kernelINS0_14default_configENS1_35radix_sort_onesweep_config_selectorIjN6thrust23THRUST_200600_302600_NS5tupleIffNS6_9null_typeES8_S8_S8_S8_S8_S8_S8_EEEEZZNS1_29radix_sort_onesweep_iterationIS3_Lb0ENS6_6detail15normal_iteratorINS6_10device_ptrIjEEEESG_NSD_INSE_IS9_EEEESI_jNS0_19identity_decomposerENS1_16block_id_wrapperIjLb1EEEEE10hipError_tT1_PNSt15iterator_traitsISN_E10value_typeET2_T3_PNSO_IST_E10value_typeET4_T5_PSY_SZ_PNS1_23onesweep_lookback_stateEbbT6_jjT7_P12ihipStream_tbENKUlT_T0_SN_SS_E_clISG_SG_SI_SI_EEDaS16_S17_SN_SS_EUlS16_E_NS1_11comp_targetILNS1_3genE0ELNS1_11target_archE4294967295ELNS1_3gpuE0ELNS1_3repE0EEENS1_47radix_sort_onesweep_sort_config_static_selectorELNS0_4arch9wavefront6targetE0EEEvSN_, .Lfunc_end175-_ZN7rocprim17ROCPRIM_400000_NS6detail17trampoline_kernelINS0_14default_configENS1_35radix_sort_onesweep_config_selectorIjN6thrust23THRUST_200600_302600_NS5tupleIffNS6_9null_typeES8_S8_S8_S8_S8_S8_S8_EEEEZZNS1_29radix_sort_onesweep_iterationIS3_Lb0ENS6_6detail15normal_iteratorINS6_10device_ptrIjEEEESG_NSD_INSE_IS9_EEEESI_jNS0_19identity_decomposerENS1_16block_id_wrapperIjLb1EEEEE10hipError_tT1_PNSt15iterator_traitsISN_E10value_typeET2_T3_PNSO_IST_E10value_typeET4_T5_PSY_SZ_PNS1_23onesweep_lookback_stateEbbT6_jjT7_P12ihipStream_tbENKUlT_T0_SN_SS_E_clISG_SG_SI_SI_EEDaS16_S17_SN_SS_EUlS16_E_NS1_11comp_targetILNS1_3genE0ELNS1_11target_archE4294967295ELNS1_3gpuE0ELNS1_3repE0EEENS1_47radix_sort_onesweep_sort_config_static_selectorELNS0_4arch9wavefront6targetE0EEEvSN_
                                        ; -- End function
	.set _ZN7rocprim17ROCPRIM_400000_NS6detail17trampoline_kernelINS0_14default_configENS1_35radix_sort_onesweep_config_selectorIjN6thrust23THRUST_200600_302600_NS5tupleIffNS6_9null_typeES8_S8_S8_S8_S8_S8_S8_EEEEZZNS1_29radix_sort_onesweep_iterationIS3_Lb0ENS6_6detail15normal_iteratorINS6_10device_ptrIjEEEESG_NSD_INSE_IS9_EEEESI_jNS0_19identity_decomposerENS1_16block_id_wrapperIjLb1EEEEE10hipError_tT1_PNSt15iterator_traitsISN_E10value_typeET2_T3_PNSO_IST_E10value_typeET4_T5_PSY_SZ_PNS1_23onesweep_lookback_stateEbbT6_jjT7_P12ihipStream_tbENKUlT_T0_SN_SS_E_clISG_SG_SI_SI_EEDaS16_S17_SN_SS_EUlS16_E_NS1_11comp_targetILNS1_3genE0ELNS1_11target_archE4294967295ELNS1_3gpuE0ELNS1_3repE0EEENS1_47radix_sort_onesweep_sort_config_static_selectorELNS0_4arch9wavefront6targetE0EEEvSN_.num_vgpr, 0
	.set _ZN7rocprim17ROCPRIM_400000_NS6detail17trampoline_kernelINS0_14default_configENS1_35radix_sort_onesweep_config_selectorIjN6thrust23THRUST_200600_302600_NS5tupleIffNS6_9null_typeES8_S8_S8_S8_S8_S8_S8_EEEEZZNS1_29radix_sort_onesweep_iterationIS3_Lb0ENS6_6detail15normal_iteratorINS6_10device_ptrIjEEEESG_NSD_INSE_IS9_EEEESI_jNS0_19identity_decomposerENS1_16block_id_wrapperIjLb1EEEEE10hipError_tT1_PNSt15iterator_traitsISN_E10value_typeET2_T3_PNSO_IST_E10value_typeET4_T5_PSY_SZ_PNS1_23onesweep_lookback_stateEbbT6_jjT7_P12ihipStream_tbENKUlT_T0_SN_SS_E_clISG_SG_SI_SI_EEDaS16_S17_SN_SS_EUlS16_E_NS1_11comp_targetILNS1_3genE0ELNS1_11target_archE4294967295ELNS1_3gpuE0ELNS1_3repE0EEENS1_47radix_sort_onesweep_sort_config_static_selectorELNS0_4arch9wavefront6targetE0EEEvSN_.num_agpr, 0
	.set _ZN7rocprim17ROCPRIM_400000_NS6detail17trampoline_kernelINS0_14default_configENS1_35radix_sort_onesweep_config_selectorIjN6thrust23THRUST_200600_302600_NS5tupleIffNS6_9null_typeES8_S8_S8_S8_S8_S8_S8_EEEEZZNS1_29radix_sort_onesweep_iterationIS3_Lb0ENS6_6detail15normal_iteratorINS6_10device_ptrIjEEEESG_NSD_INSE_IS9_EEEESI_jNS0_19identity_decomposerENS1_16block_id_wrapperIjLb1EEEEE10hipError_tT1_PNSt15iterator_traitsISN_E10value_typeET2_T3_PNSO_IST_E10value_typeET4_T5_PSY_SZ_PNS1_23onesweep_lookback_stateEbbT6_jjT7_P12ihipStream_tbENKUlT_T0_SN_SS_E_clISG_SG_SI_SI_EEDaS16_S17_SN_SS_EUlS16_E_NS1_11comp_targetILNS1_3genE0ELNS1_11target_archE4294967295ELNS1_3gpuE0ELNS1_3repE0EEENS1_47radix_sort_onesweep_sort_config_static_selectorELNS0_4arch9wavefront6targetE0EEEvSN_.numbered_sgpr, 0
	.set _ZN7rocprim17ROCPRIM_400000_NS6detail17trampoline_kernelINS0_14default_configENS1_35radix_sort_onesweep_config_selectorIjN6thrust23THRUST_200600_302600_NS5tupleIffNS6_9null_typeES8_S8_S8_S8_S8_S8_S8_EEEEZZNS1_29radix_sort_onesweep_iterationIS3_Lb0ENS6_6detail15normal_iteratorINS6_10device_ptrIjEEEESG_NSD_INSE_IS9_EEEESI_jNS0_19identity_decomposerENS1_16block_id_wrapperIjLb1EEEEE10hipError_tT1_PNSt15iterator_traitsISN_E10value_typeET2_T3_PNSO_IST_E10value_typeET4_T5_PSY_SZ_PNS1_23onesweep_lookback_stateEbbT6_jjT7_P12ihipStream_tbENKUlT_T0_SN_SS_E_clISG_SG_SI_SI_EEDaS16_S17_SN_SS_EUlS16_E_NS1_11comp_targetILNS1_3genE0ELNS1_11target_archE4294967295ELNS1_3gpuE0ELNS1_3repE0EEENS1_47radix_sort_onesweep_sort_config_static_selectorELNS0_4arch9wavefront6targetE0EEEvSN_.num_named_barrier, 0
	.set _ZN7rocprim17ROCPRIM_400000_NS6detail17trampoline_kernelINS0_14default_configENS1_35radix_sort_onesweep_config_selectorIjN6thrust23THRUST_200600_302600_NS5tupleIffNS6_9null_typeES8_S8_S8_S8_S8_S8_S8_EEEEZZNS1_29radix_sort_onesweep_iterationIS3_Lb0ENS6_6detail15normal_iteratorINS6_10device_ptrIjEEEESG_NSD_INSE_IS9_EEEESI_jNS0_19identity_decomposerENS1_16block_id_wrapperIjLb1EEEEE10hipError_tT1_PNSt15iterator_traitsISN_E10value_typeET2_T3_PNSO_IST_E10value_typeET4_T5_PSY_SZ_PNS1_23onesweep_lookback_stateEbbT6_jjT7_P12ihipStream_tbENKUlT_T0_SN_SS_E_clISG_SG_SI_SI_EEDaS16_S17_SN_SS_EUlS16_E_NS1_11comp_targetILNS1_3genE0ELNS1_11target_archE4294967295ELNS1_3gpuE0ELNS1_3repE0EEENS1_47radix_sort_onesweep_sort_config_static_selectorELNS0_4arch9wavefront6targetE0EEEvSN_.private_seg_size, 0
	.set _ZN7rocprim17ROCPRIM_400000_NS6detail17trampoline_kernelINS0_14default_configENS1_35radix_sort_onesweep_config_selectorIjN6thrust23THRUST_200600_302600_NS5tupleIffNS6_9null_typeES8_S8_S8_S8_S8_S8_S8_EEEEZZNS1_29radix_sort_onesweep_iterationIS3_Lb0ENS6_6detail15normal_iteratorINS6_10device_ptrIjEEEESG_NSD_INSE_IS9_EEEESI_jNS0_19identity_decomposerENS1_16block_id_wrapperIjLb1EEEEE10hipError_tT1_PNSt15iterator_traitsISN_E10value_typeET2_T3_PNSO_IST_E10value_typeET4_T5_PSY_SZ_PNS1_23onesweep_lookback_stateEbbT6_jjT7_P12ihipStream_tbENKUlT_T0_SN_SS_E_clISG_SG_SI_SI_EEDaS16_S17_SN_SS_EUlS16_E_NS1_11comp_targetILNS1_3genE0ELNS1_11target_archE4294967295ELNS1_3gpuE0ELNS1_3repE0EEENS1_47radix_sort_onesweep_sort_config_static_selectorELNS0_4arch9wavefront6targetE0EEEvSN_.uses_vcc, 0
	.set _ZN7rocprim17ROCPRIM_400000_NS6detail17trampoline_kernelINS0_14default_configENS1_35radix_sort_onesweep_config_selectorIjN6thrust23THRUST_200600_302600_NS5tupleIffNS6_9null_typeES8_S8_S8_S8_S8_S8_S8_EEEEZZNS1_29radix_sort_onesweep_iterationIS3_Lb0ENS6_6detail15normal_iteratorINS6_10device_ptrIjEEEESG_NSD_INSE_IS9_EEEESI_jNS0_19identity_decomposerENS1_16block_id_wrapperIjLb1EEEEE10hipError_tT1_PNSt15iterator_traitsISN_E10value_typeET2_T3_PNSO_IST_E10value_typeET4_T5_PSY_SZ_PNS1_23onesweep_lookback_stateEbbT6_jjT7_P12ihipStream_tbENKUlT_T0_SN_SS_E_clISG_SG_SI_SI_EEDaS16_S17_SN_SS_EUlS16_E_NS1_11comp_targetILNS1_3genE0ELNS1_11target_archE4294967295ELNS1_3gpuE0ELNS1_3repE0EEENS1_47radix_sort_onesweep_sort_config_static_selectorELNS0_4arch9wavefront6targetE0EEEvSN_.uses_flat_scratch, 0
	.set _ZN7rocprim17ROCPRIM_400000_NS6detail17trampoline_kernelINS0_14default_configENS1_35radix_sort_onesweep_config_selectorIjN6thrust23THRUST_200600_302600_NS5tupleIffNS6_9null_typeES8_S8_S8_S8_S8_S8_S8_EEEEZZNS1_29radix_sort_onesweep_iterationIS3_Lb0ENS6_6detail15normal_iteratorINS6_10device_ptrIjEEEESG_NSD_INSE_IS9_EEEESI_jNS0_19identity_decomposerENS1_16block_id_wrapperIjLb1EEEEE10hipError_tT1_PNSt15iterator_traitsISN_E10value_typeET2_T3_PNSO_IST_E10value_typeET4_T5_PSY_SZ_PNS1_23onesweep_lookback_stateEbbT6_jjT7_P12ihipStream_tbENKUlT_T0_SN_SS_E_clISG_SG_SI_SI_EEDaS16_S17_SN_SS_EUlS16_E_NS1_11comp_targetILNS1_3genE0ELNS1_11target_archE4294967295ELNS1_3gpuE0ELNS1_3repE0EEENS1_47radix_sort_onesweep_sort_config_static_selectorELNS0_4arch9wavefront6targetE0EEEvSN_.has_dyn_sized_stack, 0
	.set _ZN7rocprim17ROCPRIM_400000_NS6detail17trampoline_kernelINS0_14default_configENS1_35radix_sort_onesweep_config_selectorIjN6thrust23THRUST_200600_302600_NS5tupleIffNS6_9null_typeES8_S8_S8_S8_S8_S8_S8_EEEEZZNS1_29radix_sort_onesweep_iterationIS3_Lb0ENS6_6detail15normal_iteratorINS6_10device_ptrIjEEEESG_NSD_INSE_IS9_EEEESI_jNS0_19identity_decomposerENS1_16block_id_wrapperIjLb1EEEEE10hipError_tT1_PNSt15iterator_traitsISN_E10value_typeET2_T3_PNSO_IST_E10value_typeET4_T5_PSY_SZ_PNS1_23onesweep_lookback_stateEbbT6_jjT7_P12ihipStream_tbENKUlT_T0_SN_SS_E_clISG_SG_SI_SI_EEDaS16_S17_SN_SS_EUlS16_E_NS1_11comp_targetILNS1_3genE0ELNS1_11target_archE4294967295ELNS1_3gpuE0ELNS1_3repE0EEENS1_47radix_sort_onesweep_sort_config_static_selectorELNS0_4arch9wavefront6targetE0EEEvSN_.has_recursion, 0
	.set _ZN7rocprim17ROCPRIM_400000_NS6detail17trampoline_kernelINS0_14default_configENS1_35radix_sort_onesweep_config_selectorIjN6thrust23THRUST_200600_302600_NS5tupleIffNS6_9null_typeES8_S8_S8_S8_S8_S8_S8_EEEEZZNS1_29radix_sort_onesweep_iterationIS3_Lb0ENS6_6detail15normal_iteratorINS6_10device_ptrIjEEEESG_NSD_INSE_IS9_EEEESI_jNS0_19identity_decomposerENS1_16block_id_wrapperIjLb1EEEEE10hipError_tT1_PNSt15iterator_traitsISN_E10value_typeET2_T3_PNSO_IST_E10value_typeET4_T5_PSY_SZ_PNS1_23onesweep_lookback_stateEbbT6_jjT7_P12ihipStream_tbENKUlT_T0_SN_SS_E_clISG_SG_SI_SI_EEDaS16_S17_SN_SS_EUlS16_E_NS1_11comp_targetILNS1_3genE0ELNS1_11target_archE4294967295ELNS1_3gpuE0ELNS1_3repE0EEENS1_47radix_sort_onesweep_sort_config_static_selectorELNS0_4arch9wavefront6targetE0EEEvSN_.has_indirect_call, 0
	.section	.AMDGPU.csdata,"",@progbits
; Kernel info:
; codeLenInByte = 0
; TotalNumSgprs: 0
; NumVgprs: 0
; ScratchSize: 0
; MemoryBound: 0
; FloatMode: 240
; IeeeMode: 1
; LDSByteSize: 0 bytes/workgroup (compile time only)
; SGPRBlocks: 0
; VGPRBlocks: 0
; NumSGPRsForWavesPerEU: 1
; NumVGPRsForWavesPerEU: 1
; Occupancy: 16
; WaveLimiterHint : 0
; COMPUTE_PGM_RSRC2:SCRATCH_EN: 0
; COMPUTE_PGM_RSRC2:USER_SGPR: 2
; COMPUTE_PGM_RSRC2:TRAP_HANDLER: 0
; COMPUTE_PGM_RSRC2:TGID_X_EN: 1
; COMPUTE_PGM_RSRC2:TGID_Y_EN: 0
; COMPUTE_PGM_RSRC2:TGID_Z_EN: 0
; COMPUTE_PGM_RSRC2:TIDIG_COMP_CNT: 0
	.section	.text._ZN7rocprim17ROCPRIM_400000_NS6detail17trampoline_kernelINS0_14default_configENS1_35radix_sort_onesweep_config_selectorIjN6thrust23THRUST_200600_302600_NS5tupleIffNS6_9null_typeES8_S8_S8_S8_S8_S8_S8_EEEEZZNS1_29radix_sort_onesweep_iterationIS3_Lb0ENS6_6detail15normal_iteratorINS6_10device_ptrIjEEEESG_NSD_INSE_IS9_EEEESI_jNS0_19identity_decomposerENS1_16block_id_wrapperIjLb1EEEEE10hipError_tT1_PNSt15iterator_traitsISN_E10value_typeET2_T3_PNSO_IST_E10value_typeET4_T5_PSY_SZ_PNS1_23onesweep_lookback_stateEbbT6_jjT7_P12ihipStream_tbENKUlT_T0_SN_SS_E_clISG_SG_SI_SI_EEDaS16_S17_SN_SS_EUlS16_E_NS1_11comp_targetILNS1_3genE6ELNS1_11target_archE950ELNS1_3gpuE13ELNS1_3repE0EEENS1_47radix_sort_onesweep_sort_config_static_selectorELNS0_4arch9wavefront6targetE0EEEvSN_,"axG",@progbits,_ZN7rocprim17ROCPRIM_400000_NS6detail17trampoline_kernelINS0_14default_configENS1_35radix_sort_onesweep_config_selectorIjN6thrust23THRUST_200600_302600_NS5tupleIffNS6_9null_typeES8_S8_S8_S8_S8_S8_S8_EEEEZZNS1_29radix_sort_onesweep_iterationIS3_Lb0ENS6_6detail15normal_iteratorINS6_10device_ptrIjEEEESG_NSD_INSE_IS9_EEEESI_jNS0_19identity_decomposerENS1_16block_id_wrapperIjLb1EEEEE10hipError_tT1_PNSt15iterator_traitsISN_E10value_typeET2_T3_PNSO_IST_E10value_typeET4_T5_PSY_SZ_PNS1_23onesweep_lookback_stateEbbT6_jjT7_P12ihipStream_tbENKUlT_T0_SN_SS_E_clISG_SG_SI_SI_EEDaS16_S17_SN_SS_EUlS16_E_NS1_11comp_targetILNS1_3genE6ELNS1_11target_archE950ELNS1_3gpuE13ELNS1_3repE0EEENS1_47radix_sort_onesweep_sort_config_static_selectorELNS0_4arch9wavefront6targetE0EEEvSN_,comdat
	.protected	_ZN7rocprim17ROCPRIM_400000_NS6detail17trampoline_kernelINS0_14default_configENS1_35radix_sort_onesweep_config_selectorIjN6thrust23THRUST_200600_302600_NS5tupleIffNS6_9null_typeES8_S8_S8_S8_S8_S8_S8_EEEEZZNS1_29radix_sort_onesweep_iterationIS3_Lb0ENS6_6detail15normal_iteratorINS6_10device_ptrIjEEEESG_NSD_INSE_IS9_EEEESI_jNS0_19identity_decomposerENS1_16block_id_wrapperIjLb1EEEEE10hipError_tT1_PNSt15iterator_traitsISN_E10value_typeET2_T3_PNSO_IST_E10value_typeET4_T5_PSY_SZ_PNS1_23onesweep_lookback_stateEbbT6_jjT7_P12ihipStream_tbENKUlT_T0_SN_SS_E_clISG_SG_SI_SI_EEDaS16_S17_SN_SS_EUlS16_E_NS1_11comp_targetILNS1_3genE6ELNS1_11target_archE950ELNS1_3gpuE13ELNS1_3repE0EEENS1_47radix_sort_onesweep_sort_config_static_selectorELNS0_4arch9wavefront6targetE0EEEvSN_ ; -- Begin function _ZN7rocprim17ROCPRIM_400000_NS6detail17trampoline_kernelINS0_14default_configENS1_35radix_sort_onesweep_config_selectorIjN6thrust23THRUST_200600_302600_NS5tupleIffNS6_9null_typeES8_S8_S8_S8_S8_S8_S8_EEEEZZNS1_29radix_sort_onesweep_iterationIS3_Lb0ENS6_6detail15normal_iteratorINS6_10device_ptrIjEEEESG_NSD_INSE_IS9_EEEESI_jNS0_19identity_decomposerENS1_16block_id_wrapperIjLb1EEEEE10hipError_tT1_PNSt15iterator_traitsISN_E10value_typeET2_T3_PNSO_IST_E10value_typeET4_T5_PSY_SZ_PNS1_23onesweep_lookback_stateEbbT6_jjT7_P12ihipStream_tbENKUlT_T0_SN_SS_E_clISG_SG_SI_SI_EEDaS16_S17_SN_SS_EUlS16_E_NS1_11comp_targetILNS1_3genE6ELNS1_11target_archE950ELNS1_3gpuE13ELNS1_3repE0EEENS1_47radix_sort_onesweep_sort_config_static_selectorELNS0_4arch9wavefront6targetE0EEEvSN_
	.globl	_ZN7rocprim17ROCPRIM_400000_NS6detail17trampoline_kernelINS0_14default_configENS1_35radix_sort_onesweep_config_selectorIjN6thrust23THRUST_200600_302600_NS5tupleIffNS6_9null_typeES8_S8_S8_S8_S8_S8_S8_EEEEZZNS1_29radix_sort_onesweep_iterationIS3_Lb0ENS6_6detail15normal_iteratorINS6_10device_ptrIjEEEESG_NSD_INSE_IS9_EEEESI_jNS0_19identity_decomposerENS1_16block_id_wrapperIjLb1EEEEE10hipError_tT1_PNSt15iterator_traitsISN_E10value_typeET2_T3_PNSO_IST_E10value_typeET4_T5_PSY_SZ_PNS1_23onesweep_lookback_stateEbbT6_jjT7_P12ihipStream_tbENKUlT_T0_SN_SS_E_clISG_SG_SI_SI_EEDaS16_S17_SN_SS_EUlS16_E_NS1_11comp_targetILNS1_3genE6ELNS1_11target_archE950ELNS1_3gpuE13ELNS1_3repE0EEENS1_47radix_sort_onesweep_sort_config_static_selectorELNS0_4arch9wavefront6targetE0EEEvSN_
	.p2align	8
	.type	_ZN7rocprim17ROCPRIM_400000_NS6detail17trampoline_kernelINS0_14default_configENS1_35radix_sort_onesweep_config_selectorIjN6thrust23THRUST_200600_302600_NS5tupleIffNS6_9null_typeES8_S8_S8_S8_S8_S8_S8_EEEEZZNS1_29radix_sort_onesweep_iterationIS3_Lb0ENS6_6detail15normal_iteratorINS6_10device_ptrIjEEEESG_NSD_INSE_IS9_EEEESI_jNS0_19identity_decomposerENS1_16block_id_wrapperIjLb1EEEEE10hipError_tT1_PNSt15iterator_traitsISN_E10value_typeET2_T3_PNSO_IST_E10value_typeET4_T5_PSY_SZ_PNS1_23onesweep_lookback_stateEbbT6_jjT7_P12ihipStream_tbENKUlT_T0_SN_SS_E_clISG_SG_SI_SI_EEDaS16_S17_SN_SS_EUlS16_E_NS1_11comp_targetILNS1_3genE6ELNS1_11target_archE950ELNS1_3gpuE13ELNS1_3repE0EEENS1_47radix_sort_onesweep_sort_config_static_selectorELNS0_4arch9wavefront6targetE0EEEvSN_,@function
_ZN7rocprim17ROCPRIM_400000_NS6detail17trampoline_kernelINS0_14default_configENS1_35radix_sort_onesweep_config_selectorIjN6thrust23THRUST_200600_302600_NS5tupleIffNS6_9null_typeES8_S8_S8_S8_S8_S8_S8_EEEEZZNS1_29radix_sort_onesweep_iterationIS3_Lb0ENS6_6detail15normal_iteratorINS6_10device_ptrIjEEEESG_NSD_INSE_IS9_EEEESI_jNS0_19identity_decomposerENS1_16block_id_wrapperIjLb1EEEEE10hipError_tT1_PNSt15iterator_traitsISN_E10value_typeET2_T3_PNSO_IST_E10value_typeET4_T5_PSY_SZ_PNS1_23onesweep_lookback_stateEbbT6_jjT7_P12ihipStream_tbENKUlT_T0_SN_SS_E_clISG_SG_SI_SI_EEDaS16_S17_SN_SS_EUlS16_E_NS1_11comp_targetILNS1_3genE6ELNS1_11target_archE950ELNS1_3gpuE13ELNS1_3repE0EEENS1_47radix_sort_onesweep_sort_config_static_selectorELNS0_4arch9wavefront6targetE0EEEvSN_: ; @_ZN7rocprim17ROCPRIM_400000_NS6detail17trampoline_kernelINS0_14default_configENS1_35radix_sort_onesweep_config_selectorIjN6thrust23THRUST_200600_302600_NS5tupleIffNS6_9null_typeES8_S8_S8_S8_S8_S8_S8_EEEEZZNS1_29radix_sort_onesweep_iterationIS3_Lb0ENS6_6detail15normal_iteratorINS6_10device_ptrIjEEEESG_NSD_INSE_IS9_EEEESI_jNS0_19identity_decomposerENS1_16block_id_wrapperIjLb1EEEEE10hipError_tT1_PNSt15iterator_traitsISN_E10value_typeET2_T3_PNSO_IST_E10value_typeET4_T5_PSY_SZ_PNS1_23onesweep_lookback_stateEbbT6_jjT7_P12ihipStream_tbENKUlT_T0_SN_SS_E_clISG_SG_SI_SI_EEDaS16_S17_SN_SS_EUlS16_E_NS1_11comp_targetILNS1_3genE6ELNS1_11target_archE950ELNS1_3gpuE13ELNS1_3repE0EEENS1_47radix_sort_onesweep_sort_config_static_selectorELNS0_4arch9wavefront6targetE0EEEvSN_
; %bb.0:
	.section	.rodata,"a",@progbits
	.p2align	6, 0x0
	.amdhsa_kernel _ZN7rocprim17ROCPRIM_400000_NS6detail17trampoline_kernelINS0_14default_configENS1_35radix_sort_onesweep_config_selectorIjN6thrust23THRUST_200600_302600_NS5tupleIffNS6_9null_typeES8_S8_S8_S8_S8_S8_S8_EEEEZZNS1_29radix_sort_onesweep_iterationIS3_Lb0ENS6_6detail15normal_iteratorINS6_10device_ptrIjEEEESG_NSD_INSE_IS9_EEEESI_jNS0_19identity_decomposerENS1_16block_id_wrapperIjLb1EEEEE10hipError_tT1_PNSt15iterator_traitsISN_E10value_typeET2_T3_PNSO_IST_E10value_typeET4_T5_PSY_SZ_PNS1_23onesweep_lookback_stateEbbT6_jjT7_P12ihipStream_tbENKUlT_T0_SN_SS_E_clISG_SG_SI_SI_EEDaS16_S17_SN_SS_EUlS16_E_NS1_11comp_targetILNS1_3genE6ELNS1_11target_archE950ELNS1_3gpuE13ELNS1_3repE0EEENS1_47radix_sort_onesweep_sort_config_static_selectorELNS0_4arch9wavefront6targetE0EEEvSN_
		.amdhsa_group_segment_fixed_size 0
		.amdhsa_private_segment_fixed_size 0
		.amdhsa_kernarg_size 88
		.amdhsa_user_sgpr_count 2
		.amdhsa_user_sgpr_dispatch_ptr 0
		.amdhsa_user_sgpr_queue_ptr 0
		.amdhsa_user_sgpr_kernarg_segment_ptr 1
		.amdhsa_user_sgpr_dispatch_id 0
		.amdhsa_user_sgpr_private_segment_size 0
		.amdhsa_wavefront_size32 1
		.amdhsa_uses_dynamic_stack 0
		.amdhsa_enable_private_segment 0
		.amdhsa_system_sgpr_workgroup_id_x 1
		.amdhsa_system_sgpr_workgroup_id_y 0
		.amdhsa_system_sgpr_workgroup_id_z 0
		.amdhsa_system_sgpr_workgroup_info 0
		.amdhsa_system_vgpr_workitem_id 0
		.amdhsa_next_free_vgpr 1
		.amdhsa_next_free_sgpr 1
		.amdhsa_reserve_vcc 0
		.amdhsa_float_round_mode_32 0
		.amdhsa_float_round_mode_16_64 0
		.amdhsa_float_denorm_mode_32 3
		.amdhsa_float_denorm_mode_16_64 3
		.amdhsa_fp16_overflow 0
		.amdhsa_workgroup_processor_mode 1
		.amdhsa_memory_ordered 1
		.amdhsa_forward_progress 1
		.amdhsa_inst_pref_size 0
		.amdhsa_round_robin_scheduling 0
		.amdhsa_exception_fp_ieee_invalid_op 0
		.amdhsa_exception_fp_denorm_src 0
		.amdhsa_exception_fp_ieee_div_zero 0
		.amdhsa_exception_fp_ieee_overflow 0
		.amdhsa_exception_fp_ieee_underflow 0
		.amdhsa_exception_fp_ieee_inexact 0
		.amdhsa_exception_int_div_zero 0
	.end_amdhsa_kernel
	.section	.text._ZN7rocprim17ROCPRIM_400000_NS6detail17trampoline_kernelINS0_14default_configENS1_35radix_sort_onesweep_config_selectorIjN6thrust23THRUST_200600_302600_NS5tupleIffNS6_9null_typeES8_S8_S8_S8_S8_S8_S8_EEEEZZNS1_29radix_sort_onesweep_iterationIS3_Lb0ENS6_6detail15normal_iteratorINS6_10device_ptrIjEEEESG_NSD_INSE_IS9_EEEESI_jNS0_19identity_decomposerENS1_16block_id_wrapperIjLb1EEEEE10hipError_tT1_PNSt15iterator_traitsISN_E10value_typeET2_T3_PNSO_IST_E10value_typeET4_T5_PSY_SZ_PNS1_23onesweep_lookback_stateEbbT6_jjT7_P12ihipStream_tbENKUlT_T0_SN_SS_E_clISG_SG_SI_SI_EEDaS16_S17_SN_SS_EUlS16_E_NS1_11comp_targetILNS1_3genE6ELNS1_11target_archE950ELNS1_3gpuE13ELNS1_3repE0EEENS1_47radix_sort_onesweep_sort_config_static_selectorELNS0_4arch9wavefront6targetE0EEEvSN_,"axG",@progbits,_ZN7rocprim17ROCPRIM_400000_NS6detail17trampoline_kernelINS0_14default_configENS1_35radix_sort_onesweep_config_selectorIjN6thrust23THRUST_200600_302600_NS5tupleIffNS6_9null_typeES8_S8_S8_S8_S8_S8_S8_EEEEZZNS1_29radix_sort_onesweep_iterationIS3_Lb0ENS6_6detail15normal_iteratorINS6_10device_ptrIjEEEESG_NSD_INSE_IS9_EEEESI_jNS0_19identity_decomposerENS1_16block_id_wrapperIjLb1EEEEE10hipError_tT1_PNSt15iterator_traitsISN_E10value_typeET2_T3_PNSO_IST_E10value_typeET4_T5_PSY_SZ_PNS1_23onesweep_lookback_stateEbbT6_jjT7_P12ihipStream_tbENKUlT_T0_SN_SS_E_clISG_SG_SI_SI_EEDaS16_S17_SN_SS_EUlS16_E_NS1_11comp_targetILNS1_3genE6ELNS1_11target_archE950ELNS1_3gpuE13ELNS1_3repE0EEENS1_47radix_sort_onesweep_sort_config_static_selectorELNS0_4arch9wavefront6targetE0EEEvSN_,comdat
.Lfunc_end176:
	.size	_ZN7rocprim17ROCPRIM_400000_NS6detail17trampoline_kernelINS0_14default_configENS1_35radix_sort_onesweep_config_selectorIjN6thrust23THRUST_200600_302600_NS5tupleIffNS6_9null_typeES8_S8_S8_S8_S8_S8_S8_EEEEZZNS1_29radix_sort_onesweep_iterationIS3_Lb0ENS6_6detail15normal_iteratorINS6_10device_ptrIjEEEESG_NSD_INSE_IS9_EEEESI_jNS0_19identity_decomposerENS1_16block_id_wrapperIjLb1EEEEE10hipError_tT1_PNSt15iterator_traitsISN_E10value_typeET2_T3_PNSO_IST_E10value_typeET4_T5_PSY_SZ_PNS1_23onesweep_lookback_stateEbbT6_jjT7_P12ihipStream_tbENKUlT_T0_SN_SS_E_clISG_SG_SI_SI_EEDaS16_S17_SN_SS_EUlS16_E_NS1_11comp_targetILNS1_3genE6ELNS1_11target_archE950ELNS1_3gpuE13ELNS1_3repE0EEENS1_47radix_sort_onesweep_sort_config_static_selectorELNS0_4arch9wavefront6targetE0EEEvSN_, .Lfunc_end176-_ZN7rocprim17ROCPRIM_400000_NS6detail17trampoline_kernelINS0_14default_configENS1_35radix_sort_onesweep_config_selectorIjN6thrust23THRUST_200600_302600_NS5tupleIffNS6_9null_typeES8_S8_S8_S8_S8_S8_S8_EEEEZZNS1_29radix_sort_onesweep_iterationIS3_Lb0ENS6_6detail15normal_iteratorINS6_10device_ptrIjEEEESG_NSD_INSE_IS9_EEEESI_jNS0_19identity_decomposerENS1_16block_id_wrapperIjLb1EEEEE10hipError_tT1_PNSt15iterator_traitsISN_E10value_typeET2_T3_PNSO_IST_E10value_typeET4_T5_PSY_SZ_PNS1_23onesweep_lookback_stateEbbT6_jjT7_P12ihipStream_tbENKUlT_T0_SN_SS_E_clISG_SG_SI_SI_EEDaS16_S17_SN_SS_EUlS16_E_NS1_11comp_targetILNS1_3genE6ELNS1_11target_archE950ELNS1_3gpuE13ELNS1_3repE0EEENS1_47radix_sort_onesweep_sort_config_static_selectorELNS0_4arch9wavefront6targetE0EEEvSN_
                                        ; -- End function
	.set _ZN7rocprim17ROCPRIM_400000_NS6detail17trampoline_kernelINS0_14default_configENS1_35radix_sort_onesweep_config_selectorIjN6thrust23THRUST_200600_302600_NS5tupleIffNS6_9null_typeES8_S8_S8_S8_S8_S8_S8_EEEEZZNS1_29radix_sort_onesweep_iterationIS3_Lb0ENS6_6detail15normal_iteratorINS6_10device_ptrIjEEEESG_NSD_INSE_IS9_EEEESI_jNS0_19identity_decomposerENS1_16block_id_wrapperIjLb1EEEEE10hipError_tT1_PNSt15iterator_traitsISN_E10value_typeET2_T3_PNSO_IST_E10value_typeET4_T5_PSY_SZ_PNS1_23onesweep_lookback_stateEbbT6_jjT7_P12ihipStream_tbENKUlT_T0_SN_SS_E_clISG_SG_SI_SI_EEDaS16_S17_SN_SS_EUlS16_E_NS1_11comp_targetILNS1_3genE6ELNS1_11target_archE950ELNS1_3gpuE13ELNS1_3repE0EEENS1_47radix_sort_onesweep_sort_config_static_selectorELNS0_4arch9wavefront6targetE0EEEvSN_.num_vgpr, 0
	.set _ZN7rocprim17ROCPRIM_400000_NS6detail17trampoline_kernelINS0_14default_configENS1_35radix_sort_onesweep_config_selectorIjN6thrust23THRUST_200600_302600_NS5tupleIffNS6_9null_typeES8_S8_S8_S8_S8_S8_S8_EEEEZZNS1_29radix_sort_onesweep_iterationIS3_Lb0ENS6_6detail15normal_iteratorINS6_10device_ptrIjEEEESG_NSD_INSE_IS9_EEEESI_jNS0_19identity_decomposerENS1_16block_id_wrapperIjLb1EEEEE10hipError_tT1_PNSt15iterator_traitsISN_E10value_typeET2_T3_PNSO_IST_E10value_typeET4_T5_PSY_SZ_PNS1_23onesweep_lookback_stateEbbT6_jjT7_P12ihipStream_tbENKUlT_T0_SN_SS_E_clISG_SG_SI_SI_EEDaS16_S17_SN_SS_EUlS16_E_NS1_11comp_targetILNS1_3genE6ELNS1_11target_archE950ELNS1_3gpuE13ELNS1_3repE0EEENS1_47radix_sort_onesweep_sort_config_static_selectorELNS0_4arch9wavefront6targetE0EEEvSN_.num_agpr, 0
	.set _ZN7rocprim17ROCPRIM_400000_NS6detail17trampoline_kernelINS0_14default_configENS1_35radix_sort_onesweep_config_selectorIjN6thrust23THRUST_200600_302600_NS5tupleIffNS6_9null_typeES8_S8_S8_S8_S8_S8_S8_EEEEZZNS1_29radix_sort_onesweep_iterationIS3_Lb0ENS6_6detail15normal_iteratorINS6_10device_ptrIjEEEESG_NSD_INSE_IS9_EEEESI_jNS0_19identity_decomposerENS1_16block_id_wrapperIjLb1EEEEE10hipError_tT1_PNSt15iterator_traitsISN_E10value_typeET2_T3_PNSO_IST_E10value_typeET4_T5_PSY_SZ_PNS1_23onesweep_lookback_stateEbbT6_jjT7_P12ihipStream_tbENKUlT_T0_SN_SS_E_clISG_SG_SI_SI_EEDaS16_S17_SN_SS_EUlS16_E_NS1_11comp_targetILNS1_3genE6ELNS1_11target_archE950ELNS1_3gpuE13ELNS1_3repE0EEENS1_47radix_sort_onesweep_sort_config_static_selectorELNS0_4arch9wavefront6targetE0EEEvSN_.numbered_sgpr, 0
	.set _ZN7rocprim17ROCPRIM_400000_NS6detail17trampoline_kernelINS0_14default_configENS1_35radix_sort_onesweep_config_selectorIjN6thrust23THRUST_200600_302600_NS5tupleIffNS6_9null_typeES8_S8_S8_S8_S8_S8_S8_EEEEZZNS1_29radix_sort_onesweep_iterationIS3_Lb0ENS6_6detail15normal_iteratorINS6_10device_ptrIjEEEESG_NSD_INSE_IS9_EEEESI_jNS0_19identity_decomposerENS1_16block_id_wrapperIjLb1EEEEE10hipError_tT1_PNSt15iterator_traitsISN_E10value_typeET2_T3_PNSO_IST_E10value_typeET4_T5_PSY_SZ_PNS1_23onesweep_lookback_stateEbbT6_jjT7_P12ihipStream_tbENKUlT_T0_SN_SS_E_clISG_SG_SI_SI_EEDaS16_S17_SN_SS_EUlS16_E_NS1_11comp_targetILNS1_3genE6ELNS1_11target_archE950ELNS1_3gpuE13ELNS1_3repE0EEENS1_47radix_sort_onesweep_sort_config_static_selectorELNS0_4arch9wavefront6targetE0EEEvSN_.num_named_barrier, 0
	.set _ZN7rocprim17ROCPRIM_400000_NS6detail17trampoline_kernelINS0_14default_configENS1_35radix_sort_onesweep_config_selectorIjN6thrust23THRUST_200600_302600_NS5tupleIffNS6_9null_typeES8_S8_S8_S8_S8_S8_S8_EEEEZZNS1_29radix_sort_onesweep_iterationIS3_Lb0ENS6_6detail15normal_iteratorINS6_10device_ptrIjEEEESG_NSD_INSE_IS9_EEEESI_jNS0_19identity_decomposerENS1_16block_id_wrapperIjLb1EEEEE10hipError_tT1_PNSt15iterator_traitsISN_E10value_typeET2_T3_PNSO_IST_E10value_typeET4_T5_PSY_SZ_PNS1_23onesweep_lookback_stateEbbT6_jjT7_P12ihipStream_tbENKUlT_T0_SN_SS_E_clISG_SG_SI_SI_EEDaS16_S17_SN_SS_EUlS16_E_NS1_11comp_targetILNS1_3genE6ELNS1_11target_archE950ELNS1_3gpuE13ELNS1_3repE0EEENS1_47radix_sort_onesweep_sort_config_static_selectorELNS0_4arch9wavefront6targetE0EEEvSN_.private_seg_size, 0
	.set _ZN7rocprim17ROCPRIM_400000_NS6detail17trampoline_kernelINS0_14default_configENS1_35radix_sort_onesweep_config_selectorIjN6thrust23THRUST_200600_302600_NS5tupleIffNS6_9null_typeES8_S8_S8_S8_S8_S8_S8_EEEEZZNS1_29radix_sort_onesweep_iterationIS3_Lb0ENS6_6detail15normal_iteratorINS6_10device_ptrIjEEEESG_NSD_INSE_IS9_EEEESI_jNS0_19identity_decomposerENS1_16block_id_wrapperIjLb1EEEEE10hipError_tT1_PNSt15iterator_traitsISN_E10value_typeET2_T3_PNSO_IST_E10value_typeET4_T5_PSY_SZ_PNS1_23onesweep_lookback_stateEbbT6_jjT7_P12ihipStream_tbENKUlT_T0_SN_SS_E_clISG_SG_SI_SI_EEDaS16_S17_SN_SS_EUlS16_E_NS1_11comp_targetILNS1_3genE6ELNS1_11target_archE950ELNS1_3gpuE13ELNS1_3repE0EEENS1_47radix_sort_onesweep_sort_config_static_selectorELNS0_4arch9wavefront6targetE0EEEvSN_.uses_vcc, 0
	.set _ZN7rocprim17ROCPRIM_400000_NS6detail17trampoline_kernelINS0_14default_configENS1_35radix_sort_onesweep_config_selectorIjN6thrust23THRUST_200600_302600_NS5tupleIffNS6_9null_typeES8_S8_S8_S8_S8_S8_S8_EEEEZZNS1_29radix_sort_onesweep_iterationIS3_Lb0ENS6_6detail15normal_iteratorINS6_10device_ptrIjEEEESG_NSD_INSE_IS9_EEEESI_jNS0_19identity_decomposerENS1_16block_id_wrapperIjLb1EEEEE10hipError_tT1_PNSt15iterator_traitsISN_E10value_typeET2_T3_PNSO_IST_E10value_typeET4_T5_PSY_SZ_PNS1_23onesweep_lookback_stateEbbT6_jjT7_P12ihipStream_tbENKUlT_T0_SN_SS_E_clISG_SG_SI_SI_EEDaS16_S17_SN_SS_EUlS16_E_NS1_11comp_targetILNS1_3genE6ELNS1_11target_archE950ELNS1_3gpuE13ELNS1_3repE0EEENS1_47radix_sort_onesweep_sort_config_static_selectorELNS0_4arch9wavefront6targetE0EEEvSN_.uses_flat_scratch, 0
	.set _ZN7rocprim17ROCPRIM_400000_NS6detail17trampoline_kernelINS0_14default_configENS1_35radix_sort_onesweep_config_selectorIjN6thrust23THRUST_200600_302600_NS5tupleIffNS6_9null_typeES8_S8_S8_S8_S8_S8_S8_EEEEZZNS1_29radix_sort_onesweep_iterationIS3_Lb0ENS6_6detail15normal_iteratorINS6_10device_ptrIjEEEESG_NSD_INSE_IS9_EEEESI_jNS0_19identity_decomposerENS1_16block_id_wrapperIjLb1EEEEE10hipError_tT1_PNSt15iterator_traitsISN_E10value_typeET2_T3_PNSO_IST_E10value_typeET4_T5_PSY_SZ_PNS1_23onesweep_lookback_stateEbbT6_jjT7_P12ihipStream_tbENKUlT_T0_SN_SS_E_clISG_SG_SI_SI_EEDaS16_S17_SN_SS_EUlS16_E_NS1_11comp_targetILNS1_3genE6ELNS1_11target_archE950ELNS1_3gpuE13ELNS1_3repE0EEENS1_47radix_sort_onesweep_sort_config_static_selectorELNS0_4arch9wavefront6targetE0EEEvSN_.has_dyn_sized_stack, 0
	.set _ZN7rocprim17ROCPRIM_400000_NS6detail17trampoline_kernelINS0_14default_configENS1_35radix_sort_onesweep_config_selectorIjN6thrust23THRUST_200600_302600_NS5tupleIffNS6_9null_typeES8_S8_S8_S8_S8_S8_S8_EEEEZZNS1_29radix_sort_onesweep_iterationIS3_Lb0ENS6_6detail15normal_iteratorINS6_10device_ptrIjEEEESG_NSD_INSE_IS9_EEEESI_jNS0_19identity_decomposerENS1_16block_id_wrapperIjLb1EEEEE10hipError_tT1_PNSt15iterator_traitsISN_E10value_typeET2_T3_PNSO_IST_E10value_typeET4_T5_PSY_SZ_PNS1_23onesweep_lookback_stateEbbT6_jjT7_P12ihipStream_tbENKUlT_T0_SN_SS_E_clISG_SG_SI_SI_EEDaS16_S17_SN_SS_EUlS16_E_NS1_11comp_targetILNS1_3genE6ELNS1_11target_archE950ELNS1_3gpuE13ELNS1_3repE0EEENS1_47radix_sort_onesweep_sort_config_static_selectorELNS0_4arch9wavefront6targetE0EEEvSN_.has_recursion, 0
	.set _ZN7rocprim17ROCPRIM_400000_NS6detail17trampoline_kernelINS0_14default_configENS1_35radix_sort_onesweep_config_selectorIjN6thrust23THRUST_200600_302600_NS5tupleIffNS6_9null_typeES8_S8_S8_S8_S8_S8_S8_EEEEZZNS1_29radix_sort_onesweep_iterationIS3_Lb0ENS6_6detail15normal_iteratorINS6_10device_ptrIjEEEESG_NSD_INSE_IS9_EEEESI_jNS0_19identity_decomposerENS1_16block_id_wrapperIjLb1EEEEE10hipError_tT1_PNSt15iterator_traitsISN_E10value_typeET2_T3_PNSO_IST_E10value_typeET4_T5_PSY_SZ_PNS1_23onesweep_lookback_stateEbbT6_jjT7_P12ihipStream_tbENKUlT_T0_SN_SS_E_clISG_SG_SI_SI_EEDaS16_S17_SN_SS_EUlS16_E_NS1_11comp_targetILNS1_3genE6ELNS1_11target_archE950ELNS1_3gpuE13ELNS1_3repE0EEENS1_47radix_sort_onesweep_sort_config_static_selectorELNS0_4arch9wavefront6targetE0EEEvSN_.has_indirect_call, 0
	.section	.AMDGPU.csdata,"",@progbits
; Kernel info:
; codeLenInByte = 0
; TotalNumSgprs: 0
; NumVgprs: 0
; ScratchSize: 0
; MemoryBound: 0
; FloatMode: 240
; IeeeMode: 1
; LDSByteSize: 0 bytes/workgroup (compile time only)
; SGPRBlocks: 0
; VGPRBlocks: 0
; NumSGPRsForWavesPerEU: 1
; NumVGPRsForWavesPerEU: 1
; Occupancy: 16
; WaveLimiterHint : 0
; COMPUTE_PGM_RSRC2:SCRATCH_EN: 0
; COMPUTE_PGM_RSRC2:USER_SGPR: 2
; COMPUTE_PGM_RSRC2:TRAP_HANDLER: 0
; COMPUTE_PGM_RSRC2:TGID_X_EN: 1
; COMPUTE_PGM_RSRC2:TGID_Y_EN: 0
; COMPUTE_PGM_RSRC2:TGID_Z_EN: 0
; COMPUTE_PGM_RSRC2:TIDIG_COMP_CNT: 0
	.section	.text._ZN7rocprim17ROCPRIM_400000_NS6detail17trampoline_kernelINS0_14default_configENS1_35radix_sort_onesweep_config_selectorIjN6thrust23THRUST_200600_302600_NS5tupleIffNS6_9null_typeES8_S8_S8_S8_S8_S8_S8_EEEEZZNS1_29radix_sort_onesweep_iterationIS3_Lb0ENS6_6detail15normal_iteratorINS6_10device_ptrIjEEEESG_NSD_INSE_IS9_EEEESI_jNS0_19identity_decomposerENS1_16block_id_wrapperIjLb1EEEEE10hipError_tT1_PNSt15iterator_traitsISN_E10value_typeET2_T3_PNSO_IST_E10value_typeET4_T5_PSY_SZ_PNS1_23onesweep_lookback_stateEbbT6_jjT7_P12ihipStream_tbENKUlT_T0_SN_SS_E_clISG_SG_SI_SI_EEDaS16_S17_SN_SS_EUlS16_E_NS1_11comp_targetILNS1_3genE5ELNS1_11target_archE942ELNS1_3gpuE9ELNS1_3repE0EEENS1_47radix_sort_onesweep_sort_config_static_selectorELNS0_4arch9wavefront6targetE0EEEvSN_,"axG",@progbits,_ZN7rocprim17ROCPRIM_400000_NS6detail17trampoline_kernelINS0_14default_configENS1_35radix_sort_onesweep_config_selectorIjN6thrust23THRUST_200600_302600_NS5tupleIffNS6_9null_typeES8_S8_S8_S8_S8_S8_S8_EEEEZZNS1_29radix_sort_onesweep_iterationIS3_Lb0ENS6_6detail15normal_iteratorINS6_10device_ptrIjEEEESG_NSD_INSE_IS9_EEEESI_jNS0_19identity_decomposerENS1_16block_id_wrapperIjLb1EEEEE10hipError_tT1_PNSt15iterator_traitsISN_E10value_typeET2_T3_PNSO_IST_E10value_typeET4_T5_PSY_SZ_PNS1_23onesweep_lookback_stateEbbT6_jjT7_P12ihipStream_tbENKUlT_T0_SN_SS_E_clISG_SG_SI_SI_EEDaS16_S17_SN_SS_EUlS16_E_NS1_11comp_targetILNS1_3genE5ELNS1_11target_archE942ELNS1_3gpuE9ELNS1_3repE0EEENS1_47radix_sort_onesweep_sort_config_static_selectorELNS0_4arch9wavefront6targetE0EEEvSN_,comdat
	.protected	_ZN7rocprim17ROCPRIM_400000_NS6detail17trampoline_kernelINS0_14default_configENS1_35radix_sort_onesweep_config_selectorIjN6thrust23THRUST_200600_302600_NS5tupleIffNS6_9null_typeES8_S8_S8_S8_S8_S8_S8_EEEEZZNS1_29radix_sort_onesweep_iterationIS3_Lb0ENS6_6detail15normal_iteratorINS6_10device_ptrIjEEEESG_NSD_INSE_IS9_EEEESI_jNS0_19identity_decomposerENS1_16block_id_wrapperIjLb1EEEEE10hipError_tT1_PNSt15iterator_traitsISN_E10value_typeET2_T3_PNSO_IST_E10value_typeET4_T5_PSY_SZ_PNS1_23onesweep_lookback_stateEbbT6_jjT7_P12ihipStream_tbENKUlT_T0_SN_SS_E_clISG_SG_SI_SI_EEDaS16_S17_SN_SS_EUlS16_E_NS1_11comp_targetILNS1_3genE5ELNS1_11target_archE942ELNS1_3gpuE9ELNS1_3repE0EEENS1_47radix_sort_onesweep_sort_config_static_selectorELNS0_4arch9wavefront6targetE0EEEvSN_ ; -- Begin function _ZN7rocprim17ROCPRIM_400000_NS6detail17trampoline_kernelINS0_14default_configENS1_35radix_sort_onesweep_config_selectorIjN6thrust23THRUST_200600_302600_NS5tupleIffNS6_9null_typeES8_S8_S8_S8_S8_S8_S8_EEEEZZNS1_29radix_sort_onesweep_iterationIS3_Lb0ENS6_6detail15normal_iteratorINS6_10device_ptrIjEEEESG_NSD_INSE_IS9_EEEESI_jNS0_19identity_decomposerENS1_16block_id_wrapperIjLb1EEEEE10hipError_tT1_PNSt15iterator_traitsISN_E10value_typeET2_T3_PNSO_IST_E10value_typeET4_T5_PSY_SZ_PNS1_23onesweep_lookback_stateEbbT6_jjT7_P12ihipStream_tbENKUlT_T0_SN_SS_E_clISG_SG_SI_SI_EEDaS16_S17_SN_SS_EUlS16_E_NS1_11comp_targetILNS1_3genE5ELNS1_11target_archE942ELNS1_3gpuE9ELNS1_3repE0EEENS1_47radix_sort_onesweep_sort_config_static_selectorELNS0_4arch9wavefront6targetE0EEEvSN_
	.globl	_ZN7rocprim17ROCPRIM_400000_NS6detail17trampoline_kernelINS0_14default_configENS1_35radix_sort_onesweep_config_selectorIjN6thrust23THRUST_200600_302600_NS5tupleIffNS6_9null_typeES8_S8_S8_S8_S8_S8_S8_EEEEZZNS1_29radix_sort_onesweep_iterationIS3_Lb0ENS6_6detail15normal_iteratorINS6_10device_ptrIjEEEESG_NSD_INSE_IS9_EEEESI_jNS0_19identity_decomposerENS1_16block_id_wrapperIjLb1EEEEE10hipError_tT1_PNSt15iterator_traitsISN_E10value_typeET2_T3_PNSO_IST_E10value_typeET4_T5_PSY_SZ_PNS1_23onesweep_lookback_stateEbbT6_jjT7_P12ihipStream_tbENKUlT_T0_SN_SS_E_clISG_SG_SI_SI_EEDaS16_S17_SN_SS_EUlS16_E_NS1_11comp_targetILNS1_3genE5ELNS1_11target_archE942ELNS1_3gpuE9ELNS1_3repE0EEENS1_47radix_sort_onesweep_sort_config_static_selectorELNS0_4arch9wavefront6targetE0EEEvSN_
	.p2align	8
	.type	_ZN7rocprim17ROCPRIM_400000_NS6detail17trampoline_kernelINS0_14default_configENS1_35radix_sort_onesweep_config_selectorIjN6thrust23THRUST_200600_302600_NS5tupleIffNS6_9null_typeES8_S8_S8_S8_S8_S8_S8_EEEEZZNS1_29radix_sort_onesweep_iterationIS3_Lb0ENS6_6detail15normal_iteratorINS6_10device_ptrIjEEEESG_NSD_INSE_IS9_EEEESI_jNS0_19identity_decomposerENS1_16block_id_wrapperIjLb1EEEEE10hipError_tT1_PNSt15iterator_traitsISN_E10value_typeET2_T3_PNSO_IST_E10value_typeET4_T5_PSY_SZ_PNS1_23onesweep_lookback_stateEbbT6_jjT7_P12ihipStream_tbENKUlT_T0_SN_SS_E_clISG_SG_SI_SI_EEDaS16_S17_SN_SS_EUlS16_E_NS1_11comp_targetILNS1_3genE5ELNS1_11target_archE942ELNS1_3gpuE9ELNS1_3repE0EEENS1_47radix_sort_onesweep_sort_config_static_selectorELNS0_4arch9wavefront6targetE0EEEvSN_,@function
_ZN7rocprim17ROCPRIM_400000_NS6detail17trampoline_kernelINS0_14default_configENS1_35radix_sort_onesweep_config_selectorIjN6thrust23THRUST_200600_302600_NS5tupleIffNS6_9null_typeES8_S8_S8_S8_S8_S8_S8_EEEEZZNS1_29radix_sort_onesweep_iterationIS3_Lb0ENS6_6detail15normal_iteratorINS6_10device_ptrIjEEEESG_NSD_INSE_IS9_EEEESI_jNS0_19identity_decomposerENS1_16block_id_wrapperIjLb1EEEEE10hipError_tT1_PNSt15iterator_traitsISN_E10value_typeET2_T3_PNSO_IST_E10value_typeET4_T5_PSY_SZ_PNS1_23onesweep_lookback_stateEbbT6_jjT7_P12ihipStream_tbENKUlT_T0_SN_SS_E_clISG_SG_SI_SI_EEDaS16_S17_SN_SS_EUlS16_E_NS1_11comp_targetILNS1_3genE5ELNS1_11target_archE942ELNS1_3gpuE9ELNS1_3repE0EEENS1_47radix_sort_onesweep_sort_config_static_selectorELNS0_4arch9wavefront6targetE0EEEvSN_: ; @_ZN7rocprim17ROCPRIM_400000_NS6detail17trampoline_kernelINS0_14default_configENS1_35radix_sort_onesweep_config_selectorIjN6thrust23THRUST_200600_302600_NS5tupleIffNS6_9null_typeES8_S8_S8_S8_S8_S8_S8_EEEEZZNS1_29radix_sort_onesweep_iterationIS3_Lb0ENS6_6detail15normal_iteratorINS6_10device_ptrIjEEEESG_NSD_INSE_IS9_EEEESI_jNS0_19identity_decomposerENS1_16block_id_wrapperIjLb1EEEEE10hipError_tT1_PNSt15iterator_traitsISN_E10value_typeET2_T3_PNSO_IST_E10value_typeET4_T5_PSY_SZ_PNS1_23onesweep_lookback_stateEbbT6_jjT7_P12ihipStream_tbENKUlT_T0_SN_SS_E_clISG_SG_SI_SI_EEDaS16_S17_SN_SS_EUlS16_E_NS1_11comp_targetILNS1_3genE5ELNS1_11target_archE942ELNS1_3gpuE9ELNS1_3repE0EEENS1_47radix_sort_onesweep_sort_config_static_selectorELNS0_4arch9wavefront6targetE0EEEvSN_
; %bb.0:
	.section	.rodata,"a",@progbits
	.p2align	6, 0x0
	.amdhsa_kernel _ZN7rocprim17ROCPRIM_400000_NS6detail17trampoline_kernelINS0_14default_configENS1_35radix_sort_onesweep_config_selectorIjN6thrust23THRUST_200600_302600_NS5tupleIffNS6_9null_typeES8_S8_S8_S8_S8_S8_S8_EEEEZZNS1_29radix_sort_onesweep_iterationIS3_Lb0ENS6_6detail15normal_iteratorINS6_10device_ptrIjEEEESG_NSD_INSE_IS9_EEEESI_jNS0_19identity_decomposerENS1_16block_id_wrapperIjLb1EEEEE10hipError_tT1_PNSt15iterator_traitsISN_E10value_typeET2_T3_PNSO_IST_E10value_typeET4_T5_PSY_SZ_PNS1_23onesweep_lookback_stateEbbT6_jjT7_P12ihipStream_tbENKUlT_T0_SN_SS_E_clISG_SG_SI_SI_EEDaS16_S17_SN_SS_EUlS16_E_NS1_11comp_targetILNS1_3genE5ELNS1_11target_archE942ELNS1_3gpuE9ELNS1_3repE0EEENS1_47radix_sort_onesweep_sort_config_static_selectorELNS0_4arch9wavefront6targetE0EEEvSN_
		.amdhsa_group_segment_fixed_size 0
		.amdhsa_private_segment_fixed_size 0
		.amdhsa_kernarg_size 88
		.amdhsa_user_sgpr_count 2
		.amdhsa_user_sgpr_dispatch_ptr 0
		.amdhsa_user_sgpr_queue_ptr 0
		.amdhsa_user_sgpr_kernarg_segment_ptr 1
		.amdhsa_user_sgpr_dispatch_id 0
		.amdhsa_user_sgpr_private_segment_size 0
		.amdhsa_wavefront_size32 1
		.amdhsa_uses_dynamic_stack 0
		.amdhsa_enable_private_segment 0
		.amdhsa_system_sgpr_workgroup_id_x 1
		.amdhsa_system_sgpr_workgroup_id_y 0
		.amdhsa_system_sgpr_workgroup_id_z 0
		.amdhsa_system_sgpr_workgroup_info 0
		.amdhsa_system_vgpr_workitem_id 0
		.amdhsa_next_free_vgpr 1
		.amdhsa_next_free_sgpr 1
		.amdhsa_reserve_vcc 0
		.amdhsa_float_round_mode_32 0
		.amdhsa_float_round_mode_16_64 0
		.amdhsa_float_denorm_mode_32 3
		.amdhsa_float_denorm_mode_16_64 3
		.amdhsa_fp16_overflow 0
		.amdhsa_workgroup_processor_mode 1
		.amdhsa_memory_ordered 1
		.amdhsa_forward_progress 1
		.amdhsa_inst_pref_size 0
		.amdhsa_round_robin_scheduling 0
		.amdhsa_exception_fp_ieee_invalid_op 0
		.amdhsa_exception_fp_denorm_src 0
		.amdhsa_exception_fp_ieee_div_zero 0
		.amdhsa_exception_fp_ieee_overflow 0
		.amdhsa_exception_fp_ieee_underflow 0
		.amdhsa_exception_fp_ieee_inexact 0
		.amdhsa_exception_int_div_zero 0
	.end_amdhsa_kernel
	.section	.text._ZN7rocprim17ROCPRIM_400000_NS6detail17trampoline_kernelINS0_14default_configENS1_35radix_sort_onesweep_config_selectorIjN6thrust23THRUST_200600_302600_NS5tupleIffNS6_9null_typeES8_S8_S8_S8_S8_S8_S8_EEEEZZNS1_29radix_sort_onesweep_iterationIS3_Lb0ENS6_6detail15normal_iteratorINS6_10device_ptrIjEEEESG_NSD_INSE_IS9_EEEESI_jNS0_19identity_decomposerENS1_16block_id_wrapperIjLb1EEEEE10hipError_tT1_PNSt15iterator_traitsISN_E10value_typeET2_T3_PNSO_IST_E10value_typeET4_T5_PSY_SZ_PNS1_23onesweep_lookback_stateEbbT6_jjT7_P12ihipStream_tbENKUlT_T0_SN_SS_E_clISG_SG_SI_SI_EEDaS16_S17_SN_SS_EUlS16_E_NS1_11comp_targetILNS1_3genE5ELNS1_11target_archE942ELNS1_3gpuE9ELNS1_3repE0EEENS1_47radix_sort_onesweep_sort_config_static_selectorELNS0_4arch9wavefront6targetE0EEEvSN_,"axG",@progbits,_ZN7rocprim17ROCPRIM_400000_NS6detail17trampoline_kernelINS0_14default_configENS1_35radix_sort_onesweep_config_selectorIjN6thrust23THRUST_200600_302600_NS5tupleIffNS6_9null_typeES8_S8_S8_S8_S8_S8_S8_EEEEZZNS1_29radix_sort_onesweep_iterationIS3_Lb0ENS6_6detail15normal_iteratorINS6_10device_ptrIjEEEESG_NSD_INSE_IS9_EEEESI_jNS0_19identity_decomposerENS1_16block_id_wrapperIjLb1EEEEE10hipError_tT1_PNSt15iterator_traitsISN_E10value_typeET2_T3_PNSO_IST_E10value_typeET4_T5_PSY_SZ_PNS1_23onesweep_lookback_stateEbbT6_jjT7_P12ihipStream_tbENKUlT_T0_SN_SS_E_clISG_SG_SI_SI_EEDaS16_S17_SN_SS_EUlS16_E_NS1_11comp_targetILNS1_3genE5ELNS1_11target_archE942ELNS1_3gpuE9ELNS1_3repE0EEENS1_47radix_sort_onesweep_sort_config_static_selectorELNS0_4arch9wavefront6targetE0EEEvSN_,comdat
.Lfunc_end177:
	.size	_ZN7rocprim17ROCPRIM_400000_NS6detail17trampoline_kernelINS0_14default_configENS1_35radix_sort_onesweep_config_selectorIjN6thrust23THRUST_200600_302600_NS5tupleIffNS6_9null_typeES8_S8_S8_S8_S8_S8_S8_EEEEZZNS1_29radix_sort_onesweep_iterationIS3_Lb0ENS6_6detail15normal_iteratorINS6_10device_ptrIjEEEESG_NSD_INSE_IS9_EEEESI_jNS0_19identity_decomposerENS1_16block_id_wrapperIjLb1EEEEE10hipError_tT1_PNSt15iterator_traitsISN_E10value_typeET2_T3_PNSO_IST_E10value_typeET4_T5_PSY_SZ_PNS1_23onesweep_lookback_stateEbbT6_jjT7_P12ihipStream_tbENKUlT_T0_SN_SS_E_clISG_SG_SI_SI_EEDaS16_S17_SN_SS_EUlS16_E_NS1_11comp_targetILNS1_3genE5ELNS1_11target_archE942ELNS1_3gpuE9ELNS1_3repE0EEENS1_47radix_sort_onesweep_sort_config_static_selectorELNS0_4arch9wavefront6targetE0EEEvSN_, .Lfunc_end177-_ZN7rocprim17ROCPRIM_400000_NS6detail17trampoline_kernelINS0_14default_configENS1_35radix_sort_onesweep_config_selectorIjN6thrust23THRUST_200600_302600_NS5tupleIffNS6_9null_typeES8_S8_S8_S8_S8_S8_S8_EEEEZZNS1_29radix_sort_onesweep_iterationIS3_Lb0ENS6_6detail15normal_iteratorINS6_10device_ptrIjEEEESG_NSD_INSE_IS9_EEEESI_jNS0_19identity_decomposerENS1_16block_id_wrapperIjLb1EEEEE10hipError_tT1_PNSt15iterator_traitsISN_E10value_typeET2_T3_PNSO_IST_E10value_typeET4_T5_PSY_SZ_PNS1_23onesweep_lookback_stateEbbT6_jjT7_P12ihipStream_tbENKUlT_T0_SN_SS_E_clISG_SG_SI_SI_EEDaS16_S17_SN_SS_EUlS16_E_NS1_11comp_targetILNS1_3genE5ELNS1_11target_archE942ELNS1_3gpuE9ELNS1_3repE0EEENS1_47radix_sort_onesweep_sort_config_static_selectorELNS0_4arch9wavefront6targetE0EEEvSN_
                                        ; -- End function
	.set _ZN7rocprim17ROCPRIM_400000_NS6detail17trampoline_kernelINS0_14default_configENS1_35radix_sort_onesweep_config_selectorIjN6thrust23THRUST_200600_302600_NS5tupleIffNS6_9null_typeES8_S8_S8_S8_S8_S8_S8_EEEEZZNS1_29radix_sort_onesweep_iterationIS3_Lb0ENS6_6detail15normal_iteratorINS6_10device_ptrIjEEEESG_NSD_INSE_IS9_EEEESI_jNS0_19identity_decomposerENS1_16block_id_wrapperIjLb1EEEEE10hipError_tT1_PNSt15iterator_traitsISN_E10value_typeET2_T3_PNSO_IST_E10value_typeET4_T5_PSY_SZ_PNS1_23onesweep_lookback_stateEbbT6_jjT7_P12ihipStream_tbENKUlT_T0_SN_SS_E_clISG_SG_SI_SI_EEDaS16_S17_SN_SS_EUlS16_E_NS1_11comp_targetILNS1_3genE5ELNS1_11target_archE942ELNS1_3gpuE9ELNS1_3repE0EEENS1_47radix_sort_onesweep_sort_config_static_selectorELNS0_4arch9wavefront6targetE0EEEvSN_.num_vgpr, 0
	.set _ZN7rocprim17ROCPRIM_400000_NS6detail17trampoline_kernelINS0_14default_configENS1_35radix_sort_onesweep_config_selectorIjN6thrust23THRUST_200600_302600_NS5tupleIffNS6_9null_typeES8_S8_S8_S8_S8_S8_S8_EEEEZZNS1_29radix_sort_onesweep_iterationIS3_Lb0ENS6_6detail15normal_iteratorINS6_10device_ptrIjEEEESG_NSD_INSE_IS9_EEEESI_jNS0_19identity_decomposerENS1_16block_id_wrapperIjLb1EEEEE10hipError_tT1_PNSt15iterator_traitsISN_E10value_typeET2_T3_PNSO_IST_E10value_typeET4_T5_PSY_SZ_PNS1_23onesweep_lookback_stateEbbT6_jjT7_P12ihipStream_tbENKUlT_T0_SN_SS_E_clISG_SG_SI_SI_EEDaS16_S17_SN_SS_EUlS16_E_NS1_11comp_targetILNS1_3genE5ELNS1_11target_archE942ELNS1_3gpuE9ELNS1_3repE0EEENS1_47radix_sort_onesweep_sort_config_static_selectorELNS0_4arch9wavefront6targetE0EEEvSN_.num_agpr, 0
	.set _ZN7rocprim17ROCPRIM_400000_NS6detail17trampoline_kernelINS0_14default_configENS1_35radix_sort_onesweep_config_selectorIjN6thrust23THRUST_200600_302600_NS5tupleIffNS6_9null_typeES8_S8_S8_S8_S8_S8_S8_EEEEZZNS1_29radix_sort_onesweep_iterationIS3_Lb0ENS6_6detail15normal_iteratorINS6_10device_ptrIjEEEESG_NSD_INSE_IS9_EEEESI_jNS0_19identity_decomposerENS1_16block_id_wrapperIjLb1EEEEE10hipError_tT1_PNSt15iterator_traitsISN_E10value_typeET2_T3_PNSO_IST_E10value_typeET4_T5_PSY_SZ_PNS1_23onesweep_lookback_stateEbbT6_jjT7_P12ihipStream_tbENKUlT_T0_SN_SS_E_clISG_SG_SI_SI_EEDaS16_S17_SN_SS_EUlS16_E_NS1_11comp_targetILNS1_3genE5ELNS1_11target_archE942ELNS1_3gpuE9ELNS1_3repE0EEENS1_47radix_sort_onesweep_sort_config_static_selectorELNS0_4arch9wavefront6targetE0EEEvSN_.numbered_sgpr, 0
	.set _ZN7rocprim17ROCPRIM_400000_NS6detail17trampoline_kernelINS0_14default_configENS1_35radix_sort_onesweep_config_selectorIjN6thrust23THRUST_200600_302600_NS5tupleIffNS6_9null_typeES8_S8_S8_S8_S8_S8_S8_EEEEZZNS1_29radix_sort_onesweep_iterationIS3_Lb0ENS6_6detail15normal_iteratorINS6_10device_ptrIjEEEESG_NSD_INSE_IS9_EEEESI_jNS0_19identity_decomposerENS1_16block_id_wrapperIjLb1EEEEE10hipError_tT1_PNSt15iterator_traitsISN_E10value_typeET2_T3_PNSO_IST_E10value_typeET4_T5_PSY_SZ_PNS1_23onesweep_lookback_stateEbbT6_jjT7_P12ihipStream_tbENKUlT_T0_SN_SS_E_clISG_SG_SI_SI_EEDaS16_S17_SN_SS_EUlS16_E_NS1_11comp_targetILNS1_3genE5ELNS1_11target_archE942ELNS1_3gpuE9ELNS1_3repE0EEENS1_47radix_sort_onesweep_sort_config_static_selectorELNS0_4arch9wavefront6targetE0EEEvSN_.num_named_barrier, 0
	.set _ZN7rocprim17ROCPRIM_400000_NS6detail17trampoline_kernelINS0_14default_configENS1_35radix_sort_onesweep_config_selectorIjN6thrust23THRUST_200600_302600_NS5tupleIffNS6_9null_typeES8_S8_S8_S8_S8_S8_S8_EEEEZZNS1_29radix_sort_onesweep_iterationIS3_Lb0ENS6_6detail15normal_iteratorINS6_10device_ptrIjEEEESG_NSD_INSE_IS9_EEEESI_jNS0_19identity_decomposerENS1_16block_id_wrapperIjLb1EEEEE10hipError_tT1_PNSt15iterator_traitsISN_E10value_typeET2_T3_PNSO_IST_E10value_typeET4_T5_PSY_SZ_PNS1_23onesweep_lookback_stateEbbT6_jjT7_P12ihipStream_tbENKUlT_T0_SN_SS_E_clISG_SG_SI_SI_EEDaS16_S17_SN_SS_EUlS16_E_NS1_11comp_targetILNS1_3genE5ELNS1_11target_archE942ELNS1_3gpuE9ELNS1_3repE0EEENS1_47radix_sort_onesweep_sort_config_static_selectorELNS0_4arch9wavefront6targetE0EEEvSN_.private_seg_size, 0
	.set _ZN7rocprim17ROCPRIM_400000_NS6detail17trampoline_kernelINS0_14default_configENS1_35radix_sort_onesweep_config_selectorIjN6thrust23THRUST_200600_302600_NS5tupleIffNS6_9null_typeES8_S8_S8_S8_S8_S8_S8_EEEEZZNS1_29radix_sort_onesweep_iterationIS3_Lb0ENS6_6detail15normal_iteratorINS6_10device_ptrIjEEEESG_NSD_INSE_IS9_EEEESI_jNS0_19identity_decomposerENS1_16block_id_wrapperIjLb1EEEEE10hipError_tT1_PNSt15iterator_traitsISN_E10value_typeET2_T3_PNSO_IST_E10value_typeET4_T5_PSY_SZ_PNS1_23onesweep_lookback_stateEbbT6_jjT7_P12ihipStream_tbENKUlT_T0_SN_SS_E_clISG_SG_SI_SI_EEDaS16_S17_SN_SS_EUlS16_E_NS1_11comp_targetILNS1_3genE5ELNS1_11target_archE942ELNS1_3gpuE9ELNS1_3repE0EEENS1_47radix_sort_onesweep_sort_config_static_selectorELNS0_4arch9wavefront6targetE0EEEvSN_.uses_vcc, 0
	.set _ZN7rocprim17ROCPRIM_400000_NS6detail17trampoline_kernelINS0_14default_configENS1_35radix_sort_onesweep_config_selectorIjN6thrust23THRUST_200600_302600_NS5tupleIffNS6_9null_typeES8_S8_S8_S8_S8_S8_S8_EEEEZZNS1_29radix_sort_onesweep_iterationIS3_Lb0ENS6_6detail15normal_iteratorINS6_10device_ptrIjEEEESG_NSD_INSE_IS9_EEEESI_jNS0_19identity_decomposerENS1_16block_id_wrapperIjLb1EEEEE10hipError_tT1_PNSt15iterator_traitsISN_E10value_typeET2_T3_PNSO_IST_E10value_typeET4_T5_PSY_SZ_PNS1_23onesweep_lookback_stateEbbT6_jjT7_P12ihipStream_tbENKUlT_T0_SN_SS_E_clISG_SG_SI_SI_EEDaS16_S17_SN_SS_EUlS16_E_NS1_11comp_targetILNS1_3genE5ELNS1_11target_archE942ELNS1_3gpuE9ELNS1_3repE0EEENS1_47radix_sort_onesweep_sort_config_static_selectorELNS0_4arch9wavefront6targetE0EEEvSN_.uses_flat_scratch, 0
	.set _ZN7rocprim17ROCPRIM_400000_NS6detail17trampoline_kernelINS0_14default_configENS1_35radix_sort_onesweep_config_selectorIjN6thrust23THRUST_200600_302600_NS5tupleIffNS6_9null_typeES8_S8_S8_S8_S8_S8_S8_EEEEZZNS1_29radix_sort_onesweep_iterationIS3_Lb0ENS6_6detail15normal_iteratorINS6_10device_ptrIjEEEESG_NSD_INSE_IS9_EEEESI_jNS0_19identity_decomposerENS1_16block_id_wrapperIjLb1EEEEE10hipError_tT1_PNSt15iterator_traitsISN_E10value_typeET2_T3_PNSO_IST_E10value_typeET4_T5_PSY_SZ_PNS1_23onesweep_lookback_stateEbbT6_jjT7_P12ihipStream_tbENKUlT_T0_SN_SS_E_clISG_SG_SI_SI_EEDaS16_S17_SN_SS_EUlS16_E_NS1_11comp_targetILNS1_3genE5ELNS1_11target_archE942ELNS1_3gpuE9ELNS1_3repE0EEENS1_47radix_sort_onesweep_sort_config_static_selectorELNS0_4arch9wavefront6targetE0EEEvSN_.has_dyn_sized_stack, 0
	.set _ZN7rocprim17ROCPRIM_400000_NS6detail17trampoline_kernelINS0_14default_configENS1_35radix_sort_onesweep_config_selectorIjN6thrust23THRUST_200600_302600_NS5tupleIffNS6_9null_typeES8_S8_S8_S8_S8_S8_S8_EEEEZZNS1_29radix_sort_onesweep_iterationIS3_Lb0ENS6_6detail15normal_iteratorINS6_10device_ptrIjEEEESG_NSD_INSE_IS9_EEEESI_jNS0_19identity_decomposerENS1_16block_id_wrapperIjLb1EEEEE10hipError_tT1_PNSt15iterator_traitsISN_E10value_typeET2_T3_PNSO_IST_E10value_typeET4_T5_PSY_SZ_PNS1_23onesweep_lookback_stateEbbT6_jjT7_P12ihipStream_tbENKUlT_T0_SN_SS_E_clISG_SG_SI_SI_EEDaS16_S17_SN_SS_EUlS16_E_NS1_11comp_targetILNS1_3genE5ELNS1_11target_archE942ELNS1_3gpuE9ELNS1_3repE0EEENS1_47radix_sort_onesweep_sort_config_static_selectorELNS0_4arch9wavefront6targetE0EEEvSN_.has_recursion, 0
	.set _ZN7rocprim17ROCPRIM_400000_NS6detail17trampoline_kernelINS0_14default_configENS1_35radix_sort_onesweep_config_selectorIjN6thrust23THRUST_200600_302600_NS5tupleIffNS6_9null_typeES8_S8_S8_S8_S8_S8_S8_EEEEZZNS1_29radix_sort_onesweep_iterationIS3_Lb0ENS6_6detail15normal_iteratorINS6_10device_ptrIjEEEESG_NSD_INSE_IS9_EEEESI_jNS0_19identity_decomposerENS1_16block_id_wrapperIjLb1EEEEE10hipError_tT1_PNSt15iterator_traitsISN_E10value_typeET2_T3_PNSO_IST_E10value_typeET4_T5_PSY_SZ_PNS1_23onesweep_lookback_stateEbbT6_jjT7_P12ihipStream_tbENKUlT_T0_SN_SS_E_clISG_SG_SI_SI_EEDaS16_S17_SN_SS_EUlS16_E_NS1_11comp_targetILNS1_3genE5ELNS1_11target_archE942ELNS1_3gpuE9ELNS1_3repE0EEENS1_47radix_sort_onesweep_sort_config_static_selectorELNS0_4arch9wavefront6targetE0EEEvSN_.has_indirect_call, 0
	.section	.AMDGPU.csdata,"",@progbits
; Kernel info:
; codeLenInByte = 0
; TotalNumSgprs: 0
; NumVgprs: 0
; ScratchSize: 0
; MemoryBound: 0
; FloatMode: 240
; IeeeMode: 1
; LDSByteSize: 0 bytes/workgroup (compile time only)
; SGPRBlocks: 0
; VGPRBlocks: 0
; NumSGPRsForWavesPerEU: 1
; NumVGPRsForWavesPerEU: 1
; Occupancy: 16
; WaveLimiterHint : 0
; COMPUTE_PGM_RSRC2:SCRATCH_EN: 0
; COMPUTE_PGM_RSRC2:USER_SGPR: 2
; COMPUTE_PGM_RSRC2:TRAP_HANDLER: 0
; COMPUTE_PGM_RSRC2:TGID_X_EN: 1
; COMPUTE_PGM_RSRC2:TGID_Y_EN: 0
; COMPUTE_PGM_RSRC2:TGID_Z_EN: 0
; COMPUTE_PGM_RSRC2:TIDIG_COMP_CNT: 0
	.section	.text._ZN7rocprim17ROCPRIM_400000_NS6detail17trampoline_kernelINS0_14default_configENS1_35radix_sort_onesweep_config_selectorIjN6thrust23THRUST_200600_302600_NS5tupleIffNS6_9null_typeES8_S8_S8_S8_S8_S8_S8_EEEEZZNS1_29radix_sort_onesweep_iterationIS3_Lb0ENS6_6detail15normal_iteratorINS6_10device_ptrIjEEEESG_NSD_INSE_IS9_EEEESI_jNS0_19identity_decomposerENS1_16block_id_wrapperIjLb1EEEEE10hipError_tT1_PNSt15iterator_traitsISN_E10value_typeET2_T3_PNSO_IST_E10value_typeET4_T5_PSY_SZ_PNS1_23onesweep_lookback_stateEbbT6_jjT7_P12ihipStream_tbENKUlT_T0_SN_SS_E_clISG_SG_SI_SI_EEDaS16_S17_SN_SS_EUlS16_E_NS1_11comp_targetILNS1_3genE2ELNS1_11target_archE906ELNS1_3gpuE6ELNS1_3repE0EEENS1_47radix_sort_onesweep_sort_config_static_selectorELNS0_4arch9wavefront6targetE0EEEvSN_,"axG",@progbits,_ZN7rocprim17ROCPRIM_400000_NS6detail17trampoline_kernelINS0_14default_configENS1_35radix_sort_onesweep_config_selectorIjN6thrust23THRUST_200600_302600_NS5tupleIffNS6_9null_typeES8_S8_S8_S8_S8_S8_S8_EEEEZZNS1_29radix_sort_onesweep_iterationIS3_Lb0ENS6_6detail15normal_iteratorINS6_10device_ptrIjEEEESG_NSD_INSE_IS9_EEEESI_jNS0_19identity_decomposerENS1_16block_id_wrapperIjLb1EEEEE10hipError_tT1_PNSt15iterator_traitsISN_E10value_typeET2_T3_PNSO_IST_E10value_typeET4_T5_PSY_SZ_PNS1_23onesweep_lookback_stateEbbT6_jjT7_P12ihipStream_tbENKUlT_T0_SN_SS_E_clISG_SG_SI_SI_EEDaS16_S17_SN_SS_EUlS16_E_NS1_11comp_targetILNS1_3genE2ELNS1_11target_archE906ELNS1_3gpuE6ELNS1_3repE0EEENS1_47radix_sort_onesweep_sort_config_static_selectorELNS0_4arch9wavefront6targetE0EEEvSN_,comdat
	.protected	_ZN7rocprim17ROCPRIM_400000_NS6detail17trampoline_kernelINS0_14default_configENS1_35radix_sort_onesweep_config_selectorIjN6thrust23THRUST_200600_302600_NS5tupleIffNS6_9null_typeES8_S8_S8_S8_S8_S8_S8_EEEEZZNS1_29radix_sort_onesweep_iterationIS3_Lb0ENS6_6detail15normal_iteratorINS6_10device_ptrIjEEEESG_NSD_INSE_IS9_EEEESI_jNS0_19identity_decomposerENS1_16block_id_wrapperIjLb1EEEEE10hipError_tT1_PNSt15iterator_traitsISN_E10value_typeET2_T3_PNSO_IST_E10value_typeET4_T5_PSY_SZ_PNS1_23onesweep_lookback_stateEbbT6_jjT7_P12ihipStream_tbENKUlT_T0_SN_SS_E_clISG_SG_SI_SI_EEDaS16_S17_SN_SS_EUlS16_E_NS1_11comp_targetILNS1_3genE2ELNS1_11target_archE906ELNS1_3gpuE6ELNS1_3repE0EEENS1_47radix_sort_onesweep_sort_config_static_selectorELNS0_4arch9wavefront6targetE0EEEvSN_ ; -- Begin function _ZN7rocprim17ROCPRIM_400000_NS6detail17trampoline_kernelINS0_14default_configENS1_35radix_sort_onesweep_config_selectorIjN6thrust23THRUST_200600_302600_NS5tupleIffNS6_9null_typeES8_S8_S8_S8_S8_S8_S8_EEEEZZNS1_29radix_sort_onesweep_iterationIS3_Lb0ENS6_6detail15normal_iteratorINS6_10device_ptrIjEEEESG_NSD_INSE_IS9_EEEESI_jNS0_19identity_decomposerENS1_16block_id_wrapperIjLb1EEEEE10hipError_tT1_PNSt15iterator_traitsISN_E10value_typeET2_T3_PNSO_IST_E10value_typeET4_T5_PSY_SZ_PNS1_23onesweep_lookback_stateEbbT6_jjT7_P12ihipStream_tbENKUlT_T0_SN_SS_E_clISG_SG_SI_SI_EEDaS16_S17_SN_SS_EUlS16_E_NS1_11comp_targetILNS1_3genE2ELNS1_11target_archE906ELNS1_3gpuE6ELNS1_3repE0EEENS1_47radix_sort_onesweep_sort_config_static_selectorELNS0_4arch9wavefront6targetE0EEEvSN_
	.globl	_ZN7rocprim17ROCPRIM_400000_NS6detail17trampoline_kernelINS0_14default_configENS1_35radix_sort_onesweep_config_selectorIjN6thrust23THRUST_200600_302600_NS5tupleIffNS6_9null_typeES8_S8_S8_S8_S8_S8_S8_EEEEZZNS1_29radix_sort_onesweep_iterationIS3_Lb0ENS6_6detail15normal_iteratorINS6_10device_ptrIjEEEESG_NSD_INSE_IS9_EEEESI_jNS0_19identity_decomposerENS1_16block_id_wrapperIjLb1EEEEE10hipError_tT1_PNSt15iterator_traitsISN_E10value_typeET2_T3_PNSO_IST_E10value_typeET4_T5_PSY_SZ_PNS1_23onesweep_lookback_stateEbbT6_jjT7_P12ihipStream_tbENKUlT_T0_SN_SS_E_clISG_SG_SI_SI_EEDaS16_S17_SN_SS_EUlS16_E_NS1_11comp_targetILNS1_3genE2ELNS1_11target_archE906ELNS1_3gpuE6ELNS1_3repE0EEENS1_47radix_sort_onesweep_sort_config_static_selectorELNS0_4arch9wavefront6targetE0EEEvSN_
	.p2align	8
	.type	_ZN7rocprim17ROCPRIM_400000_NS6detail17trampoline_kernelINS0_14default_configENS1_35radix_sort_onesweep_config_selectorIjN6thrust23THRUST_200600_302600_NS5tupleIffNS6_9null_typeES8_S8_S8_S8_S8_S8_S8_EEEEZZNS1_29radix_sort_onesweep_iterationIS3_Lb0ENS6_6detail15normal_iteratorINS6_10device_ptrIjEEEESG_NSD_INSE_IS9_EEEESI_jNS0_19identity_decomposerENS1_16block_id_wrapperIjLb1EEEEE10hipError_tT1_PNSt15iterator_traitsISN_E10value_typeET2_T3_PNSO_IST_E10value_typeET4_T5_PSY_SZ_PNS1_23onesweep_lookback_stateEbbT6_jjT7_P12ihipStream_tbENKUlT_T0_SN_SS_E_clISG_SG_SI_SI_EEDaS16_S17_SN_SS_EUlS16_E_NS1_11comp_targetILNS1_3genE2ELNS1_11target_archE906ELNS1_3gpuE6ELNS1_3repE0EEENS1_47radix_sort_onesweep_sort_config_static_selectorELNS0_4arch9wavefront6targetE0EEEvSN_,@function
_ZN7rocprim17ROCPRIM_400000_NS6detail17trampoline_kernelINS0_14default_configENS1_35radix_sort_onesweep_config_selectorIjN6thrust23THRUST_200600_302600_NS5tupleIffNS6_9null_typeES8_S8_S8_S8_S8_S8_S8_EEEEZZNS1_29radix_sort_onesweep_iterationIS3_Lb0ENS6_6detail15normal_iteratorINS6_10device_ptrIjEEEESG_NSD_INSE_IS9_EEEESI_jNS0_19identity_decomposerENS1_16block_id_wrapperIjLb1EEEEE10hipError_tT1_PNSt15iterator_traitsISN_E10value_typeET2_T3_PNSO_IST_E10value_typeET4_T5_PSY_SZ_PNS1_23onesweep_lookback_stateEbbT6_jjT7_P12ihipStream_tbENKUlT_T0_SN_SS_E_clISG_SG_SI_SI_EEDaS16_S17_SN_SS_EUlS16_E_NS1_11comp_targetILNS1_3genE2ELNS1_11target_archE906ELNS1_3gpuE6ELNS1_3repE0EEENS1_47radix_sort_onesweep_sort_config_static_selectorELNS0_4arch9wavefront6targetE0EEEvSN_: ; @_ZN7rocprim17ROCPRIM_400000_NS6detail17trampoline_kernelINS0_14default_configENS1_35radix_sort_onesweep_config_selectorIjN6thrust23THRUST_200600_302600_NS5tupleIffNS6_9null_typeES8_S8_S8_S8_S8_S8_S8_EEEEZZNS1_29radix_sort_onesweep_iterationIS3_Lb0ENS6_6detail15normal_iteratorINS6_10device_ptrIjEEEESG_NSD_INSE_IS9_EEEESI_jNS0_19identity_decomposerENS1_16block_id_wrapperIjLb1EEEEE10hipError_tT1_PNSt15iterator_traitsISN_E10value_typeET2_T3_PNSO_IST_E10value_typeET4_T5_PSY_SZ_PNS1_23onesweep_lookback_stateEbbT6_jjT7_P12ihipStream_tbENKUlT_T0_SN_SS_E_clISG_SG_SI_SI_EEDaS16_S17_SN_SS_EUlS16_E_NS1_11comp_targetILNS1_3genE2ELNS1_11target_archE906ELNS1_3gpuE6ELNS1_3repE0EEENS1_47radix_sort_onesweep_sort_config_static_selectorELNS0_4arch9wavefront6targetE0EEEvSN_
; %bb.0:
	.section	.rodata,"a",@progbits
	.p2align	6, 0x0
	.amdhsa_kernel _ZN7rocprim17ROCPRIM_400000_NS6detail17trampoline_kernelINS0_14default_configENS1_35radix_sort_onesweep_config_selectorIjN6thrust23THRUST_200600_302600_NS5tupleIffNS6_9null_typeES8_S8_S8_S8_S8_S8_S8_EEEEZZNS1_29radix_sort_onesweep_iterationIS3_Lb0ENS6_6detail15normal_iteratorINS6_10device_ptrIjEEEESG_NSD_INSE_IS9_EEEESI_jNS0_19identity_decomposerENS1_16block_id_wrapperIjLb1EEEEE10hipError_tT1_PNSt15iterator_traitsISN_E10value_typeET2_T3_PNSO_IST_E10value_typeET4_T5_PSY_SZ_PNS1_23onesweep_lookback_stateEbbT6_jjT7_P12ihipStream_tbENKUlT_T0_SN_SS_E_clISG_SG_SI_SI_EEDaS16_S17_SN_SS_EUlS16_E_NS1_11comp_targetILNS1_3genE2ELNS1_11target_archE906ELNS1_3gpuE6ELNS1_3repE0EEENS1_47radix_sort_onesweep_sort_config_static_selectorELNS0_4arch9wavefront6targetE0EEEvSN_
		.amdhsa_group_segment_fixed_size 0
		.amdhsa_private_segment_fixed_size 0
		.amdhsa_kernarg_size 88
		.amdhsa_user_sgpr_count 2
		.amdhsa_user_sgpr_dispatch_ptr 0
		.amdhsa_user_sgpr_queue_ptr 0
		.amdhsa_user_sgpr_kernarg_segment_ptr 1
		.amdhsa_user_sgpr_dispatch_id 0
		.amdhsa_user_sgpr_private_segment_size 0
		.amdhsa_wavefront_size32 1
		.amdhsa_uses_dynamic_stack 0
		.amdhsa_enable_private_segment 0
		.amdhsa_system_sgpr_workgroup_id_x 1
		.amdhsa_system_sgpr_workgroup_id_y 0
		.amdhsa_system_sgpr_workgroup_id_z 0
		.amdhsa_system_sgpr_workgroup_info 0
		.amdhsa_system_vgpr_workitem_id 0
		.amdhsa_next_free_vgpr 1
		.amdhsa_next_free_sgpr 1
		.amdhsa_reserve_vcc 0
		.amdhsa_float_round_mode_32 0
		.amdhsa_float_round_mode_16_64 0
		.amdhsa_float_denorm_mode_32 3
		.amdhsa_float_denorm_mode_16_64 3
		.amdhsa_fp16_overflow 0
		.amdhsa_workgroup_processor_mode 1
		.amdhsa_memory_ordered 1
		.amdhsa_forward_progress 1
		.amdhsa_inst_pref_size 0
		.amdhsa_round_robin_scheduling 0
		.amdhsa_exception_fp_ieee_invalid_op 0
		.amdhsa_exception_fp_denorm_src 0
		.amdhsa_exception_fp_ieee_div_zero 0
		.amdhsa_exception_fp_ieee_overflow 0
		.amdhsa_exception_fp_ieee_underflow 0
		.amdhsa_exception_fp_ieee_inexact 0
		.amdhsa_exception_int_div_zero 0
	.end_amdhsa_kernel
	.section	.text._ZN7rocprim17ROCPRIM_400000_NS6detail17trampoline_kernelINS0_14default_configENS1_35radix_sort_onesweep_config_selectorIjN6thrust23THRUST_200600_302600_NS5tupleIffNS6_9null_typeES8_S8_S8_S8_S8_S8_S8_EEEEZZNS1_29radix_sort_onesweep_iterationIS3_Lb0ENS6_6detail15normal_iteratorINS6_10device_ptrIjEEEESG_NSD_INSE_IS9_EEEESI_jNS0_19identity_decomposerENS1_16block_id_wrapperIjLb1EEEEE10hipError_tT1_PNSt15iterator_traitsISN_E10value_typeET2_T3_PNSO_IST_E10value_typeET4_T5_PSY_SZ_PNS1_23onesweep_lookback_stateEbbT6_jjT7_P12ihipStream_tbENKUlT_T0_SN_SS_E_clISG_SG_SI_SI_EEDaS16_S17_SN_SS_EUlS16_E_NS1_11comp_targetILNS1_3genE2ELNS1_11target_archE906ELNS1_3gpuE6ELNS1_3repE0EEENS1_47radix_sort_onesweep_sort_config_static_selectorELNS0_4arch9wavefront6targetE0EEEvSN_,"axG",@progbits,_ZN7rocprim17ROCPRIM_400000_NS6detail17trampoline_kernelINS0_14default_configENS1_35radix_sort_onesweep_config_selectorIjN6thrust23THRUST_200600_302600_NS5tupleIffNS6_9null_typeES8_S8_S8_S8_S8_S8_S8_EEEEZZNS1_29radix_sort_onesweep_iterationIS3_Lb0ENS6_6detail15normal_iteratorINS6_10device_ptrIjEEEESG_NSD_INSE_IS9_EEEESI_jNS0_19identity_decomposerENS1_16block_id_wrapperIjLb1EEEEE10hipError_tT1_PNSt15iterator_traitsISN_E10value_typeET2_T3_PNSO_IST_E10value_typeET4_T5_PSY_SZ_PNS1_23onesweep_lookback_stateEbbT6_jjT7_P12ihipStream_tbENKUlT_T0_SN_SS_E_clISG_SG_SI_SI_EEDaS16_S17_SN_SS_EUlS16_E_NS1_11comp_targetILNS1_3genE2ELNS1_11target_archE906ELNS1_3gpuE6ELNS1_3repE0EEENS1_47radix_sort_onesweep_sort_config_static_selectorELNS0_4arch9wavefront6targetE0EEEvSN_,comdat
.Lfunc_end178:
	.size	_ZN7rocprim17ROCPRIM_400000_NS6detail17trampoline_kernelINS0_14default_configENS1_35radix_sort_onesweep_config_selectorIjN6thrust23THRUST_200600_302600_NS5tupleIffNS6_9null_typeES8_S8_S8_S8_S8_S8_S8_EEEEZZNS1_29radix_sort_onesweep_iterationIS3_Lb0ENS6_6detail15normal_iteratorINS6_10device_ptrIjEEEESG_NSD_INSE_IS9_EEEESI_jNS0_19identity_decomposerENS1_16block_id_wrapperIjLb1EEEEE10hipError_tT1_PNSt15iterator_traitsISN_E10value_typeET2_T3_PNSO_IST_E10value_typeET4_T5_PSY_SZ_PNS1_23onesweep_lookback_stateEbbT6_jjT7_P12ihipStream_tbENKUlT_T0_SN_SS_E_clISG_SG_SI_SI_EEDaS16_S17_SN_SS_EUlS16_E_NS1_11comp_targetILNS1_3genE2ELNS1_11target_archE906ELNS1_3gpuE6ELNS1_3repE0EEENS1_47radix_sort_onesweep_sort_config_static_selectorELNS0_4arch9wavefront6targetE0EEEvSN_, .Lfunc_end178-_ZN7rocprim17ROCPRIM_400000_NS6detail17trampoline_kernelINS0_14default_configENS1_35radix_sort_onesweep_config_selectorIjN6thrust23THRUST_200600_302600_NS5tupleIffNS6_9null_typeES8_S8_S8_S8_S8_S8_S8_EEEEZZNS1_29radix_sort_onesweep_iterationIS3_Lb0ENS6_6detail15normal_iteratorINS6_10device_ptrIjEEEESG_NSD_INSE_IS9_EEEESI_jNS0_19identity_decomposerENS1_16block_id_wrapperIjLb1EEEEE10hipError_tT1_PNSt15iterator_traitsISN_E10value_typeET2_T3_PNSO_IST_E10value_typeET4_T5_PSY_SZ_PNS1_23onesweep_lookback_stateEbbT6_jjT7_P12ihipStream_tbENKUlT_T0_SN_SS_E_clISG_SG_SI_SI_EEDaS16_S17_SN_SS_EUlS16_E_NS1_11comp_targetILNS1_3genE2ELNS1_11target_archE906ELNS1_3gpuE6ELNS1_3repE0EEENS1_47radix_sort_onesweep_sort_config_static_selectorELNS0_4arch9wavefront6targetE0EEEvSN_
                                        ; -- End function
	.set _ZN7rocprim17ROCPRIM_400000_NS6detail17trampoline_kernelINS0_14default_configENS1_35radix_sort_onesweep_config_selectorIjN6thrust23THRUST_200600_302600_NS5tupleIffNS6_9null_typeES8_S8_S8_S8_S8_S8_S8_EEEEZZNS1_29radix_sort_onesweep_iterationIS3_Lb0ENS6_6detail15normal_iteratorINS6_10device_ptrIjEEEESG_NSD_INSE_IS9_EEEESI_jNS0_19identity_decomposerENS1_16block_id_wrapperIjLb1EEEEE10hipError_tT1_PNSt15iterator_traitsISN_E10value_typeET2_T3_PNSO_IST_E10value_typeET4_T5_PSY_SZ_PNS1_23onesweep_lookback_stateEbbT6_jjT7_P12ihipStream_tbENKUlT_T0_SN_SS_E_clISG_SG_SI_SI_EEDaS16_S17_SN_SS_EUlS16_E_NS1_11comp_targetILNS1_3genE2ELNS1_11target_archE906ELNS1_3gpuE6ELNS1_3repE0EEENS1_47radix_sort_onesweep_sort_config_static_selectorELNS0_4arch9wavefront6targetE0EEEvSN_.num_vgpr, 0
	.set _ZN7rocprim17ROCPRIM_400000_NS6detail17trampoline_kernelINS0_14default_configENS1_35radix_sort_onesweep_config_selectorIjN6thrust23THRUST_200600_302600_NS5tupleIffNS6_9null_typeES8_S8_S8_S8_S8_S8_S8_EEEEZZNS1_29radix_sort_onesweep_iterationIS3_Lb0ENS6_6detail15normal_iteratorINS6_10device_ptrIjEEEESG_NSD_INSE_IS9_EEEESI_jNS0_19identity_decomposerENS1_16block_id_wrapperIjLb1EEEEE10hipError_tT1_PNSt15iterator_traitsISN_E10value_typeET2_T3_PNSO_IST_E10value_typeET4_T5_PSY_SZ_PNS1_23onesweep_lookback_stateEbbT6_jjT7_P12ihipStream_tbENKUlT_T0_SN_SS_E_clISG_SG_SI_SI_EEDaS16_S17_SN_SS_EUlS16_E_NS1_11comp_targetILNS1_3genE2ELNS1_11target_archE906ELNS1_3gpuE6ELNS1_3repE0EEENS1_47radix_sort_onesweep_sort_config_static_selectorELNS0_4arch9wavefront6targetE0EEEvSN_.num_agpr, 0
	.set _ZN7rocprim17ROCPRIM_400000_NS6detail17trampoline_kernelINS0_14default_configENS1_35radix_sort_onesweep_config_selectorIjN6thrust23THRUST_200600_302600_NS5tupleIffNS6_9null_typeES8_S8_S8_S8_S8_S8_S8_EEEEZZNS1_29radix_sort_onesweep_iterationIS3_Lb0ENS6_6detail15normal_iteratorINS6_10device_ptrIjEEEESG_NSD_INSE_IS9_EEEESI_jNS0_19identity_decomposerENS1_16block_id_wrapperIjLb1EEEEE10hipError_tT1_PNSt15iterator_traitsISN_E10value_typeET2_T3_PNSO_IST_E10value_typeET4_T5_PSY_SZ_PNS1_23onesweep_lookback_stateEbbT6_jjT7_P12ihipStream_tbENKUlT_T0_SN_SS_E_clISG_SG_SI_SI_EEDaS16_S17_SN_SS_EUlS16_E_NS1_11comp_targetILNS1_3genE2ELNS1_11target_archE906ELNS1_3gpuE6ELNS1_3repE0EEENS1_47radix_sort_onesweep_sort_config_static_selectorELNS0_4arch9wavefront6targetE0EEEvSN_.numbered_sgpr, 0
	.set _ZN7rocprim17ROCPRIM_400000_NS6detail17trampoline_kernelINS0_14default_configENS1_35radix_sort_onesweep_config_selectorIjN6thrust23THRUST_200600_302600_NS5tupleIffNS6_9null_typeES8_S8_S8_S8_S8_S8_S8_EEEEZZNS1_29radix_sort_onesweep_iterationIS3_Lb0ENS6_6detail15normal_iteratorINS6_10device_ptrIjEEEESG_NSD_INSE_IS9_EEEESI_jNS0_19identity_decomposerENS1_16block_id_wrapperIjLb1EEEEE10hipError_tT1_PNSt15iterator_traitsISN_E10value_typeET2_T3_PNSO_IST_E10value_typeET4_T5_PSY_SZ_PNS1_23onesweep_lookback_stateEbbT6_jjT7_P12ihipStream_tbENKUlT_T0_SN_SS_E_clISG_SG_SI_SI_EEDaS16_S17_SN_SS_EUlS16_E_NS1_11comp_targetILNS1_3genE2ELNS1_11target_archE906ELNS1_3gpuE6ELNS1_3repE0EEENS1_47radix_sort_onesweep_sort_config_static_selectorELNS0_4arch9wavefront6targetE0EEEvSN_.num_named_barrier, 0
	.set _ZN7rocprim17ROCPRIM_400000_NS6detail17trampoline_kernelINS0_14default_configENS1_35radix_sort_onesweep_config_selectorIjN6thrust23THRUST_200600_302600_NS5tupleIffNS6_9null_typeES8_S8_S8_S8_S8_S8_S8_EEEEZZNS1_29radix_sort_onesweep_iterationIS3_Lb0ENS6_6detail15normal_iteratorINS6_10device_ptrIjEEEESG_NSD_INSE_IS9_EEEESI_jNS0_19identity_decomposerENS1_16block_id_wrapperIjLb1EEEEE10hipError_tT1_PNSt15iterator_traitsISN_E10value_typeET2_T3_PNSO_IST_E10value_typeET4_T5_PSY_SZ_PNS1_23onesweep_lookback_stateEbbT6_jjT7_P12ihipStream_tbENKUlT_T0_SN_SS_E_clISG_SG_SI_SI_EEDaS16_S17_SN_SS_EUlS16_E_NS1_11comp_targetILNS1_3genE2ELNS1_11target_archE906ELNS1_3gpuE6ELNS1_3repE0EEENS1_47radix_sort_onesweep_sort_config_static_selectorELNS0_4arch9wavefront6targetE0EEEvSN_.private_seg_size, 0
	.set _ZN7rocprim17ROCPRIM_400000_NS6detail17trampoline_kernelINS0_14default_configENS1_35radix_sort_onesweep_config_selectorIjN6thrust23THRUST_200600_302600_NS5tupleIffNS6_9null_typeES8_S8_S8_S8_S8_S8_S8_EEEEZZNS1_29radix_sort_onesweep_iterationIS3_Lb0ENS6_6detail15normal_iteratorINS6_10device_ptrIjEEEESG_NSD_INSE_IS9_EEEESI_jNS0_19identity_decomposerENS1_16block_id_wrapperIjLb1EEEEE10hipError_tT1_PNSt15iterator_traitsISN_E10value_typeET2_T3_PNSO_IST_E10value_typeET4_T5_PSY_SZ_PNS1_23onesweep_lookback_stateEbbT6_jjT7_P12ihipStream_tbENKUlT_T0_SN_SS_E_clISG_SG_SI_SI_EEDaS16_S17_SN_SS_EUlS16_E_NS1_11comp_targetILNS1_3genE2ELNS1_11target_archE906ELNS1_3gpuE6ELNS1_3repE0EEENS1_47radix_sort_onesweep_sort_config_static_selectorELNS0_4arch9wavefront6targetE0EEEvSN_.uses_vcc, 0
	.set _ZN7rocprim17ROCPRIM_400000_NS6detail17trampoline_kernelINS0_14default_configENS1_35radix_sort_onesweep_config_selectorIjN6thrust23THRUST_200600_302600_NS5tupleIffNS6_9null_typeES8_S8_S8_S8_S8_S8_S8_EEEEZZNS1_29radix_sort_onesweep_iterationIS3_Lb0ENS6_6detail15normal_iteratorINS6_10device_ptrIjEEEESG_NSD_INSE_IS9_EEEESI_jNS0_19identity_decomposerENS1_16block_id_wrapperIjLb1EEEEE10hipError_tT1_PNSt15iterator_traitsISN_E10value_typeET2_T3_PNSO_IST_E10value_typeET4_T5_PSY_SZ_PNS1_23onesweep_lookback_stateEbbT6_jjT7_P12ihipStream_tbENKUlT_T0_SN_SS_E_clISG_SG_SI_SI_EEDaS16_S17_SN_SS_EUlS16_E_NS1_11comp_targetILNS1_3genE2ELNS1_11target_archE906ELNS1_3gpuE6ELNS1_3repE0EEENS1_47radix_sort_onesweep_sort_config_static_selectorELNS0_4arch9wavefront6targetE0EEEvSN_.uses_flat_scratch, 0
	.set _ZN7rocprim17ROCPRIM_400000_NS6detail17trampoline_kernelINS0_14default_configENS1_35radix_sort_onesweep_config_selectorIjN6thrust23THRUST_200600_302600_NS5tupleIffNS6_9null_typeES8_S8_S8_S8_S8_S8_S8_EEEEZZNS1_29radix_sort_onesweep_iterationIS3_Lb0ENS6_6detail15normal_iteratorINS6_10device_ptrIjEEEESG_NSD_INSE_IS9_EEEESI_jNS0_19identity_decomposerENS1_16block_id_wrapperIjLb1EEEEE10hipError_tT1_PNSt15iterator_traitsISN_E10value_typeET2_T3_PNSO_IST_E10value_typeET4_T5_PSY_SZ_PNS1_23onesweep_lookback_stateEbbT6_jjT7_P12ihipStream_tbENKUlT_T0_SN_SS_E_clISG_SG_SI_SI_EEDaS16_S17_SN_SS_EUlS16_E_NS1_11comp_targetILNS1_3genE2ELNS1_11target_archE906ELNS1_3gpuE6ELNS1_3repE0EEENS1_47radix_sort_onesweep_sort_config_static_selectorELNS0_4arch9wavefront6targetE0EEEvSN_.has_dyn_sized_stack, 0
	.set _ZN7rocprim17ROCPRIM_400000_NS6detail17trampoline_kernelINS0_14default_configENS1_35radix_sort_onesweep_config_selectorIjN6thrust23THRUST_200600_302600_NS5tupleIffNS6_9null_typeES8_S8_S8_S8_S8_S8_S8_EEEEZZNS1_29radix_sort_onesweep_iterationIS3_Lb0ENS6_6detail15normal_iteratorINS6_10device_ptrIjEEEESG_NSD_INSE_IS9_EEEESI_jNS0_19identity_decomposerENS1_16block_id_wrapperIjLb1EEEEE10hipError_tT1_PNSt15iterator_traitsISN_E10value_typeET2_T3_PNSO_IST_E10value_typeET4_T5_PSY_SZ_PNS1_23onesweep_lookback_stateEbbT6_jjT7_P12ihipStream_tbENKUlT_T0_SN_SS_E_clISG_SG_SI_SI_EEDaS16_S17_SN_SS_EUlS16_E_NS1_11comp_targetILNS1_3genE2ELNS1_11target_archE906ELNS1_3gpuE6ELNS1_3repE0EEENS1_47radix_sort_onesweep_sort_config_static_selectorELNS0_4arch9wavefront6targetE0EEEvSN_.has_recursion, 0
	.set _ZN7rocprim17ROCPRIM_400000_NS6detail17trampoline_kernelINS0_14default_configENS1_35radix_sort_onesweep_config_selectorIjN6thrust23THRUST_200600_302600_NS5tupleIffNS6_9null_typeES8_S8_S8_S8_S8_S8_S8_EEEEZZNS1_29radix_sort_onesweep_iterationIS3_Lb0ENS6_6detail15normal_iteratorINS6_10device_ptrIjEEEESG_NSD_INSE_IS9_EEEESI_jNS0_19identity_decomposerENS1_16block_id_wrapperIjLb1EEEEE10hipError_tT1_PNSt15iterator_traitsISN_E10value_typeET2_T3_PNSO_IST_E10value_typeET4_T5_PSY_SZ_PNS1_23onesweep_lookback_stateEbbT6_jjT7_P12ihipStream_tbENKUlT_T0_SN_SS_E_clISG_SG_SI_SI_EEDaS16_S17_SN_SS_EUlS16_E_NS1_11comp_targetILNS1_3genE2ELNS1_11target_archE906ELNS1_3gpuE6ELNS1_3repE0EEENS1_47radix_sort_onesweep_sort_config_static_selectorELNS0_4arch9wavefront6targetE0EEEvSN_.has_indirect_call, 0
	.section	.AMDGPU.csdata,"",@progbits
; Kernel info:
; codeLenInByte = 0
; TotalNumSgprs: 0
; NumVgprs: 0
; ScratchSize: 0
; MemoryBound: 0
; FloatMode: 240
; IeeeMode: 1
; LDSByteSize: 0 bytes/workgroup (compile time only)
; SGPRBlocks: 0
; VGPRBlocks: 0
; NumSGPRsForWavesPerEU: 1
; NumVGPRsForWavesPerEU: 1
; Occupancy: 16
; WaveLimiterHint : 0
; COMPUTE_PGM_RSRC2:SCRATCH_EN: 0
; COMPUTE_PGM_RSRC2:USER_SGPR: 2
; COMPUTE_PGM_RSRC2:TRAP_HANDLER: 0
; COMPUTE_PGM_RSRC2:TGID_X_EN: 1
; COMPUTE_PGM_RSRC2:TGID_Y_EN: 0
; COMPUTE_PGM_RSRC2:TGID_Z_EN: 0
; COMPUTE_PGM_RSRC2:TIDIG_COMP_CNT: 0
	.section	.text._ZN7rocprim17ROCPRIM_400000_NS6detail17trampoline_kernelINS0_14default_configENS1_35radix_sort_onesweep_config_selectorIjN6thrust23THRUST_200600_302600_NS5tupleIffNS6_9null_typeES8_S8_S8_S8_S8_S8_S8_EEEEZZNS1_29radix_sort_onesweep_iterationIS3_Lb0ENS6_6detail15normal_iteratorINS6_10device_ptrIjEEEESG_NSD_INSE_IS9_EEEESI_jNS0_19identity_decomposerENS1_16block_id_wrapperIjLb1EEEEE10hipError_tT1_PNSt15iterator_traitsISN_E10value_typeET2_T3_PNSO_IST_E10value_typeET4_T5_PSY_SZ_PNS1_23onesweep_lookback_stateEbbT6_jjT7_P12ihipStream_tbENKUlT_T0_SN_SS_E_clISG_SG_SI_SI_EEDaS16_S17_SN_SS_EUlS16_E_NS1_11comp_targetILNS1_3genE4ELNS1_11target_archE910ELNS1_3gpuE8ELNS1_3repE0EEENS1_47radix_sort_onesweep_sort_config_static_selectorELNS0_4arch9wavefront6targetE0EEEvSN_,"axG",@progbits,_ZN7rocprim17ROCPRIM_400000_NS6detail17trampoline_kernelINS0_14default_configENS1_35radix_sort_onesweep_config_selectorIjN6thrust23THRUST_200600_302600_NS5tupleIffNS6_9null_typeES8_S8_S8_S8_S8_S8_S8_EEEEZZNS1_29radix_sort_onesweep_iterationIS3_Lb0ENS6_6detail15normal_iteratorINS6_10device_ptrIjEEEESG_NSD_INSE_IS9_EEEESI_jNS0_19identity_decomposerENS1_16block_id_wrapperIjLb1EEEEE10hipError_tT1_PNSt15iterator_traitsISN_E10value_typeET2_T3_PNSO_IST_E10value_typeET4_T5_PSY_SZ_PNS1_23onesweep_lookback_stateEbbT6_jjT7_P12ihipStream_tbENKUlT_T0_SN_SS_E_clISG_SG_SI_SI_EEDaS16_S17_SN_SS_EUlS16_E_NS1_11comp_targetILNS1_3genE4ELNS1_11target_archE910ELNS1_3gpuE8ELNS1_3repE0EEENS1_47radix_sort_onesweep_sort_config_static_selectorELNS0_4arch9wavefront6targetE0EEEvSN_,comdat
	.protected	_ZN7rocprim17ROCPRIM_400000_NS6detail17trampoline_kernelINS0_14default_configENS1_35radix_sort_onesweep_config_selectorIjN6thrust23THRUST_200600_302600_NS5tupleIffNS6_9null_typeES8_S8_S8_S8_S8_S8_S8_EEEEZZNS1_29radix_sort_onesweep_iterationIS3_Lb0ENS6_6detail15normal_iteratorINS6_10device_ptrIjEEEESG_NSD_INSE_IS9_EEEESI_jNS0_19identity_decomposerENS1_16block_id_wrapperIjLb1EEEEE10hipError_tT1_PNSt15iterator_traitsISN_E10value_typeET2_T3_PNSO_IST_E10value_typeET4_T5_PSY_SZ_PNS1_23onesweep_lookback_stateEbbT6_jjT7_P12ihipStream_tbENKUlT_T0_SN_SS_E_clISG_SG_SI_SI_EEDaS16_S17_SN_SS_EUlS16_E_NS1_11comp_targetILNS1_3genE4ELNS1_11target_archE910ELNS1_3gpuE8ELNS1_3repE0EEENS1_47radix_sort_onesweep_sort_config_static_selectorELNS0_4arch9wavefront6targetE0EEEvSN_ ; -- Begin function _ZN7rocprim17ROCPRIM_400000_NS6detail17trampoline_kernelINS0_14default_configENS1_35radix_sort_onesweep_config_selectorIjN6thrust23THRUST_200600_302600_NS5tupleIffNS6_9null_typeES8_S8_S8_S8_S8_S8_S8_EEEEZZNS1_29radix_sort_onesweep_iterationIS3_Lb0ENS6_6detail15normal_iteratorINS6_10device_ptrIjEEEESG_NSD_INSE_IS9_EEEESI_jNS0_19identity_decomposerENS1_16block_id_wrapperIjLb1EEEEE10hipError_tT1_PNSt15iterator_traitsISN_E10value_typeET2_T3_PNSO_IST_E10value_typeET4_T5_PSY_SZ_PNS1_23onesweep_lookback_stateEbbT6_jjT7_P12ihipStream_tbENKUlT_T0_SN_SS_E_clISG_SG_SI_SI_EEDaS16_S17_SN_SS_EUlS16_E_NS1_11comp_targetILNS1_3genE4ELNS1_11target_archE910ELNS1_3gpuE8ELNS1_3repE0EEENS1_47radix_sort_onesweep_sort_config_static_selectorELNS0_4arch9wavefront6targetE0EEEvSN_
	.globl	_ZN7rocprim17ROCPRIM_400000_NS6detail17trampoline_kernelINS0_14default_configENS1_35radix_sort_onesweep_config_selectorIjN6thrust23THRUST_200600_302600_NS5tupleIffNS6_9null_typeES8_S8_S8_S8_S8_S8_S8_EEEEZZNS1_29radix_sort_onesweep_iterationIS3_Lb0ENS6_6detail15normal_iteratorINS6_10device_ptrIjEEEESG_NSD_INSE_IS9_EEEESI_jNS0_19identity_decomposerENS1_16block_id_wrapperIjLb1EEEEE10hipError_tT1_PNSt15iterator_traitsISN_E10value_typeET2_T3_PNSO_IST_E10value_typeET4_T5_PSY_SZ_PNS1_23onesweep_lookback_stateEbbT6_jjT7_P12ihipStream_tbENKUlT_T0_SN_SS_E_clISG_SG_SI_SI_EEDaS16_S17_SN_SS_EUlS16_E_NS1_11comp_targetILNS1_3genE4ELNS1_11target_archE910ELNS1_3gpuE8ELNS1_3repE0EEENS1_47radix_sort_onesweep_sort_config_static_selectorELNS0_4arch9wavefront6targetE0EEEvSN_
	.p2align	8
	.type	_ZN7rocprim17ROCPRIM_400000_NS6detail17trampoline_kernelINS0_14default_configENS1_35radix_sort_onesweep_config_selectorIjN6thrust23THRUST_200600_302600_NS5tupleIffNS6_9null_typeES8_S8_S8_S8_S8_S8_S8_EEEEZZNS1_29radix_sort_onesweep_iterationIS3_Lb0ENS6_6detail15normal_iteratorINS6_10device_ptrIjEEEESG_NSD_INSE_IS9_EEEESI_jNS0_19identity_decomposerENS1_16block_id_wrapperIjLb1EEEEE10hipError_tT1_PNSt15iterator_traitsISN_E10value_typeET2_T3_PNSO_IST_E10value_typeET4_T5_PSY_SZ_PNS1_23onesweep_lookback_stateEbbT6_jjT7_P12ihipStream_tbENKUlT_T0_SN_SS_E_clISG_SG_SI_SI_EEDaS16_S17_SN_SS_EUlS16_E_NS1_11comp_targetILNS1_3genE4ELNS1_11target_archE910ELNS1_3gpuE8ELNS1_3repE0EEENS1_47radix_sort_onesweep_sort_config_static_selectorELNS0_4arch9wavefront6targetE0EEEvSN_,@function
_ZN7rocprim17ROCPRIM_400000_NS6detail17trampoline_kernelINS0_14default_configENS1_35radix_sort_onesweep_config_selectorIjN6thrust23THRUST_200600_302600_NS5tupleIffNS6_9null_typeES8_S8_S8_S8_S8_S8_S8_EEEEZZNS1_29radix_sort_onesweep_iterationIS3_Lb0ENS6_6detail15normal_iteratorINS6_10device_ptrIjEEEESG_NSD_INSE_IS9_EEEESI_jNS0_19identity_decomposerENS1_16block_id_wrapperIjLb1EEEEE10hipError_tT1_PNSt15iterator_traitsISN_E10value_typeET2_T3_PNSO_IST_E10value_typeET4_T5_PSY_SZ_PNS1_23onesweep_lookback_stateEbbT6_jjT7_P12ihipStream_tbENKUlT_T0_SN_SS_E_clISG_SG_SI_SI_EEDaS16_S17_SN_SS_EUlS16_E_NS1_11comp_targetILNS1_3genE4ELNS1_11target_archE910ELNS1_3gpuE8ELNS1_3repE0EEENS1_47radix_sort_onesweep_sort_config_static_selectorELNS0_4arch9wavefront6targetE0EEEvSN_: ; @_ZN7rocprim17ROCPRIM_400000_NS6detail17trampoline_kernelINS0_14default_configENS1_35radix_sort_onesweep_config_selectorIjN6thrust23THRUST_200600_302600_NS5tupleIffNS6_9null_typeES8_S8_S8_S8_S8_S8_S8_EEEEZZNS1_29radix_sort_onesweep_iterationIS3_Lb0ENS6_6detail15normal_iteratorINS6_10device_ptrIjEEEESG_NSD_INSE_IS9_EEEESI_jNS0_19identity_decomposerENS1_16block_id_wrapperIjLb1EEEEE10hipError_tT1_PNSt15iterator_traitsISN_E10value_typeET2_T3_PNSO_IST_E10value_typeET4_T5_PSY_SZ_PNS1_23onesweep_lookback_stateEbbT6_jjT7_P12ihipStream_tbENKUlT_T0_SN_SS_E_clISG_SG_SI_SI_EEDaS16_S17_SN_SS_EUlS16_E_NS1_11comp_targetILNS1_3genE4ELNS1_11target_archE910ELNS1_3gpuE8ELNS1_3repE0EEENS1_47radix_sort_onesweep_sort_config_static_selectorELNS0_4arch9wavefront6targetE0EEEvSN_
; %bb.0:
	.section	.rodata,"a",@progbits
	.p2align	6, 0x0
	.amdhsa_kernel _ZN7rocprim17ROCPRIM_400000_NS6detail17trampoline_kernelINS0_14default_configENS1_35radix_sort_onesweep_config_selectorIjN6thrust23THRUST_200600_302600_NS5tupleIffNS6_9null_typeES8_S8_S8_S8_S8_S8_S8_EEEEZZNS1_29radix_sort_onesweep_iterationIS3_Lb0ENS6_6detail15normal_iteratorINS6_10device_ptrIjEEEESG_NSD_INSE_IS9_EEEESI_jNS0_19identity_decomposerENS1_16block_id_wrapperIjLb1EEEEE10hipError_tT1_PNSt15iterator_traitsISN_E10value_typeET2_T3_PNSO_IST_E10value_typeET4_T5_PSY_SZ_PNS1_23onesweep_lookback_stateEbbT6_jjT7_P12ihipStream_tbENKUlT_T0_SN_SS_E_clISG_SG_SI_SI_EEDaS16_S17_SN_SS_EUlS16_E_NS1_11comp_targetILNS1_3genE4ELNS1_11target_archE910ELNS1_3gpuE8ELNS1_3repE0EEENS1_47radix_sort_onesweep_sort_config_static_selectorELNS0_4arch9wavefront6targetE0EEEvSN_
		.amdhsa_group_segment_fixed_size 0
		.amdhsa_private_segment_fixed_size 0
		.amdhsa_kernarg_size 88
		.amdhsa_user_sgpr_count 2
		.amdhsa_user_sgpr_dispatch_ptr 0
		.amdhsa_user_sgpr_queue_ptr 0
		.amdhsa_user_sgpr_kernarg_segment_ptr 1
		.amdhsa_user_sgpr_dispatch_id 0
		.amdhsa_user_sgpr_private_segment_size 0
		.amdhsa_wavefront_size32 1
		.amdhsa_uses_dynamic_stack 0
		.amdhsa_enable_private_segment 0
		.amdhsa_system_sgpr_workgroup_id_x 1
		.amdhsa_system_sgpr_workgroup_id_y 0
		.amdhsa_system_sgpr_workgroup_id_z 0
		.amdhsa_system_sgpr_workgroup_info 0
		.amdhsa_system_vgpr_workitem_id 0
		.amdhsa_next_free_vgpr 1
		.amdhsa_next_free_sgpr 1
		.amdhsa_reserve_vcc 0
		.amdhsa_float_round_mode_32 0
		.amdhsa_float_round_mode_16_64 0
		.amdhsa_float_denorm_mode_32 3
		.amdhsa_float_denorm_mode_16_64 3
		.amdhsa_fp16_overflow 0
		.amdhsa_workgroup_processor_mode 1
		.amdhsa_memory_ordered 1
		.amdhsa_forward_progress 1
		.amdhsa_inst_pref_size 0
		.amdhsa_round_robin_scheduling 0
		.amdhsa_exception_fp_ieee_invalid_op 0
		.amdhsa_exception_fp_denorm_src 0
		.amdhsa_exception_fp_ieee_div_zero 0
		.amdhsa_exception_fp_ieee_overflow 0
		.amdhsa_exception_fp_ieee_underflow 0
		.amdhsa_exception_fp_ieee_inexact 0
		.amdhsa_exception_int_div_zero 0
	.end_amdhsa_kernel
	.section	.text._ZN7rocprim17ROCPRIM_400000_NS6detail17trampoline_kernelINS0_14default_configENS1_35radix_sort_onesweep_config_selectorIjN6thrust23THRUST_200600_302600_NS5tupleIffNS6_9null_typeES8_S8_S8_S8_S8_S8_S8_EEEEZZNS1_29radix_sort_onesweep_iterationIS3_Lb0ENS6_6detail15normal_iteratorINS6_10device_ptrIjEEEESG_NSD_INSE_IS9_EEEESI_jNS0_19identity_decomposerENS1_16block_id_wrapperIjLb1EEEEE10hipError_tT1_PNSt15iterator_traitsISN_E10value_typeET2_T3_PNSO_IST_E10value_typeET4_T5_PSY_SZ_PNS1_23onesweep_lookback_stateEbbT6_jjT7_P12ihipStream_tbENKUlT_T0_SN_SS_E_clISG_SG_SI_SI_EEDaS16_S17_SN_SS_EUlS16_E_NS1_11comp_targetILNS1_3genE4ELNS1_11target_archE910ELNS1_3gpuE8ELNS1_3repE0EEENS1_47radix_sort_onesweep_sort_config_static_selectorELNS0_4arch9wavefront6targetE0EEEvSN_,"axG",@progbits,_ZN7rocprim17ROCPRIM_400000_NS6detail17trampoline_kernelINS0_14default_configENS1_35radix_sort_onesweep_config_selectorIjN6thrust23THRUST_200600_302600_NS5tupleIffNS6_9null_typeES8_S8_S8_S8_S8_S8_S8_EEEEZZNS1_29radix_sort_onesweep_iterationIS3_Lb0ENS6_6detail15normal_iteratorINS6_10device_ptrIjEEEESG_NSD_INSE_IS9_EEEESI_jNS0_19identity_decomposerENS1_16block_id_wrapperIjLb1EEEEE10hipError_tT1_PNSt15iterator_traitsISN_E10value_typeET2_T3_PNSO_IST_E10value_typeET4_T5_PSY_SZ_PNS1_23onesweep_lookback_stateEbbT6_jjT7_P12ihipStream_tbENKUlT_T0_SN_SS_E_clISG_SG_SI_SI_EEDaS16_S17_SN_SS_EUlS16_E_NS1_11comp_targetILNS1_3genE4ELNS1_11target_archE910ELNS1_3gpuE8ELNS1_3repE0EEENS1_47radix_sort_onesweep_sort_config_static_selectorELNS0_4arch9wavefront6targetE0EEEvSN_,comdat
.Lfunc_end179:
	.size	_ZN7rocprim17ROCPRIM_400000_NS6detail17trampoline_kernelINS0_14default_configENS1_35radix_sort_onesweep_config_selectorIjN6thrust23THRUST_200600_302600_NS5tupleIffNS6_9null_typeES8_S8_S8_S8_S8_S8_S8_EEEEZZNS1_29radix_sort_onesweep_iterationIS3_Lb0ENS6_6detail15normal_iteratorINS6_10device_ptrIjEEEESG_NSD_INSE_IS9_EEEESI_jNS0_19identity_decomposerENS1_16block_id_wrapperIjLb1EEEEE10hipError_tT1_PNSt15iterator_traitsISN_E10value_typeET2_T3_PNSO_IST_E10value_typeET4_T5_PSY_SZ_PNS1_23onesweep_lookback_stateEbbT6_jjT7_P12ihipStream_tbENKUlT_T0_SN_SS_E_clISG_SG_SI_SI_EEDaS16_S17_SN_SS_EUlS16_E_NS1_11comp_targetILNS1_3genE4ELNS1_11target_archE910ELNS1_3gpuE8ELNS1_3repE0EEENS1_47radix_sort_onesweep_sort_config_static_selectorELNS0_4arch9wavefront6targetE0EEEvSN_, .Lfunc_end179-_ZN7rocprim17ROCPRIM_400000_NS6detail17trampoline_kernelINS0_14default_configENS1_35radix_sort_onesweep_config_selectorIjN6thrust23THRUST_200600_302600_NS5tupleIffNS6_9null_typeES8_S8_S8_S8_S8_S8_S8_EEEEZZNS1_29radix_sort_onesweep_iterationIS3_Lb0ENS6_6detail15normal_iteratorINS6_10device_ptrIjEEEESG_NSD_INSE_IS9_EEEESI_jNS0_19identity_decomposerENS1_16block_id_wrapperIjLb1EEEEE10hipError_tT1_PNSt15iterator_traitsISN_E10value_typeET2_T3_PNSO_IST_E10value_typeET4_T5_PSY_SZ_PNS1_23onesweep_lookback_stateEbbT6_jjT7_P12ihipStream_tbENKUlT_T0_SN_SS_E_clISG_SG_SI_SI_EEDaS16_S17_SN_SS_EUlS16_E_NS1_11comp_targetILNS1_3genE4ELNS1_11target_archE910ELNS1_3gpuE8ELNS1_3repE0EEENS1_47radix_sort_onesweep_sort_config_static_selectorELNS0_4arch9wavefront6targetE0EEEvSN_
                                        ; -- End function
	.set _ZN7rocprim17ROCPRIM_400000_NS6detail17trampoline_kernelINS0_14default_configENS1_35radix_sort_onesweep_config_selectorIjN6thrust23THRUST_200600_302600_NS5tupleIffNS6_9null_typeES8_S8_S8_S8_S8_S8_S8_EEEEZZNS1_29radix_sort_onesweep_iterationIS3_Lb0ENS6_6detail15normal_iteratorINS6_10device_ptrIjEEEESG_NSD_INSE_IS9_EEEESI_jNS0_19identity_decomposerENS1_16block_id_wrapperIjLb1EEEEE10hipError_tT1_PNSt15iterator_traitsISN_E10value_typeET2_T3_PNSO_IST_E10value_typeET4_T5_PSY_SZ_PNS1_23onesweep_lookback_stateEbbT6_jjT7_P12ihipStream_tbENKUlT_T0_SN_SS_E_clISG_SG_SI_SI_EEDaS16_S17_SN_SS_EUlS16_E_NS1_11comp_targetILNS1_3genE4ELNS1_11target_archE910ELNS1_3gpuE8ELNS1_3repE0EEENS1_47radix_sort_onesweep_sort_config_static_selectorELNS0_4arch9wavefront6targetE0EEEvSN_.num_vgpr, 0
	.set _ZN7rocprim17ROCPRIM_400000_NS6detail17trampoline_kernelINS0_14default_configENS1_35radix_sort_onesweep_config_selectorIjN6thrust23THRUST_200600_302600_NS5tupleIffNS6_9null_typeES8_S8_S8_S8_S8_S8_S8_EEEEZZNS1_29radix_sort_onesweep_iterationIS3_Lb0ENS6_6detail15normal_iteratorINS6_10device_ptrIjEEEESG_NSD_INSE_IS9_EEEESI_jNS0_19identity_decomposerENS1_16block_id_wrapperIjLb1EEEEE10hipError_tT1_PNSt15iterator_traitsISN_E10value_typeET2_T3_PNSO_IST_E10value_typeET4_T5_PSY_SZ_PNS1_23onesweep_lookback_stateEbbT6_jjT7_P12ihipStream_tbENKUlT_T0_SN_SS_E_clISG_SG_SI_SI_EEDaS16_S17_SN_SS_EUlS16_E_NS1_11comp_targetILNS1_3genE4ELNS1_11target_archE910ELNS1_3gpuE8ELNS1_3repE0EEENS1_47radix_sort_onesweep_sort_config_static_selectorELNS0_4arch9wavefront6targetE0EEEvSN_.num_agpr, 0
	.set _ZN7rocprim17ROCPRIM_400000_NS6detail17trampoline_kernelINS0_14default_configENS1_35radix_sort_onesweep_config_selectorIjN6thrust23THRUST_200600_302600_NS5tupleIffNS6_9null_typeES8_S8_S8_S8_S8_S8_S8_EEEEZZNS1_29radix_sort_onesweep_iterationIS3_Lb0ENS6_6detail15normal_iteratorINS6_10device_ptrIjEEEESG_NSD_INSE_IS9_EEEESI_jNS0_19identity_decomposerENS1_16block_id_wrapperIjLb1EEEEE10hipError_tT1_PNSt15iterator_traitsISN_E10value_typeET2_T3_PNSO_IST_E10value_typeET4_T5_PSY_SZ_PNS1_23onesweep_lookback_stateEbbT6_jjT7_P12ihipStream_tbENKUlT_T0_SN_SS_E_clISG_SG_SI_SI_EEDaS16_S17_SN_SS_EUlS16_E_NS1_11comp_targetILNS1_3genE4ELNS1_11target_archE910ELNS1_3gpuE8ELNS1_3repE0EEENS1_47radix_sort_onesweep_sort_config_static_selectorELNS0_4arch9wavefront6targetE0EEEvSN_.numbered_sgpr, 0
	.set _ZN7rocprim17ROCPRIM_400000_NS6detail17trampoline_kernelINS0_14default_configENS1_35radix_sort_onesweep_config_selectorIjN6thrust23THRUST_200600_302600_NS5tupleIffNS6_9null_typeES8_S8_S8_S8_S8_S8_S8_EEEEZZNS1_29radix_sort_onesweep_iterationIS3_Lb0ENS6_6detail15normal_iteratorINS6_10device_ptrIjEEEESG_NSD_INSE_IS9_EEEESI_jNS0_19identity_decomposerENS1_16block_id_wrapperIjLb1EEEEE10hipError_tT1_PNSt15iterator_traitsISN_E10value_typeET2_T3_PNSO_IST_E10value_typeET4_T5_PSY_SZ_PNS1_23onesweep_lookback_stateEbbT6_jjT7_P12ihipStream_tbENKUlT_T0_SN_SS_E_clISG_SG_SI_SI_EEDaS16_S17_SN_SS_EUlS16_E_NS1_11comp_targetILNS1_3genE4ELNS1_11target_archE910ELNS1_3gpuE8ELNS1_3repE0EEENS1_47radix_sort_onesweep_sort_config_static_selectorELNS0_4arch9wavefront6targetE0EEEvSN_.num_named_barrier, 0
	.set _ZN7rocprim17ROCPRIM_400000_NS6detail17trampoline_kernelINS0_14default_configENS1_35radix_sort_onesweep_config_selectorIjN6thrust23THRUST_200600_302600_NS5tupleIffNS6_9null_typeES8_S8_S8_S8_S8_S8_S8_EEEEZZNS1_29radix_sort_onesweep_iterationIS3_Lb0ENS6_6detail15normal_iteratorINS6_10device_ptrIjEEEESG_NSD_INSE_IS9_EEEESI_jNS0_19identity_decomposerENS1_16block_id_wrapperIjLb1EEEEE10hipError_tT1_PNSt15iterator_traitsISN_E10value_typeET2_T3_PNSO_IST_E10value_typeET4_T5_PSY_SZ_PNS1_23onesweep_lookback_stateEbbT6_jjT7_P12ihipStream_tbENKUlT_T0_SN_SS_E_clISG_SG_SI_SI_EEDaS16_S17_SN_SS_EUlS16_E_NS1_11comp_targetILNS1_3genE4ELNS1_11target_archE910ELNS1_3gpuE8ELNS1_3repE0EEENS1_47radix_sort_onesweep_sort_config_static_selectorELNS0_4arch9wavefront6targetE0EEEvSN_.private_seg_size, 0
	.set _ZN7rocprim17ROCPRIM_400000_NS6detail17trampoline_kernelINS0_14default_configENS1_35radix_sort_onesweep_config_selectorIjN6thrust23THRUST_200600_302600_NS5tupleIffNS6_9null_typeES8_S8_S8_S8_S8_S8_S8_EEEEZZNS1_29radix_sort_onesweep_iterationIS3_Lb0ENS6_6detail15normal_iteratorINS6_10device_ptrIjEEEESG_NSD_INSE_IS9_EEEESI_jNS0_19identity_decomposerENS1_16block_id_wrapperIjLb1EEEEE10hipError_tT1_PNSt15iterator_traitsISN_E10value_typeET2_T3_PNSO_IST_E10value_typeET4_T5_PSY_SZ_PNS1_23onesweep_lookback_stateEbbT6_jjT7_P12ihipStream_tbENKUlT_T0_SN_SS_E_clISG_SG_SI_SI_EEDaS16_S17_SN_SS_EUlS16_E_NS1_11comp_targetILNS1_3genE4ELNS1_11target_archE910ELNS1_3gpuE8ELNS1_3repE0EEENS1_47radix_sort_onesweep_sort_config_static_selectorELNS0_4arch9wavefront6targetE0EEEvSN_.uses_vcc, 0
	.set _ZN7rocprim17ROCPRIM_400000_NS6detail17trampoline_kernelINS0_14default_configENS1_35radix_sort_onesweep_config_selectorIjN6thrust23THRUST_200600_302600_NS5tupleIffNS6_9null_typeES8_S8_S8_S8_S8_S8_S8_EEEEZZNS1_29radix_sort_onesweep_iterationIS3_Lb0ENS6_6detail15normal_iteratorINS6_10device_ptrIjEEEESG_NSD_INSE_IS9_EEEESI_jNS0_19identity_decomposerENS1_16block_id_wrapperIjLb1EEEEE10hipError_tT1_PNSt15iterator_traitsISN_E10value_typeET2_T3_PNSO_IST_E10value_typeET4_T5_PSY_SZ_PNS1_23onesweep_lookback_stateEbbT6_jjT7_P12ihipStream_tbENKUlT_T0_SN_SS_E_clISG_SG_SI_SI_EEDaS16_S17_SN_SS_EUlS16_E_NS1_11comp_targetILNS1_3genE4ELNS1_11target_archE910ELNS1_3gpuE8ELNS1_3repE0EEENS1_47radix_sort_onesweep_sort_config_static_selectorELNS0_4arch9wavefront6targetE0EEEvSN_.uses_flat_scratch, 0
	.set _ZN7rocprim17ROCPRIM_400000_NS6detail17trampoline_kernelINS0_14default_configENS1_35radix_sort_onesweep_config_selectorIjN6thrust23THRUST_200600_302600_NS5tupleIffNS6_9null_typeES8_S8_S8_S8_S8_S8_S8_EEEEZZNS1_29radix_sort_onesweep_iterationIS3_Lb0ENS6_6detail15normal_iteratorINS6_10device_ptrIjEEEESG_NSD_INSE_IS9_EEEESI_jNS0_19identity_decomposerENS1_16block_id_wrapperIjLb1EEEEE10hipError_tT1_PNSt15iterator_traitsISN_E10value_typeET2_T3_PNSO_IST_E10value_typeET4_T5_PSY_SZ_PNS1_23onesweep_lookback_stateEbbT6_jjT7_P12ihipStream_tbENKUlT_T0_SN_SS_E_clISG_SG_SI_SI_EEDaS16_S17_SN_SS_EUlS16_E_NS1_11comp_targetILNS1_3genE4ELNS1_11target_archE910ELNS1_3gpuE8ELNS1_3repE0EEENS1_47radix_sort_onesweep_sort_config_static_selectorELNS0_4arch9wavefront6targetE0EEEvSN_.has_dyn_sized_stack, 0
	.set _ZN7rocprim17ROCPRIM_400000_NS6detail17trampoline_kernelINS0_14default_configENS1_35radix_sort_onesweep_config_selectorIjN6thrust23THRUST_200600_302600_NS5tupleIffNS6_9null_typeES8_S8_S8_S8_S8_S8_S8_EEEEZZNS1_29radix_sort_onesweep_iterationIS3_Lb0ENS6_6detail15normal_iteratorINS6_10device_ptrIjEEEESG_NSD_INSE_IS9_EEEESI_jNS0_19identity_decomposerENS1_16block_id_wrapperIjLb1EEEEE10hipError_tT1_PNSt15iterator_traitsISN_E10value_typeET2_T3_PNSO_IST_E10value_typeET4_T5_PSY_SZ_PNS1_23onesweep_lookback_stateEbbT6_jjT7_P12ihipStream_tbENKUlT_T0_SN_SS_E_clISG_SG_SI_SI_EEDaS16_S17_SN_SS_EUlS16_E_NS1_11comp_targetILNS1_3genE4ELNS1_11target_archE910ELNS1_3gpuE8ELNS1_3repE0EEENS1_47radix_sort_onesweep_sort_config_static_selectorELNS0_4arch9wavefront6targetE0EEEvSN_.has_recursion, 0
	.set _ZN7rocprim17ROCPRIM_400000_NS6detail17trampoline_kernelINS0_14default_configENS1_35radix_sort_onesweep_config_selectorIjN6thrust23THRUST_200600_302600_NS5tupleIffNS6_9null_typeES8_S8_S8_S8_S8_S8_S8_EEEEZZNS1_29radix_sort_onesweep_iterationIS3_Lb0ENS6_6detail15normal_iteratorINS6_10device_ptrIjEEEESG_NSD_INSE_IS9_EEEESI_jNS0_19identity_decomposerENS1_16block_id_wrapperIjLb1EEEEE10hipError_tT1_PNSt15iterator_traitsISN_E10value_typeET2_T3_PNSO_IST_E10value_typeET4_T5_PSY_SZ_PNS1_23onesweep_lookback_stateEbbT6_jjT7_P12ihipStream_tbENKUlT_T0_SN_SS_E_clISG_SG_SI_SI_EEDaS16_S17_SN_SS_EUlS16_E_NS1_11comp_targetILNS1_3genE4ELNS1_11target_archE910ELNS1_3gpuE8ELNS1_3repE0EEENS1_47radix_sort_onesweep_sort_config_static_selectorELNS0_4arch9wavefront6targetE0EEEvSN_.has_indirect_call, 0
	.section	.AMDGPU.csdata,"",@progbits
; Kernel info:
; codeLenInByte = 0
; TotalNumSgprs: 0
; NumVgprs: 0
; ScratchSize: 0
; MemoryBound: 0
; FloatMode: 240
; IeeeMode: 1
; LDSByteSize: 0 bytes/workgroup (compile time only)
; SGPRBlocks: 0
; VGPRBlocks: 0
; NumSGPRsForWavesPerEU: 1
; NumVGPRsForWavesPerEU: 1
; Occupancy: 16
; WaveLimiterHint : 0
; COMPUTE_PGM_RSRC2:SCRATCH_EN: 0
; COMPUTE_PGM_RSRC2:USER_SGPR: 2
; COMPUTE_PGM_RSRC2:TRAP_HANDLER: 0
; COMPUTE_PGM_RSRC2:TGID_X_EN: 1
; COMPUTE_PGM_RSRC2:TGID_Y_EN: 0
; COMPUTE_PGM_RSRC2:TGID_Z_EN: 0
; COMPUTE_PGM_RSRC2:TIDIG_COMP_CNT: 0
	.section	.text._ZN7rocprim17ROCPRIM_400000_NS6detail17trampoline_kernelINS0_14default_configENS1_35radix_sort_onesweep_config_selectorIjN6thrust23THRUST_200600_302600_NS5tupleIffNS6_9null_typeES8_S8_S8_S8_S8_S8_S8_EEEEZZNS1_29radix_sort_onesweep_iterationIS3_Lb0ENS6_6detail15normal_iteratorINS6_10device_ptrIjEEEESG_NSD_INSE_IS9_EEEESI_jNS0_19identity_decomposerENS1_16block_id_wrapperIjLb1EEEEE10hipError_tT1_PNSt15iterator_traitsISN_E10value_typeET2_T3_PNSO_IST_E10value_typeET4_T5_PSY_SZ_PNS1_23onesweep_lookback_stateEbbT6_jjT7_P12ihipStream_tbENKUlT_T0_SN_SS_E_clISG_SG_SI_SI_EEDaS16_S17_SN_SS_EUlS16_E_NS1_11comp_targetILNS1_3genE3ELNS1_11target_archE908ELNS1_3gpuE7ELNS1_3repE0EEENS1_47radix_sort_onesweep_sort_config_static_selectorELNS0_4arch9wavefront6targetE0EEEvSN_,"axG",@progbits,_ZN7rocprim17ROCPRIM_400000_NS6detail17trampoline_kernelINS0_14default_configENS1_35radix_sort_onesweep_config_selectorIjN6thrust23THRUST_200600_302600_NS5tupleIffNS6_9null_typeES8_S8_S8_S8_S8_S8_S8_EEEEZZNS1_29radix_sort_onesweep_iterationIS3_Lb0ENS6_6detail15normal_iteratorINS6_10device_ptrIjEEEESG_NSD_INSE_IS9_EEEESI_jNS0_19identity_decomposerENS1_16block_id_wrapperIjLb1EEEEE10hipError_tT1_PNSt15iterator_traitsISN_E10value_typeET2_T3_PNSO_IST_E10value_typeET4_T5_PSY_SZ_PNS1_23onesweep_lookback_stateEbbT6_jjT7_P12ihipStream_tbENKUlT_T0_SN_SS_E_clISG_SG_SI_SI_EEDaS16_S17_SN_SS_EUlS16_E_NS1_11comp_targetILNS1_3genE3ELNS1_11target_archE908ELNS1_3gpuE7ELNS1_3repE0EEENS1_47radix_sort_onesweep_sort_config_static_selectorELNS0_4arch9wavefront6targetE0EEEvSN_,comdat
	.protected	_ZN7rocprim17ROCPRIM_400000_NS6detail17trampoline_kernelINS0_14default_configENS1_35radix_sort_onesweep_config_selectorIjN6thrust23THRUST_200600_302600_NS5tupleIffNS6_9null_typeES8_S8_S8_S8_S8_S8_S8_EEEEZZNS1_29radix_sort_onesweep_iterationIS3_Lb0ENS6_6detail15normal_iteratorINS6_10device_ptrIjEEEESG_NSD_INSE_IS9_EEEESI_jNS0_19identity_decomposerENS1_16block_id_wrapperIjLb1EEEEE10hipError_tT1_PNSt15iterator_traitsISN_E10value_typeET2_T3_PNSO_IST_E10value_typeET4_T5_PSY_SZ_PNS1_23onesweep_lookback_stateEbbT6_jjT7_P12ihipStream_tbENKUlT_T0_SN_SS_E_clISG_SG_SI_SI_EEDaS16_S17_SN_SS_EUlS16_E_NS1_11comp_targetILNS1_3genE3ELNS1_11target_archE908ELNS1_3gpuE7ELNS1_3repE0EEENS1_47radix_sort_onesweep_sort_config_static_selectorELNS0_4arch9wavefront6targetE0EEEvSN_ ; -- Begin function _ZN7rocprim17ROCPRIM_400000_NS6detail17trampoline_kernelINS0_14default_configENS1_35radix_sort_onesweep_config_selectorIjN6thrust23THRUST_200600_302600_NS5tupleIffNS6_9null_typeES8_S8_S8_S8_S8_S8_S8_EEEEZZNS1_29radix_sort_onesweep_iterationIS3_Lb0ENS6_6detail15normal_iteratorINS6_10device_ptrIjEEEESG_NSD_INSE_IS9_EEEESI_jNS0_19identity_decomposerENS1_16block_id_wrapperIjLb1EEEEE10hipError_tT1_PNSt15iterator_traitsISN_E10value_typeET2_T3_PNSO_IST_E10value_typeET4_T5_PSY_SZ_PNS1_23onesweep_lookback_stateEbbT6_jjT7_P12ihipStream_tbENKUlT_T0_SN_SS_E_clISG_SG_SI_SI_EEDaS16_S17_SN_SS_EUlS16_E_NS1_11comp_targetILNS1_3genE3ELNS1_11target_archE908ELNS1_3gpuE7ELNS1_3repE0EEENS1_47radix_sort_onesweep_sort_config_static_selectorELNS0_4arch9wavefront6targetE0EEEvSN_
	.globl	_ZN7rocprim17ROCPRIM_400000_NS6detail17trampoline_kernelINS0_14default_configENS1_35radix_sort_onesweep_config_selectorIjN6thrust23THRUST_200600_302600_NS5tupleIffNS6_9null_typeES8_S8_S8_S8_S8_S8_S8_EEEEZZNS1_29radix_sort_onesweep_iterationIS3_Lb0ENS6_6detail15normal_iteratorINS6_10device_ptrIjEEEESG_NSD_INSE_IS9_EEEESI_jNS0_19identity_decomposerENS1_16block_id_wrapperIjLb1EEEEE10hipError_tT1_PNSt15iterator_traitsISN_E10value_typeET2_T3_PNSO_IST_E10value_typeET4_T5_PSY_SZ_PNS1_23onesweep_lookback_stateEbbT6_jjT7_P12ihipStream_tbENKUlT_T0_SN_SS_E_clISG_SG_SI_SI_EEDaS16_S17_SN_SS_EUlS16_E_NS1_11comp_targetILNS1_3genE3ELNS1_11target_archE908ELNS1_3gpuE7ELNS1_3repE0EEENS1_47radix_sort_onesweep_sort_config_static_selectorELNS0_4arch9wavefront6targetE0EEEvSN_
	.p2align	8
	.type	_ZN7rocprim17ROCPRIM_400000_NS6detail17trampoline_kernelINS0_14default_configENS1_35radix_sort_onesweep_config_selectorIjN6thrust23THRUST_200600_302600_NS5tupleIffNS6_9null_typeES8_S8_S8_S8_S8_S8_S8_EEEEZZNS1_29radix_sort_onesweep_iterationIS3_Lb0ENS6_6detail15normal_iteratorINS6_10device_ptrIjEEEESG_NSD_INSE_IS9_EEEESI_jNS0_19identity_decomposerENS1_16block_id_wrapperIjLb1EEEEE10hipError_tT1_PNSt15iterator_traitsISN_E10value_typeET2_T3_PNSO_IST_E10value_typeET4_T5_PSY_SZ_PNS1_23onesweep_lookback_stateEbbT6_jjT7_P12ihipStream_tbENKUlT_T0_SN_SS_E_clISG_SG_SI_SI_EEDaS16_S17_SN_SS_EUlS16_E_NS1_11comp_targetILNS1_3genE3ELNS1_11target_archE908ELNS1_3gpuE7ELNS1_3repE0EEENS1_47radix_sort_onesweep_sort_config_static_selectorELNS0_4arch9wavefront6targetE0EEEvSN_,@function
_ZN7rocprim17ROCPRIM_400000_NS6detail17trampoline_kernelINS0_14default_configENS1_35radix_sort_onesweep_config_selectorIjN6thrust23THRUST_200600_302600_NS5tupleIffNS6_9null_typeES8_S8_S8_S8_S8_S8_S8_EEEEZZNS1_29radix_sort_onesweep_iterationIS3_Lb0ENS6_6detail15normal_iteratorINS6_10device_ptrIjEEEESG_NSD_INSE_IS9_EEEESI_jNS0_19identity_decomposerENS1_16block_id_wrapperIjLb1EEEEE10hipError_tT1_PNSt15iterator_traitsISN_E10value_typeET2_T3_PNSO_IST_E10value_typeET4_T5_PSY_SZ_PNS1_23onesweep_lookback_stateEbbT6_jjT7_P12ihipStream_tbENKUlT_T0_SN_SS_E_clISG_SG_SI_SI_EEDaS16_S17_SN_SS_EUlS16_E_NS1_11comp_targetILNS1_3genE3ELNS1_11target_archE908ELNS1_3gpuE7ELNS1_3repE0EEENS1_47radix_sort_onesweep_sort_config_static_selectorELNS0_4arch9wavefront6targetE0EEEvSN_: ; @_ZN7rocprim17ROCPRIM_400000_NS6detail17trampoline_kernelINS0_14default_configENS1_35radix_sort_onesweep_config_selectorIjN6thrust23THRUST_200600_302600_NS5tupleIffNS6_9null_typeES8_S8_S8_S8_S8_S8_S8_EEEEZZNS1_29radix_sort_onesweep_iterationIS3_Lb0ENS6_6detail15normal_iteratorINS6_10device_ptrIjEEEESG_NSD_INSE_IS9_EEEESI_jNS0_19identity_decomposerENS1_16block_id_wrapperIjLb1EEEEE10hipError_tT1_PNSt15iterator_traitsISN_E10value_typeET2_T3_PNSO_IST_E10value_typeET4_T5_PSY_SZ_PNS1_23onesweep_lookback_stateEbbT6_jjT7_P12ihipStream_tbENKUlT_T0_SN_SS_E_clISG_SG_SI_SI_EEDaS16_S17_SN_SS_EUlS16_E_NS1_11comp_targetILNS1_3genE3ELNS1_11target_archE908ELNS1_3gpuE7ELNS1_3repE0EEENS1_47radix_sort_onesweep_sort_config_static_selectorELNS0_4arch9wavefront6targetE0EEEvSN_
; %bb.0:
	.section	.rodata,"a",@progbits
	.p2align	6, 0x0
	.amdhsa_kernel _ZN7rocprim17ROCPRIM_400000_NS6detail17trampoline_kernelINS0_14default_configENS1_35radix_sort_onesweep_config_selectorIjN6thrust23THRUST_200600_302600_NS5tupleIffNS6_9null_typeES8_S8_S8_S8_S8_S8_S8_EEEEZZNS1_29radix_sort_onesweep_iterationIS3_Lb0ENS6_6detail15normal_iteratorINS6_10device_ptrIjEEEESG_NSD_INSE_IS9_EEEESI_jNS0_19identity_decomposerENS1_16block_id_wrapperIjLb1EEEEE10hipError_tT1_PNSt15iterator_traitsISN_E10value_typeET2_T3_PNSO_IST_E10value_typeET4_T5_PSY_SZ_PNS1_23onesweep_lookback_stateEbbT6_jjT7_P12ihipStream_tbENKUlT_T0_SN_SS_E_clISG_SG_SI_SI_EEDaS16_S17_SN_SS_EUlS16_E_NS1_11comp_targetILNS1_3genE3ELNS1_11target_archE908ELNS1_3gpuE7ELNS1_3repE0EEENS1_47radix_sort_onesweep_sort_config_static_selectorELNS0_4arch9wavefront6targetE0EEEvSN_
		.amdhsa_group_segment_fixed_size 0
		.amdhsa_private_segment_fixed_size 0
		.amdhsa_kernarg_size 88
		.amdhsa_user_sgpr_count 2
		.amdhsa_user_sgpr_dispatch_ptr 0
		.amdhsa_user_sgpr_queue_ptr 0
		.amdhsa_user_sgpr_kernarg_segment_ptr 1
		.amdhsa_user_sgpr_dispatch_id 0
		.amdhsa_user_sgpr_private_segment_size 0
		.amdhsa_wavefront_size32 1
		.amdhsa_uses_dynamic_stack 0
		.amdhsa_enable_private_segment 0
		.amdhsa_system_sgpr_workgroup_id_x 1
		.amdhsa_system_sgpr_workgroup_id_y 0
		.amdhsa_system_sgpr_workgroup_id_z 0
		.amdhsa_system_sgpr_workgroup_info 0
		.amdhsa_system_vgpr_workitem_id 0
		.amdhsa_next_free_vgpr 1
		.amdhsa_next_free_sgpr 1
		.amdhsa_reserve_vcc 0
		.amdhsa_float_round_mode_32 0
		.amdhsa_float_round_mode_16_64 0
		.amdhsa_float_denorm_mode_32 3
		.amdhsa_float_denorm_mode_16_64 3
		.amdhsa_fp16_overflow 0
		.amdhsa_workgroup_processor_mode 1
		.amdhsa_memory_ordered 1
		.amdhsa_forward_progress 1
		.amdhsa_inst_pref_size 0
		.amdhsa_round_robin_scheduling 0
		.amdhsa_exception_fp_ieee_invalid_op 0
		.amdhsa_exception_fp_denorm_src 0
		.amdhsa_exception_fp_ieee_div_zero 0
		.amdhsa_exception_fp_ieee_overflow 0
		.amdhsa_exception_fp_ieee_underflow 0
		.amdhsa_exception_fp_ieee_inexact 0
		.amdhsa_exception_int_div_zero 0
	.end_amdhsa_kernel
	.section	.text._ZN7rocprim17ROCPRIM_400000_NS6detail17trampoline_kernelINS0_14default_configENS1_35radix_sort_onesweep_config_selectorIjN6thrust23THRUST_200600_302600_NS5tupleIffNS6_9null_typeES8_S8_S8_S8_S8_S8_S8_EEEEZZNS1_29radix_sort_onesweep_iterationIS3_Lb0ENS6_6detail15normal_iteratorINS6_10device_ptrIjEEEESG_NSD_INSE_IS9_EEEESI_jNS0_19identity_decomposerENS1_16block_id_wrapperIjLb1EEEEE10hipError_tT1_PNSt15iterator_traitsISN_E10value_typeET2_T3_PNSO_IST_E10value_typeET4_T5_PSY_SZ_PNS1_23onesweep_lookback_stateEbbT6_jjT7_P12ihipStream_tbENKUlT_T0_SN_SS_E_clISG_SG_SI_SI_EEDaS16_S17_SN_SS_EUlS16_E_NS1_11comp_targetILNS1_3genE3ELNS1_11target_archE908ELNS1_3gpuE7ELNS1_3repE0EEENS1_47radix_sort_onesweep_sort_config_static_selectorELNS0_4arch9wavefront6targetE0EEEvSN_,"axG",@progbits,_ZN7rocprim17ROCPRIM_400000_NS6detail17trampoline_kernelINS0_14default_configENS1_35radix_sort_onesweep_config_selectorIjN6thrust23THRUST_200600_302600_NS5tupleIffNS6_9null_typeES8_S8_S8_S8_S8_S8_S8_EEEEZZNS1_29radix_sort_onesweep_iterationIS3_Lb0ENS6_6detail15normal_iteratorINS6_10device_ptrIjEEEESG_NSD_INSE_IS9_EEEESI_jNS0_19identity_decomposerENS1_16block_id_wrapperIjLb1EEEEE10hipError_tT1_PNSt15iterator_traitsISN_E10value_typeET2_T3_PNSO_IST_E10value_typeET4_T5_PSY_SZ_PNS1_23onesweep_lookback_stateEbbT6_jjT7_P12ihipStream_tbENKUlT_T0_SN_SS_E_clISG_SG_SI_SI_EEDaS16_S17_SN_SS_EUlS16_E_NS1_11comp_targetILNS1_3genE3ELNS1_11target_archE908ELNS1_3gpuE7ELNS1_3repE0EEENS1_47radix_sort_onesweep_sort_config_static_selectorELNS0_4arch9wavefront6targetE0EEEvSN_,comdat
.Lfunc_end180:
	.size	_ZN7rocprim17ROCPRIM_400000_NS6detail17trampoline_kernelINS0_14default_configENS1_35radix_sort_onesweep_config_selectorIjN6thrust23THRUST_200600_302600_NS5tupleIffNS6_9null_typeES8_S8_S8_S8_S8_S8_S8_EEEEZZNS1_29radix_sort_onesweep_iterationIS3_Lb0ENS6_6detail15normal_iteratorINS6_10device_ptrIjEEEESG_NSD_INSE_IS9_EEEESI_jNS0_19identity_decomposerENS1_16block_id_wrapperIjLb1EEEEE10hipError_tT1_PNSt15iterator_traitsISN_E10value_typeET2_T3_PNSO_IST_E10value_typeET4_T5_PSY_SZ_PNS1_23onesweep_lookback_stateEbbT6_jjT7_P12ihipStream_tbENKUlT_T0_SN_SS_E_clISG_SG_SI_SI_EEDaS16_S17_SN_SS_EUlS16_E_NS1_11comp_targetILNS1_3genE3ELNS1_11target_archE908ELNS1_3gpuE7ELNS1_3repE0EEENS1_47radix_sort_onesweep_sort_config_static_selectorELNS0_4arch9wavefront6targetE0EEEvSN_, .Lfunc_end180-_ZN7rocprim17ROCPRIM_400000_NS6detail17trampoline_kernelINS0_14default_configENS1_35radix_sort_onesweep_config_selectorIjN6thrust23THRUST_200600_302600_NS5tupleIffNS6_9null_typeES8_S8_S8_S8_S8_S8_S8_EEEEZZNS1_29radix_sort_onesweep_iterationIS3_Lb0ENS6_6detail15normal_iteratorINS6_10device_ptrIjEEEESG_NSD_INSE_IS9_EEEESI_jNS0_19identity_decomposerENS1_16block_id_wrapperIjLb1EEEEE10hipError_tT1_PNSt15iterator_traitsISN_E10value_typeET2_T3_PNSO_IST_E10value_typeET4_T5_PSY_SZ_PNS1_23onesweep_lookback_stateEbbT6_jjT7_P12ihipStream_tbENKUlT_T0_SN_SS_E_clISG_SG_SI_SI_EEDaS16_S17_SN_SS_EUlS16_E_NS1_11comp_targetILNS1_3genE3ELNS1_11target_archE908ELNS1_3gpuE7ELNS1_3repE0EEENS1_47radix_sort_onesweep_sort_config_static_selectorELNS0_4arch9wavefront6targetE0EEEvSN_
                                        ; -- End function
	.set _ZN7rocprim17ROCPRIM_400000_NS6detail17trampoline_kernelINS0_14default_configENS1_35radix_sort_onesweep_config_selectorIjN6thrust23THRUST_200600_302600_NS5tupleIffNS6_9null_typeES8_S8_S8_S8_S8_S8_S8_EEEEZZNS1_29radix_sort_onesweep_iterationIS3_Lb0ENS6_6detail15normal_iteratorINS6_10device_ptrIjEEEESG_NSD_INSE_IS9_EEEESI_jNS0_19identity_decomposerENS1_16block_id_wrapperIjLb1EEEEE10hipError_tT1_PNSt15iterator_traitsISN_E10value_typeET2_T3_PNSO_IST_E10value_typeET4_T5_PSY_SZ_PNS1_23onesweep_lookback_stateEbbT6_jjT7_P12ihipStream_tbENKUlT_T0_SN_SS_E_clISG_SG_SI_SI_EEDaS16_S17_SN_SS_EUlS16_E_NS1_11comp_targetILNS1_3genE3ELNS1_11target_archE908ELNS1_3gpuE7ELNS1_3repE0EEENS1_47radix_sort_onesweep_sort_config_static_selectorELNS0_4arch9wavefront6targetE0EEEvSN_.num_vgpr, 0
	.set _ZN7rocprim17ROCPRIM_400000_NS6detail17trampoline_kernelINS0_14default_configENS1_35radix_sort_onesweep_config_selectorIjN6thrust23THRUST_200600_302600_NS5tupleIffNS6_9null_typeES8_S8_S8_S8_S8_S8_S8_EEEEZZNS1_29radix_sort_onesweep_iterationIS3_Lb0ENS6_6detail15normal_iteratorINS6_10device_ptrIjEEEESG_NSD_INSE_IS9_EEEESI_jNS0_19identity_decomposerENS1_16block_id_wrapperIjLb1EEEEE10hipError_tT1_PNSt15iterator_traitsISN_E10value_typeET2_T3_PNSO_IST_E10value_typeET4_T5_PSY_SZ_PNS1_23onesweep_lookback_stateEbbT6_jjT7_P12ihipStream_tbENKUlT_T0_SN_SS_E_clISG_SG_SI_SI_EEDaS16_S17_SN_SS_EUlS16_E_NS1_11comp_targetILNS1_3genE3ELNS1_11target_archE908ELNS1_3gpuE7ELNS1_3repE0EEENS1_47radix_sort_onesweep_sort_config_static_selectorELNS0_4arch9wavefront6targetE0EEEvSN_.num_agpr, 0
	.set _ZN7rocprim17ROCPRIM_400000_NS6detail17trampoline_kernelINS0_14default_configENS1_35radix_sort_onesweep_config_selectorIjN6thrust23THRUST_200600_302600_NS5tupleIffNS6_9null_typeES8_S8_S8_S8_S8_S8_S8_EEEEZZNS1_29radix_sort_onesweep_iterationIS3_Lb0ENS6_6detail15normal_iteratorINS6_10device_ptrIjEEEESG_NSD_INSE_IS9_EEEESI_jNS0_19identity_decomposerENS1_16block_id_wrapperIjLb1EEEEE10hipError_tT1_PNSt15iterator_traitsISN_E10value_typeET2_T3_PNSO_IST_E10value_typeET4_T5_PSY_SZ_PNS1_23onesweep_lookback_stateEbbT6_jjT7_P12ihipStream_tbENKUlT_T0_SN_SS_E_clISG_SG_SI_SI_EEDaS16_S17_SN_SS_EUlS16_E_NS1_11comp_targetILNS1_3genE3ELNS1_11target_archE908ELNS1_3gpuE7ELNS1_3repE0EEENS1_47radix_sort_onesweep_sort_config_static_selectorELNS0_4arch9wavefront6targetE0EEEvSN_.numbered_sgpr, 0
	.set _ZN7rocprim17ROCPRIM_400000_NS6detail17trampoline_kernelINS0_14default_configENS1_35radix_sort_onesweep_config_selectorIjN6thrust23THRUST_200600_302600_NS5tupleIffNS6_9null_typeES8_S8_S8_S8_S8_S8_S8_EEEEZZNS1_29radix_sort_onesweep_iterationIS3_Lb0ENS6_6detail15normal_iteratorINS6_10device_ptrIjEEEESG_NSD_INSE_IS9_EEEESI_jNS0_19identity_decomposerENS1_16block_id_wrapperIjLb1EEEEE10hipError_tT1_PNSt15iterator_traitsISN_E10value_typeET2_T3_PNSO_IST_E10value_typeET4_T5_PSY_SZ_PNS1_23onesweep_lookback_stateEbbT6_jjT7_P12ihipStream_tbENKUlT_T0_SN_SS_E_clISG_SG_SI_SI_EEDaS16_S17_SN_SS_EUlS16_E_NS1_11comp_targetILNS1_3genE3ELNS1_11target_archE908ELNS1_3gpuE7ELNS1_3repE0EEENS1_47radix_sort_onesweep_sort_config_static_selectorELNS0_4arch9wavefront6targetE0EEEvSN_.num_named_barrier, 0
	.set _ZN7rocprim17ROCPRIM_400000_NS6detail17trampoline_kernelINS0_14default_configENS1_35radix_sort_onesweep_config_selectorIjN6thrust23THRUST_200600_302600_NS5tupleIffNS6_9null_typeES8_S8_S8_S8_S8_S8_S8_EEEEZZNS1_29radix_sort_onesweep_iterationIS3_Lb0ENS6_6detail15normal_iteratorINS6_10device_ptrIjEEEESG_NSD_INSE_IS9_EEEESI_jNS0_19identity_decomposerENS1_16block_id_wrapperIjLb1EEEEE10hipError_tT1_PNSt15iterator_traitsISN_E10value_typeET2_T3_PNSO_IST_E10value_typeET4_T5_PSY_SZ_PNS1_23onesweep_lookback_stateEbbT6_jjT7_P12ihipStream_tbENKUlT_T0_SN_SS_E_clISG_SG_SI_SI_EEDaS16_S17_SN_SS_EUlS16_E_NS1_11comp_targetILNS1_3genE3ELNS1_11target_archE908ELNS1_3gpuE7ELNS1_3repE0EEENS1_47radix_sort_onesweep_sort_config_static_selectorELNS0_4arch9wavefront6targetE0EEEvSN_.private_seg_size, 0
	.set _ZN7rocprim17ROCPRIM_400000_NS6detail17trampoline_kernelINS0_14default_configENS1_35radix_sort_onesweep_config_selectorIjN6thrust23THRUST_200600_302600_NS5tupleIffNS6_9null_typeES8_S8_S8_S8_S8_S8_S8_EEEEZZNS1_29radix_sort_onesweep_iterationIS3_Lb0ENS6_6detail15normal_iteratorINS6_10device_ptrIjEEEESG_NSD_INSE_IS9_EEEESI_jNS0_19identity_decomposerENS1_16block_id_wrapperIjLb1EEEEE10hipError_tT1_PNSt15iterator_traitsISN_E10value_typeET2_T3_PNSO_IST_E10value_typeET4_T5_PSY_SZ_PNS1_23onesweep_lookback_stateEbbT6_jjT7_P12ihipStream_tbENKUlT_T0_SN_SS_E_clISG_SG_SI_SI_EEDaS16_S17_SN_SS_EUlS16_E_NS1_11comp_targetILNS1_3genE3ELNS1_11target_archE908ELNS1_3gpuE7ELNS1_3repE0EEENS1_47radix_sort_onesweep_sort_config_static_selectorELNS0_4arch9wavefront6targetE0EEEvSN_.uses_vcc, 0
	.set _ZN7rocprim17ROCPRIM_400000_NS6detail17trampoline_kernelINS0_14default_configENS1_35radix_sort_onesweep_config_selectorIjN6thrust23THRUST_200600_302600_NS5tupleIffNS6_9null_typeES8_S8_S8_S8_S8_S8_S8_EEEEZZNS1_29radix_sort_onesweep_iterationIS3_Lb0ENS6_6detail15normal_iteratorINS6_10device_ptrIjEEEESG_NSD_INSE_IS9_EEEESI_jNS0_19identity_decomposerENS1_16block_id_wrapperIjLb1EEEEE10hipError_tT1_PNSt15iterator_traitsISN_E10value_typeET2_T3_PNSO_IST_E10value_typeET4_T5_PSY_SZ_PNS1_23onesweep_lookback_stateEbbT6_jjT7_P12ihipStream_tbENKUlT_T0_SN_SS_E_clISG_SG_SI_SI_EEDaS16_S17_SN_SS_EUlS16_E_NS1_11comp_targetILNS1_3genE3ELNS1_11target_archE908ELNS1_3gpuE7ELNS1_3repE0EEENS1_47radix_sort_onesweep_sort_config_static_selectorELNS0_4arch9wavefront6targetE0EEEvSN_.uses_flat_scratch, 0
	.set _ZN7rocprim17ROCPRIM_400000_NS6detail17trampoline_kernelINS0_14default_configENS1_35radix_sort_onesweep_config_selectorIjN6thrust23THRUST_200600_302600_NS5tupleIffNS6_9null_typeES8_S8_S8_S8_S8_S8_S8_EEEEZZNS1_29radix_sort_onesweep_iterationIS3_Lb0ENS6_6detail15normal_iteratorINS6_10device_ptrIjEEEESG_NSD_INSE_IS9_EEEESI_jNS0_19identity_decomposerENS1_16block_id_wrapperIjLb1EEEEE10hipError_tT1_PNSt15iterator_traitsISN_E10value_typeET2_T3_PNSO_IST_E10value_typeET4_T5_PSY_SZ_PNS1_23onesweep_lookback_stateEbbT6_jjT7_P12ihipStream_tbENKUlT_T0_SN_SS_E_clISG_SG_SI_SI_EEDaS16_S17_SN_SS_EUlS16_E_NS1_11comp_targetILNS1_3genE3ELNS1_11target_archE908ELNS1_3gpuE7ELNS1_3repE0EEENS1_47radix_sort_onesweep_sort_config_static_selectorELNS0_4arch9wavefront6targetE0EEEvSN_.has_dyn_sized_stack, 0
	.set _ZN7rocprim17ROCPRIM_400000_NS6detail17trampoline_kernelINS0_14default_configENS1_35radix_sort_onesweep_config_selectorIjN6thrust23THRUST_200600_302600_NS5tupleIffNS6_9null_typeES8_S8_S8_S8_S8_S8_S8_EEEEZZNS1_29radix_sort_onesweep_iterationIS3_Lb0ENS6_6detail15normal_iteratorINS6_10device_ptrIjEEEESG_NSD_INSE_IS9_EEEESI_jNS0_19identity_decomposerENS1_16block_id_wrapperIjLb1EEEEE10hipError_tT1_PNSt15iterator_traitsISN_E10value_typeET2_T3_PNSO_IST_E10value_typeET4_T5_PSY_SZ_PNS1_23onesweep_lookback_stateEbbT6_jjT7_P12ihipStream_tbENKUlT_T0_SN_SS_E_clISG_SG_SI_SI_EEDaS16_S17_SN_SS_EUlS16_E_NS1_11comp_targetILNS1_3genE3ELNS1_11target_archE908ELNS1_3gpuE7ELNS1_3repE0EEENS1_47radix_sort_onesweep_sort_config_static_selectorELNS0_4arch9wavefront6targetE0EEEvSN_.has_recursion, 0
	.set _ZN7rocprim17ROCPRIM_400000_NS6detail17trampoline_kernelINS0_14default_configENS1_35radix_sort_onesweep_config_selectorIjN6thrust23THRUST_200600_302600_NS5tupleIffNS6_9null_typeES8_S8_S8_S8_S8_S8_S8_EEEEZZNS1_29radix_sort_onesweep_iterationIS3_Lb0ENS6_6detail15normal_iteratorINS6_10device_ptrIjEEEESG_NSD_INSE_IS9_EEEESI_jNS0_19identity_decomposerENS1_16block_id_wrapperIjLb1EEEEE10hipError_tT1_PNSt15iterator_traitsISN_E10value_typeET2_T3_PNSO_IST_E10value_typeET4_T5_PSY_SZ_PNS1_23onesweep_lookback_stateEbbT6_jjT7_P12ihipStream_tbENKUlT_T0_SN_SS_E_clISG_SG_SI_SI_EEDaS16_S17_SN_SS_EUlS16_E_NS1_11comp_targetILNS1_3genE3ELNS1_11target_archE908ELNS1_3gpuE7ELNS1_3repE0EEENS1_47radix_sort_onesweep_sort_config_static_selectorELNS0_4arch9wavefront6targetE0EEEvSN_.has_indirect_call, 0
	.section	.AMDGPU.csdata,"",@progbits
; Kernel info:
; codeLenInByte = 0
; TotalNumSgprs: 0
; NumVgprs: 0
; ScratchSize: 0
; MemoryBound: 0
; FloatMode: 240
; IeeeMode: 1
; LDSByteSize: 0 bytes/workgroup (compile time only)
; SGPRBlocks: 0
; VGPRBlocks: 0
; NumSGPRsForWavesPerEU: 1
; NumVGPRsForWavesPerEU: 1
; Occupancy: 16
; WaveLimiterHint : 0
; COMPUTE_PGM_RSRC2:SCRATCH_EN: 0
; COMPUTE_PGM_RSRC2:USER_SGPR: 2
; COMPUTE_PGM_RSRC2:TRAP_HANDLER: 0
; COMPUTE_PGM_RSRC2:TGID_X_EN: 1
; COMPUTE_PGM_RSRC2:TGID_Y_EN: 0
; COMPUTE_PGM_RSRC2:TGID_Z_EN: 0
; COMPUTE_PGM_RSRC2:TIDIG_COMP_CNT: 0
	.section	.text._ZN7rocprim17ROCPRIM_400000_NS6detail17trampoline_kernelINS0_14default_configENS1_35radix_sort_onesweep_config_selectorIjN6thrust23THRUST_200600_302600_NS5tupleIffNS6_9null_typeES8_S8_S8_S8_S8_S8_S8_EEEEZZNS1_29radix_sort_onesweep_iterationIS3_Lb0ENS6_6detail15normal_iteratorINS6_10device_ptrIjEEEESG_NSD_INSE_IS9_EEEESI_jNS0_19identity_decomposerENS1_16block_id_wrapperIjLb1EEEEE10hipError_tT1_PNSt15iterator_traitsISN_E10value_typeET2_T3_PNSO_IST_E10value_typeET4_T5_PSY_SZ_PNS1_23onesweep_lookback_stateEbbT6_jjT7_P12ihipStream_tbENKUlT_T0_SN_SS_E_clISG_SG_SI_SI_EEDaS16_S17_SN_SS_EUlS16_E_NS1_11comp_targetILNS1_3genE10ELNS1_11target_archE1201ELNS1_3gpuE5ELNS1_3repE0EEENS1_47radix_sort_onesweep_sort_config_static_selectorELNS0_4arch9wavefront6targetE0EEEvSN_,"axG",@progbits,_ZN7rocprim17ROCPRIM_400000_NS6detail17trampoline_kernelINS0_14default_configENS1_35radix_sort_onesweep_config_selectorIjN6thrust23THRUST_200600_302600_NS5tupleIffNS6_9null_typeES8_S8_S8_S8_S8_S8_S8_EEEEZZNS1_29radix_sort_onesweep_iterationIS3_Lb0ENS6_6detail15normal_iteratorINS6_10device_ptrIjEEEESG_NSD_INSE_IS9_EEEESI_jNS0_19identity_decomposerENS1_16block_id_wrapperIjLb1EEEEE10hipError_tT1_PNSt15iterator_traitsISN_E10value_typeET2_T3_PNSO_IST_E10value_typeET4_T5_PSY_SZ_PNS1_23onesweep_lookback_stateEbbT6_jjT7_P12ihipStream_tbENKUlT_T0_SN_SS_E_clISG_SG_SI_SI_EEDaS16_S17_SN_SS_EUlS16_E_NS1_11comp_targetILNS1_3genE10ELNS1_11target_archE1201ELNS1_3gpuE5ELNS1_3repE0EEENS1_47radix_sort_onesweep_sort_config_static_selectorELNS0_4arch9wavefront6targetE0EEEvSN_,comdat
	.protected	_ZN7rocprim17ROCPRIM_400000_NS6detail17trampoline_kernelINS0_14default_configENS1_35radix_sort_onesweep_config_selectorIjN6thrust23THRUST_200600_302600_NS5tupleIffNS6_9null_typeES8_S8_S8_S8_S8_S8_S8_EEEEZZNS1_29radix_sort_onesweep_iterationIS3_Lb0ENS6_6detail15normal_iteratorINS6_10device_ptrIjEEEESG_NSD_INSE_IS9_EEEESI_jNS0_19identity_decomposerENS1_16block_id_wrapperIjLb1EEEEE10hipError_tT1_PNSt15iterator_traitsISN_E10value_typeET2_T3_PNSO_IST_E10value_typeET4_T5_PSY_SZ_PNS1_23onesweep_lookback_stateEbbT6_jjT7_P12ihipStream_tbENKUlT_T0_SN_SS_E_clISG_SG_SI_SI_EEDaS16_S17_SN_SS_EUlS16_E_NS1_11comp_targetILNS1_3genE10ELNS1_11target_archE1201ELNS1_3gpuE5ELNS1_3repE0EEENS1_47radix_sort_onesweep_sort_config_static_selectorELNS0_4arch9wavefront6targetE0EEEvSN_ ; -- Begin function _ZN7rocprim17ROCPRIM_400000_NS6detail17trampoline_kernelINS0_14default_configENS1_35radix_sort_onesweep_config_selectorIjN6thrust23THRUST_200600_302600_NS5tupleIffNS6_9null_typeES8_S8_S8_S8_S8_S8_S8_EEEEZZNS1_29radix_sort_onesweep_iterationIS3_Lb0ENS6_6detail15normal_iteratorINS6_10device_ptrIjEEEESG_NSD_INSE_IS9_EEEESI_jNS0_19identity_decomposerENS1_16block_id_wrapperIjLb1EEEEE10hipError_tT1_PNSt15iterator_traitsISN_E10value_typeET2_T3_PNSO_IST_E10value_typeET4_T5_PSY_SZ_PNS1_23onesweep_lookback_stateEbbT6_jjT7_P12ihipStream_tbENKUlT_T0_SN_SS_E_clISG_SG_SI_SI_EEDaS16_S17_SN_SS_EUlS16_E_NS1_11comp_targetILNS1_3genE10ELNS1_11target_archE1201ELNS1_3gpuE5ELNS1_3repE0EEENS1_47radix_sort_onesweep_sort_config_static_selectorELNS0_4arch9wavefront6targetE0EEEvSN_
	.globl	_ZN7rocprim17ROCPRIM_400000_NS6detail17trampoline_kernelINS0_14default_configENS1_35radix_sort_onesweep_config_selectorIjN6thrust23THRUST_200600_302600_NS5tupleIffNS6_9null_typeES8_S8_S8_S8_S8_S8_S8_EEEEZZNS1_29radix_sort_onesweep_iterationIS3_Lb0ENS6_6detail15normal_iteratorINS6_10device_ptrIjEEEESG_NSD_INSE_IS9_EEEESI_jNS0_19identity_decomposerENS1_16block_id_wrapperIjLb1EEEEE10hipError_tT1_PNSt15iterator_traitsISN_E10value_typeET2_T3_PNSO_IST_E10value_typeET4_T5_PSY_SZ_PNS1_23onesweep_lookback_stateEbbT6_jjT7_P12ihipStream_tbENKUlT_T0_SN_SS_E_clISG_SG_SI_SI_EEDaS16_S17_SN_SS_EUlS16_E_NS1_11comp_targetILNS1_3genE10ELNS1_11target_archE1201ELNS1_3gpuE5ELNS1_3repE0EEENS1_47radix_sort_onesweep_sort_config_static_selectorELNS0_4arch9wavefront6targetE0EEEvSN_
	.p2align	8
	.type	_ZN7rocprim17ROCPRIM_400000_NS6detail17trampoline_kernelINS0_14default_configENS1_35radix_sort_onesweep_config_selectorIjN6thrust23THRUST_200600_302600_NS5tupleIffNS6_9null_typeES8_S8_S8_S8_S8_S8_S8_EEEEZZNS1_29radix_sort_onesweep_iterationIS3_Lb0ENS6_6detail15normal_iteratorINS6_10device_ptrIjEEEESG_NSD_INSE_IS9_EEEESI_jNS0_19identity_decomposerENS1_16block_id_wrapperIjLb1EEEEE10hipError_tT1_PNSt15iterator_traitsISN_E10value_typeET2_T3_PNSO_IST_E10value_typeET4_T5_PSY_SZ_PNS1_23onesweep_lookback_stateEbbT6_jjT7_P12ihipStream_tbENKUlT_T0_SN_SS_E_clISG_SG_SI_SI_EEDaS16_S17_SN_SS_EUlS16_E_NS1_11comp_targetILNS1_3genE10ELNS1_11target_archE1201ELNS1_3gpuE5ELNS1_3repE0EEENS1_47radix_sort_onesweep_sort_config_static_selectorELNS0_4arch9wavefront6targetE0EEEvSN_,@function
_ZN7rocprim17ROCPRIM_400000_NS6detail17trampoline_kernelINS0_14default_configENS1_35radix_sort_onesweep_config_selectorIjN6thrust23THRUST_200600_302600_NS5tupleIffNS6_9null_typeES8_S8_S8_S8_S8_S8_S8_EEEEZZNS1_29radix_sort_onesweep_iterationIS3_Lb0ENS6_6detail15normal_iteratorINS6_10device_ptrIjEEEESG_NSD_INSE_IS9_EEEESI_jNS0_19identity_decomposerENS1_16block_id_wrapperIjLb1EEEEE10hipError_tT1_PNSt15iterator_traitsISN_E10value_typeET2_T3_PNSO_IST_E10value_typeET4_T5_PSY_SZ_PNS1_23onesweep_lookback_stateEbbT6_jjT7_P12ihipStream_tbENKUlT_T0_SN_SS_E_clISG_SG_SI_SI_EEDaS16_S17_SN_SS_EUlS16_E_NS1_11comp_targetILNS1_3genE10ELNS1_11target_archE1201ELNS1_3gpuE5ELNS1_3repE0EEENS1_47radix_sort_onesweep_sort_config_static_selectorELNS0_4arch9wavefront6targetE0EEEvSN_: ; @_ZN7rocprim17ROCPRIM_400000_NS6detail17trampoline_kernelINS0_14default_configENS1_35radix_sort_onesweep_config_selectorIjN6thrust23THRUST_200600_302600_NS5tupleIffNS6_9null_typeES8_S8_S8_S8_S8_S8_S8_EEEEZZNS1_29radix_sort_onesweep_iterationIS3_Lb0ENS6_6detail15normal_iteratorINS6_10device_ptrIjEEEESG_NSD_INSE_IS9_EEEESI_jNS0_19identity_decomposerENS1_16block_id_wrapperIjLb1EEEEE10hipError_tT1_PNSt15iterator_traitsISN_E10value_typeET2_T3_PNSO_IST_E10value_typeET4_T5_PSY_SZ_PNS1_23onesweep_lookback_stateEbbT6_jjT7_P12ihipStream_tbENKUlT_T0_SN_SS_E_clISG_SG_SI_SI_EEDaS16_S17_SN_SS_EUlS16_E_NS1_11comp_targetILNS1_3genE10ELNS1_11target_archE1201ELNS1_3gpuE5ELNS1_3repE0EEENS1_47radix_sort_onesweep_sort_config_static_selectorELNS0_4arch9wavefront6targetE0EEEvSN_
; %bb.0:
	s_clause 0x1
	s_load_b128 s[28:31], s[0:1], 0x28
	s_load_b64 s[26:27], s[0:1], 0x38
	v_and_b32_e32 v1, 0x3ff, v0
	s_delay_alu instid0(VALU_DEP_1)
	v_cmp_eq_u32_e64 s2, 0, v1
	s_and_saveexec_b32 s3, s2
	s_cbranch_execz .LBB181_4
; %bb.1:
	s_mov_b32 s5, exec_lo
	s_mov_b32 s4, exec_lo
	v_mbcnt_lo_u32_b32 v2, s5, 0
                                        ; implicit-def: $vgpr3
	s_delay_alu instid0(VALU_DEP_1)
	v_cmpx_eq_u32_e32 0, v2
	s_cbranch_execz .LBB181_3
; %bb.2:
	s_load_b64 s[6:7], s[0:1], 0x50
	s_bcnt1_i32_b32 s5, s5
	s_wait_alu 0xfffe
	v_dual_mov_b32 v3, 0 :: v_dual_mov_b32 v4, s5
	s_wait_kmcnt 0x0
	global_atomic_add_u32 v3, v3, v4, s[6:7] th:TH_ATOMIC_RETURN scope:SCOPE_DEV
.LBB181_3:
	s_or_b32 exec_lo, exec_lo, s4
	s_wait_loadcnt 0x0
	v_readfirstlane_b32 s4, v3
	s_wait_alu 0xf1ff
	s_delay_alu instid0(VALU_DEP_1)
	v_dual_mov_b32 v3, 0 :: v_dual_add_nc_u32 v2, s4, v2
	ds_store_b32 v3, v2 offset:36992
.LBB181_4:
	s_or_b32 exec_lo, exec_lo, s3
	v_dual_mov_b32 v2, 0 :: v_dual_lshlrev_b32 v37, 4, v1
	s_clause 0x2
	s_load_b256 s[36:43], s[0:1], 0x0
	s_load_b32 s3, s[0:1], 0x20
	s_load_b96 s[44:46], s[0:1], 0x44
	s_wait_dscnt 0x0
	s_barrier_signal -1
	s_barrier_wait -1
	global_inv scope:SCOPE_SE
	ds_load_b32 v2, v2 offset:36992
	v_mbcnt_lo_u32_b32 v36, -1, 0
	s_mov_b32 s4, -1
	s_add_nc_u64 s[34:35], s[0:1], 0x58
	s_wait_loadcnt_dscnt 0x0
	s_barrier_signal -1
	s_barrier_wait -1
	global_inv scope:SCOPE_SE
	s_wait_kmcnt 0x0
	v_cmp_le_u32_e32 vcc_lo, s46, v2
	v_readfirstlane_b32 s25, v2
	s_cbranch_vccz .LBB181_152
; %bb.5:
	s_lshl_b32 s4, s46, 14
	s_lshl_b32 s46, s25, 14
	s_mov_b32 s47, 0
	v_dual_mov_b32 v11, -1 :: v_dual_and_b32 v10, 0x3e00, v37
	v_lshlrev_b32_e32 v2, 2, v36
	s_wait_alu 0xfffe
	s_sub_co_i32 s33, s3, s4
	s_lshl_b64 s[4:5], s[46:47], 2
	v_dual_mov_b32 v12, -1 :: v_dual_lshlrev_b32 v3, 2, v10
	s_wait_alu 0xfffe
	s_add_nc_u64 s[4:5], s[36:37], s[4:5]
	v_or_b32_e32 v4, v36, v10
	s_wait_alu 0xfffe
	v_add_co_u32 v2, s3, s4, v2
	s_delay_alu instid0(VALU_DEP_1) | instskip(NEXT) | instid1(VALU_DEP_3)
	v_add_co_ci_u32_e64 v5, null, s5, 0, s3
	v_cmp_gt_u32_e64 s18, s33, v4
	s_delay_alu instid0(VALU_DEP_3) | instskip(NEXT) | instid1(VALU_DEP_1)
	v_add_co_u32 v2, vcc_lo, v2, v3
	v_add_co_ci_u32_e64 v3, null, 0, v5, vcc_lo
	s_and_saveexec_b32 s3, s18
	s_cbranch_execz .LBB181_7
; %bb.6:
	global_load_b32 v12, v[2:3], off
.LBB181_7:
	s_wait_alu 0xfffe
	s_or_b32 exec_lo, exec_lo, s3
	v_or_b32_e32 v5, 32, v4
	s_delay_alu instid0(VALU_DEP_1)
	v_cmp_gt_u32_e64 s17, s33, v5
	s_and_saveexec_b32 s3, s17
	s_cbranch_execz .LBB181_9
; %bb.8:
	global_load_b32 v11, v[2:3], off offset:128
.LBB181_9:
	s_wait_alu 0xfffe
	s_or_b32 exec_lo, exec_lo, s3
	v_or_b32_e32 v5, 64, v4
	v_dual_mov_b32 v13, -1 :: v_dual_mov_b32 v14, -1
	s_delay_alu instid0(VALU_DEP_2)
	v_cmp_gt_u32_e64 s16, s33, v5
	s_and_saveexec_b32 s3, s16
	s_cbranch_execz .LBB181_11
; %bb.10:
	global_load_b32 v14, v[2:3], off offset:256
.LBB181_11:
	s_wait_alu 0xfffe
	s_or_b32 exec_lo, exec_lo, s3
	v_or_b32_e32 v5, 0x60, v4
	s_delay_alu instid0(VALU_DEP_1)
	v_cmp_gt_u32_e64 s15, s33, v5
	s_and_saveexec_b32 s3, s15
	s_cbranch_execz .LBB181_13
; %bb.12:
	global_load_b32 v13, v[2:3], off offset:384
.LBB181_13:
	s_wait_alu 0xfffe
	s_or_b32 exec_lo, exec_lo, s3
	v_or_b32_e32 v5, 0x80, v4
	v_dual_mov_b32 v15, -1 :: v_dual_mov_b32 v16, -1
	s_delay_alu instid0(VALU_DEP_2)
	v_cmp_gt_u32_e64 s14, s33, v5
	s_and_saveexec_b32 s3, s14
	s_cbranch_execz .LBB181_15
; %bb.14:
	global_load_b32 v16, v[2:3], off offset:512
.LBB181_15:
	;; [unrolled: 21-line block ×7, first 2 shown]
	s_wait_alu 0xfffe
	s_or_b32 exec_lo, exec_lo, s3
	v_or_b32_e32 v4, 0x1e0, v4
	s_delay_alu instid0(VALU_DEP_1)
	v_cmp_gt_u32_e64 s3, s33, v4
	s_and_saveexec_b32 s19, s3
	s_cbranch_execz .LBB181_37
; %bb.36:
	global_load_b32 v25, v[2:3], off offset:1920
.LBB181_37:
	s_or_b32 exec_lo, exec_lo, s19
	s_clause 0x1
	s_load_b32 s48, s[0:1], 0x58
	s_load_u16 s22, s[0:1], 0x66
	s_wait_loadcnt 0x0
	v_lshrrev_b32_e32 v2, s44, v12
	s_mov_b32 s21, 0
	v_mul_u32_u24_e32 v30, 36, v1
	s_wait_kmcnt 0x0
	s_cmp_lt_u32 ttmp9, s48
	s_cselect_b32 s20, 12, 18
	s_lshl_b32 s19, -1, s45
	s_add_nc_u64 s[20:21], s[34:35], s[20:21]
	s_not_b32 s49, s19
	s_load_u16 s20, s[20:21], 0x0
	v_and_b32_e32 v4, s49, v2
	v_bfe_u32 v2, v0, 10, 10
	s_delay_alu instid0(VALU_DEP_2)
	v_and_b32_e32 v3, 1, v4
	v_lshlrev_b32_e32 v5, 30, v4
	v_lshlrev_b32_e32 v6, 29, v4
	;; [unrolled: 1-line block ×4, first 2 shown]
	v_add_co_u32 v3, s19, v3, -1
	s_delay_alu instid0(VALU_DEP_1) | instskip(SKIP_3) | instid1(VALU_DEP_4)
	v_cndmask_b32_e64 v8, 0, 1, s19
	v_not_b32_e32 v29, v5
	v_cmp_gt_i32_e64 s19, 0, v5
	v_not_b32_e32 v5, v6
	v_cmp_ne_u32_e32 vcc_lo, 0, v8
	s_delay_alu instid0(VALU_DEP_4) | instskip(NEXT) | instid1(VALU_DEP_3)
	v_ashrrev_i32_e32 v29, 31, v29
	v_ashrrev_i32_e32 v5, 31, v5
	s_wait_alu 0xfffd
	v_xor_b32_e32 v3, vcc_lo, v3
	v_cmp_gt_i32_e32 vcc_lo, 0, v6
	v_not_b32_e32 v6, v7
	s_wait_alu 0xf1ff
	v_xor_b32_e32 v29, s19, v29
	v_cmp_gt_i32_e64 s19, 0, v7
	v_and_b32_e32 v3, exec_lo, v3
	v_not_b32_e32 v7, v9
	v_ashrrev_i32_e32 v6, 31, v6
	s_wait_alu 0xfffd
	v_xor_b32_e32 v5, vcc_lo, v5
	v_cmp_gt_i32_e32 vcc_lo, 0, v9
	v_and_b32_e32 v3, v3, v29
	v_ashrrev_i32_e32 v7, 31, v7
	s_wait_alu 0xf1ff
	v_xor_b32_e32 v6, s19, v6
	s_delay_alu instid0(VALU_DEP_3) | instskip(SKIP_2) | instid1(VALU_DEP_2)
	v_and_b32_e32 v3, v3, v5
	s_wait_alu 0xfffd
	v_xor_b32_e32 v7, vcc_lo, v7
	v_and_b32_e32 v3, v3, v6
	s_delay_alu instid0(VALU_DEP_1) | instskip(SKIP_1) | instid1(VALU_DEP_1)
	v_and_b32_e32 v3, v3, v7
	v_bfe_u32 v7, v0, 20, 10
	v_mad_u32_u24 v2, v7, s22, v2
	v_mov_b32_e32 v7, 0
	v_lshlrev_b32_e32 v27, 26, v4
	v_lshlrev_b32_e32 v28, 25, v4
	;; [unrolled: 1-line block ×3, first 2 shown]
	v_mul_lo_u32 v4, 0x84, v4
	ds_store_2addr_b32 v30, v7, v7 offset0:32 offset1:33
	ds_store_2addr_b32 v30, v7, v7 offset0:34 offset1:35
	ds_store_2addr_b32 v30, v7, v7 offset0:36 offset1:37
	ds_store_2addr_b32 v30, v7, v7 offset0:38 offset1:39
	v_not_b32_e32 v9, v27
	v_cmp_gt_i32_e64 s19, 0, v27
	v_not_b32_e32 v5, v28
	v_cmp_gt_i32_e32 vcc_lo, 0, v28
	v_not_b32_e32 v6, v8
	v_ashrrev_i32_e32 v9, 31, v9
	ds_store_b32 v30, v7 offset:160
	v_ashrrev_i32_e32 v5, 31, v5
	s_wait_dscnt 0x0
	v_ashrrev_i32_e32 v6, 31, v6
	s_wait_alu 0xf1ff
	v_xor_b32_e32 v9, s19, v9
	v_cmp_gt_i32_e64 s19, 0, v8
	s_wait_alu 0xfffd
	v_xor_b32_e32 v5, vcc_lo, v5
	s_barrier_signal -1
	s_barrier_wait -1
	v_and_b32_e32 v3, v3, v9
	s_wait_alu 0xf1ff
	v_xor_b32_e32 v6, s19, v6
	global_inv scope:SCOPE_SE
	; wave barrier
	v_and_b32_e32 v5, v3, v5
	s_wait_kmcnt 0x0
	v_mad_co_u64_u32 v[2:3], null, v2, s20, v[1:2]
	s_delay_alu instid0(VALU_DEP_2) | instskip(NEXT) | instid1(VALU_DEP_2)
	v_and_b32_e32 v3, v5, v6
	v_lshrrev_b32_e32 v2, 3, v2
	s_delay_alu instid0(VALU_DEP_2) | instskip(SKIP_1) | instid1(VALU_DEP_3)
	v_mbcnt_lo_u32_b32 v27, v3, 0
	v_cmp_ne_u32_e64 s19, 0, v3
	v_and_b32_e32 v2, 0x1ffffffc, v2
	s_delay_alu instid0(VALU_DEP_3) | instskip(NEXT) | instid1(VALU_DEP_2)
	v_cmp_eq_u32_e32 vcc_lo, 0, v27
	v_add_nc_u32_e32 v31, v2, v4
	s_and_b32 s20, s19, vcc_lo
	s_wait_alu 0xfffe
	s_and_saveexec_b32 s19, s20
; %bb.38:
	v_bcnt_u32_b32 v3, v3, 0
	ds_store_b32 v31, v3 offset:128
; %bb.39:
	s_wait_alu 0xfffe
	s_or_b32 exec_lo, exec_lo, s19
	v_lshrrev_b32_e32 v3, s44, v11
	; wave barrier
	s_delay_alu instid0(VALU_DEP_1) | instskip(NEXT) | instid1(VALU_DEP_1)
	v_and_b32_e32 v3, s49, v3
	v_and_b32_e32 v5, 1, v3
	v_lshlrev_b32_e32 v6, 30, v3
	v_lshlrev_b32_e32 v7, 29, v3
	;; [unrolled: 1-line block ×4, first 2 shown]
	v_add_co_u32 v5, s19, v5, -1
	s_wait_alu 0xf1ff
	v_cndmask_b32_e64 v9, 0, 1, s19
	v_not_b32_e32 v33, v6
	v_cmp_gt_i32_e64 s19, 0, v6
	v_not_b32_e32 v6, v7
	v_lshlrev_b32_e32 v29, 26, v3
	v_cmp_ne_u32_e32 vcc_lo, 0, v9
	v_ashrrev_i32_e32 v9, 31, v33
	v_lshlrev_b32_e32 v32, 25, v3
	v_ashrrev_i32_e32 v6, 31, v6
	v_mul_lo_u32 v4, 0x84, v3
	s_wait_alu 0xfffd
	v_xor_b32_e32 v5, vcc_lo, v5
	v_cmp_gt_i32_e32 vcc_lo, 0, v7
	v_not_b32_e32 v7, v8
	s_wait_alu 0xf1ff
	v_xor_b32_e32 v9, s19, v9
	v_cmp_gt_i32_e64 s19, 0, v8
	v_and_b32_e32 v5, exec_lo, v5
	v_not_b32_e32 v8, v28
	v_ashrrev_i32_e32 v7, 31, v7
	s_wait_alu 0xfffd
	v_xor_b32_e32 v6, vcc_lo, v6
	v_cmp_gt_i32_e32 vcc_lo, 0, v28
	v_and_b32_e32 v5, v5, v9
	v_not_b32_e32 v9, v29
	v_ashrrev_i32_e32 v8, 31, v8
	s_wait_alu 0xf1ff
	v_xor_b32_e32 v7, s19, v7
	v_lshlrev_b32_e32 v3, 24, v3
	v_and_b32_e32 v5, v5, v6
	v_cmp_gt_i32_e64 s19, 0, v29
	v_not_b32_e32 v6, v32
	v_ashrrev_i32_e32 v9, 31, v9
	s_wait_alu 0xfffd
	v_xor_b32_e32 v8, vcc_lo, v8
	v_and_b32_e32 v5, v5, v7
	v_cmp_gt_i32_e32 vcc_lo, 0, v32
	v_not_b32_e32 v7, v3
	v_ashrrev_i32_e32 v6, 31, v6
	s_wait_alu 0xf1ff
	v_xor_b32_e32 v9, s19, v9
	v_and_b32_e32 v5, v5, v8
	v_cmp_gt_i32_e64 s19, 0, v3
	v_ashrrev_i32_e32 v3, 31, v7
	s_wait_alu 0xfffd
	v_xor_b32_e32 v6, vcc_lo, v6
	v_add_nc_u32_e32 v34, v2, v4
	v_and_b32_e32 v5, v5, v9
	s_wait_alu 0xf1ff
	v_xor_b32_e32 v3, s19, v3
	ds_load_b32 v28, v34 offset:128
	v_and_b32_e32 v4, v5, v6
	; wave barrier
	s_delay_alu instid0(VALU_DEP_1) | instskip(NEXT) | instid1(VALU_DEP_1)
	v_and_b32_e32 v3, v4, v3
	v_mbcnt_lo_u32_b32 v29, v3, 0
	v_cmp_ne_u32_e64 s19, 0, v3
	s_delay_alu instid0(VALU_DEP_2)
	v_cmp_eq_u32_e32 vcc_lo, 0, v29
	s_and_b32 s20, s19, vcc_lo
	s_wait_alu 0xfffe
	s_and_saveexec_b32 s19, s20
	s_cbranch_execz .LBB181_41
; %bb.40:
	s_wait_dscnt 0x0
	v_bcnt_u32_b32 v3, v3, v28
	ds_store_b32 v34, v3 offset:128
.LBB181_41:
	s_wait_alu 0xfffe
	s_or_b32 exec_lo, exec_lo, s19
	v_lshrrev_b32_e32 v3, s44, v14
	; wave barrier
	s_delay_alu instid0(VALU_DEP_1) | instskip(NEXT) | instid1(VALU_DEP_1)
	v_and_b32_e32 v3, s49, v3
	v_and_b32_e32 v5, 1, v3
	v_lshlrev_b32_e32 v6, 30, v3
	v_lshlrev_b32_e32 v7, 29, v3
	;; [unrolled: 1-line block ×4, first 2 shown]
	v_add_co_u32 v5, s19, v5, -1
	s_wait_alu 0xf1ff
	v_cndmask_b32_e64 v9, 0, 1, s19
	v_not_b32_e32 v38, v6
	v_cmp_gt_i32_e64 s19, 0, v6
	v_not_b32_e32 v6, v7
	v_lshlrev_b32_e32 v33, 26, v3
	v_cmp_ne_u32_e32 vcc_lo, 0, v9
	v_ashrrev_i32_e32 v9, 31, v38
	v_lshlrev_b32_e32 v35, 25, v3
	v_ashrrev_i32_e32 v6, 31, v6
	v_mul_lo_u32 v4, 0x84, v3
	s_wait_alu 0xfffd
	v_xor_b32_e32 v5, vcc_lo, v5
	v_cmp_gt_i32_e32 vcc_lo, 0, v7
	v_not_b32_e32 v7, v8
	s_wait_alu 0xf1ff
	v_xor_b32_e32 v9, s19, v9
	v_cmp_gt_i32_e64 s19, 0, v8
	v_and_b32_e32 v5, exec_lo, v5
	v_not_b32_e32 v8, v32
	v_ashrrev_i32_e32 v7, 31, v7
	s_wait_alu 0xfffd
	v_xor_b32_e32 v6, vcc_lo, v6
	v_cmp_gt_i32_e32 vcc_lo, 0, v32
	v_and_b32_e32 v5, v5, v9
	v_not_b32_e32 v9, v33
	v_ashrrev_i32_e32 v8, 31, v8
	s_wait_alu 0xf1ff
	v_xor_b32_e32 v7, s19, v7
	v_lshlrev_b32_e32 v3, 24, v3
	v_and_b32_e32 v5, v5, v6
	v_cmp_gt_i32_e64 s19, 0, v33
	v_not_b32_e32 v6, v35
	v_ashrrev_i32_e32 v9, 31, v9
	s_wait_alu 0xfffd
	v_xor_b32_e32 v8, vcc_lo, v8
	v_and_b32_e32 v5, v5, v7
	v_cmp_gt_i32_e32 vcc_lo, 0, v35
	v_not_b32_e32 v7, v3
	v_ashrrev_i32_e32 v6, 31, v6
	s_wait_alu 0xf1ff
	v_xor_b32_e32 v9, s19, v9
	v_and_b32_e32 v5, v5, v8
	v_cmp_gt_i32_e64 s19, 0, v3
	v_ashrrev_i32_e32 v3, 31, v7
	s_wait_alu 0xfffd
	v_xor_b32_e32 v6, vcc_lo, v6
	v_add_nc_u32_e32 v39, v2, v4
	v_and_b32_e32 v5, v5, v9
	s_wait_alu 0xf1ff
	v_xor_b32_e32 v3, s19, v3
	ds_load_b32 v32, v39 offset:128
	v_and_b32_e32 v4, v5, v6
	; wave barrier
	s_delay_alu instid0(VALU_DEP_1) | instskip(NEXT) | instid1(VALU_DEP_1)
	v_and_b32_e32 v3, v4, v3
	v_mbcnt_lo_u32_b32 v33, v3, 0
	v_cmp_ne_u32_e64 s19, 0, v3
	s_delay_alu instid0(VALU_DEP_2)
	v_cmp_eq_u32_e32 vcc_lo, 0, v33
	s_and_b32 s20, s19, vcc_lo
	s_wait_alu 0xfffe
	s_and_saveexec_b32 s19, s20
	s_cbranch_execz .LBB181_43
; %bb.42:
	s_wait_dscnt 0x0
	v_bcnt_u32_b32 v3, v3, v32
	ds_store_b32 v39, v3 offset:128
.LBB181_43:
	s_wait_alu 0xfffe
	s_or_b32 exec_lo, exec_lo, s19
	v_lshrrev_b32_e32 v3, s44, v13
	; wave barrier
	s_delay_alu instid0(VALU_DEP_1) | instskip(NEXT) | instid1(VALU_DEP_1)
	v_and_b32_e32 v3, s49, v3
	v_and_b32_e32 v5, 1, v3
	v_lshlrev_b32_e32 v6, 30, v3
	v_lshlrev_b32_e32 v7, 29, v3
	;; [unrolled: 1-line block ×4, first 2 shown]
	v_add_co_u32 v5, s19, v5, -1
	s_wait_alu 0xf1ff
	v_cndmask_b32_e64 v9, 0, 1, s19
	v_not_b32_e32 v41, v6
	v_cmp_gt_i32_e64 s19, 0, v6
	v_not_b32_e32 v6, v7
	v_lshlrev_b32_e32 v38, 26, v3
	v_cmp_ne_u32_e32 vcc_lo, 0, v9
	v_ashrrev_i32_e32 v9, 31, v41
	v_lshlrev_b32_e32 v40, 25, v3
	v_ashrrev_i32_e32 v6, 31, v6
	v_mul_lo_u32 v4, 0x84, v3
	s_wait_alu 0xfffd
	v_xor_b32_e32 v5, vcc_lo, v5
	v_cmp_gt_i32_e32 vcc_lo, 0, v7
	v_not_b32_e32 v7, v8
	s_wait_alu 0xf1ff
	v_xor_b32_e32 v9, s19, v9
	v_cmp_gt_i32_e64 s19, 0, v8
	v_and_b32_e32 v5, exec_lo, v5
	v_not_b32_e32 v8, v35
	v_ashrrev_i32_e32 v7, 31, v7
	s_wait_alu 0xfffd
	v_xor_b32_e32 v6, vcc_lo, v6
	v_cmp_gt_i32_e32 vcc_lo, 0, v35
	v_and_b32_e32 v5, v5, v9
	v_not_b32_e32 v9, v38
	v_ashrrev_i32_e32 v8, 31, v8
	s_wait_alu 0xf1ff
	v_xor_b32_e32 v7, s19, v7
	v_lshlrev_b32_e32 v3, 24, v3
	v_and_b32_e32 v5, v5, v6
	v_cmp_gt_i32_e64 s19, 0, v38
	v_not_b32_e32 v6, v40
	v_ashrrev_i32_e32 v9, 31, v9
	s_wait_alu 0xfffd
	v_xor_b32_e32 v8, vcc_lo, v8
	v_and_b32_e32 v5, v5, v7
	v_cmp_gt_i32_e32 vcc_lo, 0, v40
	v_not_b32_e32 v7, v3
	v_ashrrev_i32_e32 v6, 31, v6
	s_wait_alu 0xf1ff
	v_xor_b32_e32 v9, s19, v9
	v_and_b32_e32 v5, v5, v8
	v_cmp_gt_i32_e64 s19, 0, v3
	v_ashrrev_i32_e32 v3, 31, v7
	s_wait_alu 0xfffd
	v_xor_b32_e32 v6, vcc_lo, v6
	v_add_nc_u32_e32 v42, v2, v4
	v_and_b32_e32 v5, v5, v9
	s_wait_alu 0xf1ff
	v_xor_b32_e32 v3, s19, v3
	ds_load_b32 v35, v42 offset:128
	v_and_b32_e32 v4, v5, v6
	; wave barrier
	s_delay_alu instid0(VALU_DEP_1) | instskip(NEXT) | instid1(VALU_DEP_1)
	v_and_b32_e32 v3, v4, v3
	v_mbcnt_lo_u32_b32 v38, v3, 0
	v_cmp_ne_u32_e64 s19, 0, v3
	s_delay_alu instid0(VALU_DEP_2)
	v_cmp_eq_u32_e32 vcc_lo, 0, v38
	s_and_b32 s20, s19, vcc_lo
	s_wait_alu 0xfffe
	s_and_saveexec_b32 s19, s20
	s_cbranch_execz .LBB181_45
; %bb.44:
	s_wait_dscnt 0x0
	v_bcnt_u32_b32 v3, v3, v35
	ds_store_b32 v42, v3 offset:128
.LBB181_45:
	s_wait_alu 0xfffe
	s_or_b32 exec_lo, exec_lo, s19
	v_lshrrev_b32_e32 v3, s44, v16
	; wave barrier
	s_delay_alu instid0(VALU_DEP_1) | instskip(NEXT) | instid1(VALU_DEP_1)
	v_and_b32_e32 v3, s49, v3
	v_and_b32_e32 v5, 1, v3
	v_lshlrev_b32_e32 v6, 30, v3
	v_lshlrev_b32_e32 v7, 29, v3
	;; [unrolled: 1-line block ×4, first 2 shown]
	v_add_co_u32 v5, s19, v5, -1
	s_wait_alu 0xf1ff
	v_cndmask_b32_e64 v9, 0, 1, s19
	v_not_b32_e32 v44, v6
	v_cmp_gt_i32_e64 s19, 0, v6
	v_not_b32_e32 v6, v7
	v_lshlrev_b32_e32 v41, 26, v3
	v_cmp_ne_u32_e32 vcc_lo, 0, v9
	v_ashrrev_i32_e32 v9, 31, v44
	v_lshlrev_b32_e32 v43, 25, v3
	v_ashrrev_i32_e32 v6, 31, v6
	v_mul_lo_u32 v4, 0x84, v3
	s_wait_alu 0xfffd
	v_xor_b32_e32 v5, vcc_lo, v5
	v_cmp_gt_i32_e32 vcc_lo, 0, v7
	v_not_b32_e32 v7, v8
	s_wait_alu 0xf1ff
	v_xor_b32_e32 v9, s19, v9
	v_cmp_gt_i32_e64 s19, 0, v8
	v_and_b32_e32 v5, exec_lo, v5
	v_not_b32_e32 v8, v40
	v_ashrrev_i32_e32 v7, 31, v7
	s_wait_alu 0xfffd
	v_xor_b32_e32 v6, vcc_lo, v6
	v_cmp_gt_i32_e32 vcc_lo, 0, v40
	v_and_b32_e32 v5, v5, v9
	v_not_b32_e32 v9, v41
	v_ashrrev_i32_e32 v8, 31, v8
	s_wait_alu 0xf1ff
	v_xor_b32_e32 v7, s19, v7
	v_lshlrev_b32_e32 v3, 24, v3
	v_and_b32_e32 v5, v5, v6
	v_cmp_gt_i32_e64 s19, 0, v41
	v_not_b32_e32 v6, v43
	v_ashrrev_i32_e32 v9, 31, v9
	s_wait_alu 0xfffd
	v_xor_b32_e32 v8, vcc_lo, v8
	v_and_b32_e32 v5, v5, v7
	v_cmp_gt_i32_e32 vcc_lo, 0, v43
	v_not_b32_e32 v7, v3
	v_ashrrev_i32_e32 v6, 31, v6
	s_wait_alu 0xf1ff
	v_xor_b32_e32 v9, s19, v9
	v_and_b32_e32 v5, v5, v8
	v_cmp_gt_i32_e64 s19, 0, v3
	v_ashrrev_i32_e32 v3, 31, v7
	s_wait_alu 0xfffd
	v_xor_b32_e32 v6, vcc_lo, v6
	v_add_nc_u32_e32 v45, v2, v4
	v_and_b32_e32 v5, v5, v9
	s_wait_alu 0xf1ff
	v_xor_b32_e32 v3, s19, v3
	ds_load_b32 v40, v45 offset:128
	v_and_b32_e32 v4, v5, v6
	; wave barrier
	s_delay_alu instid0(VALU_DEP_1) | instskip(NEXT) | instid1(VALU_DEP_1)
	v_and_b32_e32 v3, v4, v3
	v_mbcnt_lo_u32_b32 v41, v3, 0
	v_cmp_ne_u32_e64 s19, 0, v3
	s_delay_alu instid0(VALU_DEP_2)
	v_cmp_eq_u32_e32 vcc_lo, 0, v41
	s_and_b32 s20, s19, vcc_lo
	s_wait_alu 0xfffe
	s_and_saveexec_b32 s19, s20
	s_cbranch_execz .LBB181_47
; %bb.46:
	s_wait_dscnt 0x0
	v_bcnt_u32_b32 v3, v3, v40
	ds_store_b32 v45, v3 offset:128
.LBB181_47:
	s_wait_alu 0xfffe
	s_or_b32 exec_lo, exec_lo, s19
	v_lshrrev_b32_e32 v3, s44, v15
	; wave barrier
	s_delay_alu instid0(VALU_DEP_1) | instskip(NEXT) | instid1(VALU_DEP_1)
	v_and_b32_e32 v3, s49, v3
	v_and_b32_e32 v5, 1, v3
	v_lshlrev_b32_e32 v6, 30, v3
	v_lshlrev_b32_e32 v7, 29, v3
	;; [unrolled: 1-line block ×4, first 2 shown]
	v_add_co_u32 v5, s19, v5, -1
	s_wait_alu 0xf1ff
	v_cndmask_b32_e64 v9, 0, 1, s19
	v_not_b32_e32 v47, v6
	v_cmp_gt_i32_e64 s19, 0, v6
	v_not_b32_e32 v6, v7
	v_lshlrev_b32_e32 v44, 26, v3
	v_cmp_ne_u32_e32 vcc_lo, 0, v9
	v_ashrrev_i32_e32 v9, 31, v47
	v_lshlrev_b32_e32 v46, 25, v3
	v_ashrrev_i32_e32 v6, 31, v6
	v_mul_lo_u32 v4, 0x84, v3
	s_wait_alu 0xfffd
	v_xor_b32_e32 v5, vcc_lo, v5
	v_cmp_gt_i32_e32 vcc_lo, 0, v7
	v_not_b32_e32 v7, v8
	s_wait_alu 0xf1ff
	v_xor_b32_e32 v9, s19, v9
	v_cmp_gt_i32_e64 s19, 0, v8
	v_and_b32_e32 v5, exec_lo, v5
	v_not_b32_e32 v8, v43
	v_ashrrev_i32_e32 v7, 31, v7
	s_wait_alu 0xfffd
	v_xor_b32_e32 v6, vcc_lo, v6
	v_cmp_gt_i32_e32 vcc_lo, 0, v43
	v_and_b32_e32 v5, v5, v9
	v_not_b32_e32 v9, v44
	v_ashrrev_i32_e32 v8, 31, v8
	s_wait_alu 0xf1ff
	v_xor_b32_e32 v7, s19, v7
	v_lshlrev_b32_e32 v3, 24, v3
	v_and_b32_e32 v5, v5, v6
	v_cmp_gt_i32_e64 s19, 0, v44
	v_not_b32_e32 v6, v46
	v_ashrrev_i32_e32 v9, 31, v9
	s_wait_alu 0xfffd
	v_xor_b32_e32 v8, vcc_lo, v8
	v_and_b32_e32 v5, v5, v7
	v_cmp_gt_i32_e32 vcc_lo, 0, v46
	v_not_b32_e32 v7, v3
	v_ashrrev_i32_e32 v6, 31, v6
	s_wait_alu 0xf1ff
	v_xor_b32_e32 v9, s19, v9
	v_and_b32_e32 v5, v5, v8
	v_cmp_gt_i32_e64 s19, 0, v3
	v_ashrrev_i32_e32 v3, 31, v7
	s_wait_alu 0xfffd
	v_xor_b32_e32 v6, vcc_lo, v6
	v_add_nc_u32_e32 v48, v2, v4
	v_and_b32_e32 v5, v5, v9
	s_wait_alu 0xf1ff
	v_xor_b32_e32 v3, s19, v3
	ds_load_b32 v43, v48 offset:128
	v_and_b32_e32 v4, v5, v6
	; wave barrier
	s_delay_alu instid0(VALU_DEP_1) | instskip(NEXT) | instid1(VALU_DEP_1)
	v_and_b32_e32 v3, v4, v3
	v_mbcnt_lo_u32_b32 v44, v3, 0
	v_cmp_ne_u32_e64 s19, 0, v3
	s_delay_alu instid0(VALU_DEP_2)
	v_cmp_eq_u32_e32 vcc_lo, 0, v44
	s_and_b32 s20, s19, vcc_lo
	s_wait_alu 0xfffe
	s_and_saveexec_b32 s19, s20
	s_cbranch_execz .LBB181_49
; %bb.48:
	s_wait_dscnt 0x0
	v_bcnt_u32_b32 v3, v3, v43
	ds_store_b32 v48, v3 offset:128
.LBB181_49:
	s_wait_alu 0xfffe
	s_or_b32 exec_lo, exec_lo, s19
	v_lshrrev_b32_e32 v3, s44, v18
	; wave barrier
	s_delay_alu instid0(VALU_DEP_1) | instskip(NEXT) | instid1(VALU_DEP_1)
	v_and_b32_e32 v3, s49, v3
	v_and_b32_e32 v5, 1, v3
	v_lshlrev_b32_e32 v6, 30, v3
	v_lshlrev_b32_e32 v7, 29, v3
	;; [unrolled: 1-line block ×4, first 2 shown]
	v_add_co_u32 v5, s19, v5, -1
	s_wait_alu 0xf1ff
	v_cndmask_b32_e64 v9, 0, 1, s19
	v_not_b32_e32 v50, v6
	v_cmp_gt_i32_e64 s19, 0, v6
	v_not_b32_e32 v6, v7
	v_lshlrev_b32_e32 v47, 26, v3
	v_cmp_ne_u32_e32 vcc_lo, 0, v9
	v_ashrrev_i32_e32 v9, 31, v50
	v_lshlrev_b32_e32 v49, 25, v3
	v_ashrrev_i32_e32 v6, 31, v6
	v_mul_lo_u32 v4, 0x84, v3
	s_wait_alu 0xfffd
	v_xor_b32_e32 v5, vcc_lo, v5
	v_cmp_gt_i32_e32 vcc_lo, 0, v7
	v_not_b32_e32 v7, v8
	s_wait_alu 0xf1ff
	v_xor_b32_e32 v9, s19, v9
	v_cmp_gt_i32_e64 s19, 0, v8
	v_and_b32_e32 v5, exec_lo, v5
	v_not_b32_e32 v8, v46
	v_ashrrev_i32_e32 v7, 31, v7
	s_wait_alu 0xfffd
	v_xor_b32_e32 v6, vcc_lo, v6
	v_cmp_gt_i32_e32 vcc_lo, 0, v46
	v_and_b32_e32 v5, v5, v9
	v_not_b32_e32 v9, v47
	v_ashrrev_i32_e32 v8, 31, v8
	s_wait_alu 0xf1ff
	v_xor_b32_e32 v7, s19, v7
	v_lshlrev_b32_e32 v3, 24, v3
	v_and_b32_e32 v5, v5, v6
	v_cmp_gt_i32_e64 s19, 0, v47
	v_not_b32_e32 v6, v49
	v_ashrrev_i32_e32 v9, 31, v9
	s_wait_alu 0xfffd
	v_xor_b32_e32 v8, vcc_lo, v8
	v_and_b32_e32 v5, v5, v7
	v_cmp_gt_i32_e32 vcc_lo, 0, v49
	v_not_b32_e32 v7, v3
	v_ashrrev_i32_e32 v6, 31, v6
	s_wait_alu 0xf1ff
	v_xor_b32_e32 v9, s19, v9
	v_and_b32_e32 v5, v5, v8
	v_cmp_gt_i32_e64 s19, 0, v3
	v_ashrrev_i32_e32 v3, 31, v7
	s_wait_alu 0xfffd
	v_xor_b32_e32 v6, vcc_lo, v6
	v_add_nc_u32_e32 v51, v2, v4
	v_and_b32_e32 v5, v5, v9
	s_wait_alu 0xf1ff
	v_xor_b32_e32 v3, s19, v3
	ds_load_b32 v46, v51 offset:128
	v_and_b32_e32 v4, v5, v6
	; wave barrier
	s_delay_alu instid0(VALU_DEP_1) | instskip(NEXT) | instid1(VALU_DEP_1)
	v_and_b32_e32 v3, v4, v3
	v_mbcnt_lo_u32_b32 v47, v3, 0
	v_cmp_ne_u32_e64 s19, 0, v3
	s_delay_alu instid0(VALU_DEP_2)
	v_cmp_eq_u32_e32 vcc_lo, 0, v47
	s_and_b32 s20, s19, vcc_lo
	s_wait_alu 0xfffe
	s_and_saveexec_b32 s19, s20
	s_cbranch_execz .LBB181_51
; %bb.50:
	s_wait_dscnt 0x0
	v_bcnt_u32_b32 v3, v3, v46
	ds_store_b32 v51, v3 offset:128
.LBB181_51:
	s_wait_alu 0xfffe
	s_or_b32 exec_lo, exec_lo, s19
	v_lshrrev_b32_e32 v3, s44, v17
	; wave barrier
	s_delay_alu instid0(VALU_DEP_1) | instskip(NEXT) | instid1(VALU_DEP_1)
	v_and_b32_e32 v3, s49, v3
	v_and_b32_e32 v5, 1, v3
	v_lshlrev_b32_e32 v6, 30, v3
	v_lshlrev_b32_e32 v7, 29, v3
	;; [unrolled: 1-line block ×4, first 2 shown]
	v_add_co_u32 v5, s19, v5, -1
	s_wait_alu 0xf1ff
	v_cndmask_b32_e64 v9, 0, 1, s19
	v_not_b32_e32 v53, v6
	v_cmp_gt_i32_e64 s19, 0, v6
	v_not_b32_e32 v6, v7
	v_lshlrev_b32_e32 v50, 26, v3
	v_cmp_ne_u32_e32 vcc_lo, 0, v9
	v_ashrrev_i32_e32 v9, 31, v53
	v_lshlrev_b32_e32 v52, 25, v3
	v_ashrrev_i32_e32 v6, 31, v6
	v_mul_lo_u32 v4, 0x84, v3
	s_wait_alu 0xfffd
	v_xor_b32_e32 v5, vcc_lo, v5
	v_cmp_gt_i32_e32 vcc_lo, 0, v7
	v_not_b32_e32 v7, v8
	s_wait_alu 0xf1ff
	v_xor_b32_e32 v9, s19, v9
	v_cmp_gt_i32_e64 s19, 0, v8
	v_and_b32_e32 v5, exec_lo, v5
	v_not_b32_e32 v8, v49
	v_ashrrev_i32_e32 v7, 31, v7
	s_wait_alu 0xfffd
	v_xor_b32_e32 v6, vcc_lo, v6
	v_cmp_gt_i32_e32 vcc_lo, 0, v49
	v_and_b32_e32 v5, v5, v9
	v_not_b32_e32 v9, v50
	v_ashrrev_i32_e32 v8, 31, v8
	s_wait_alu 0xf1ff
	v_xor_b32_e32 v7, s19, v7
	v_lshlrev_b32_e32 v3, 24, v3
	v_and_b32_e32 v5, v5, v6
	v_cmp_gt_i32_e64 s19, 0, v50
	v_not_b32_e32 v6, v52
	v_ashrrev_i32_e32 v9, 31, v9
	s_wait_alu 0xfffd
	v_xor_b32_e32 v8, vcc_lo, v8
	v_and_b32_e32 v5, v5, v7
	v_cmp_gt_i32_e32 vcc_lo, 0, v52
	v_not_b32_e32 v7, v3
	v_ashrrev_i32_e32 v6, 31, v6
	s_wait_alu 0xf1ff
	v_xor_b32_e32 v9, s19, v9
	v_and_b32_e32 v5, v5, v8
	v_cmp_gt_i32_e64 s19, 0, v3
	v_ashrrev_i32_e32 v3, 31, v7
	s_wait_alu 0xfffd
	v_xor_b32_e32 v6, vcc_lo, v6
	v_add_nc_u32_e32 v54, v2, v4
	v_and_b32_e32 v5, v5, v9
	s_wait_alu 0xf1ff
	v_xor_b32_e32 v3, s19, v3
	ds_load_b32 v49, v54 offset:128
	v_and_b32_e32 v4, v5, v6
	; wave barrier
	s_delay_alu instid0(VALU_DEP_1) | instskip(NEXT) | instid1(VALU_DEP_1)
	v_and_b32_e32 v3, v4, v3
	v_mbcnt_lo_u32_b32 v50, v3, 0
	v_cmp_ne_u32_e64 s19, 0, v3
	s_delay_alu instid0(VALU_DEP_2)
	v_cmp_eq_u32_e32 vcc_lo, 0, v50
	s_and_b32 s20, s19, vcc_lo
	s_wait_alu 0xfffe
	s_and_saveexec_b32 s19, s20
	s_cbranch_execz .LBB181_53
; %bb.52:
	s_wait_dscnt 0x0
	v_bcnt_u32_b32 v3, v3, v49
	ds_store_b32 v54, v3 offset:128
.LBB181_53:
	s_wait_alu 0xfffe
	s_or_b32 exec_lo, exec_lo, s19
	v_lshrrev_b32_e32 v3, s44, v20
	; wave barrier
	s_delay_alu instid0(VALU_DEP_1) | instskip(NEXT) | instid1(VALU_DEP_1)
	v_and_b32_e32 v3, s49, v3
	v_and_b32_e32 v5, 1, v3
	v_lshlrev_b32_e32 v6, 30, v3
	v_lshlrev_b32_e32 v7, 29, v3
	;; [unrolled: 1-line block ×4, first 2 shown]
	v_add_co_u32 v5, s19, v5, -1
	s_wait_alu 0xf1ff
	v_cndmask_b32_e64 v9, 0, 1, s19
	v_not_b32_e32 v56, v6
	v_cmp_gt_i32_e64 s19, 0, v6
	v_not_b32_e32 v6, v7
	v_lshlrev_b32_e32 v53, 26, v3
	v_cmp_ne_u32_e32 vcc_lo, 0, v9
	v_ashrrev_i32_e32 v9, 31, v56
	v_lshlrev_b32_e32 v55, 25, v3
	v_ashrrev_i32_e32 v6, 31, v6
	v_mul_lo_u32 v4, 0x84, v3
	s_wait_alu 0xfffd
	v_xor_b32_e32 v5, vcc_lo, v5
	v_cmp_gt_i32_e32 vcc_lo, 0, v7
	v_not_b32_e32 v7, v8
	s_wait_alu 0xf1ff
	v_xor_b32_e32 v9, s19, v9
	v_cmp_gt_i32_e64 s19, 0, v8
	v_and_b32_e32 v5, exec_lo, v5
	v_not_b32_e32 v8, v52
	v_ashrrev_i32_e32 v7, 31, v7
	s_wait_alu 0xfffd
	v_xor_b32_e32 v6, vcc_lo, v6
	v_cmp_gt_i32_e32 vcc_lo, 0, v52
	v_and_b32_e32 v5, v5, v9
	v_not_b32_e32 v9, v53
	v_ashrrev_i32_e32 v8, 31, v8
	s_wait_alu 0xf1ff
	v_xor_b32_e32 v7, s19, v7
	v_lshlrev_b32_e32 v3, 24, v3
	v_and_b32_e32 v5, v5, v6
	v_cmp_gt_i32_e64 s19, 0, v53
	v_not_b32_e32 v6, v55
	v_ashrrev_i32_e32 v9, 31, v9
	s_wait_alu 0xfffd
	v_xor_b32_e32 v8, vcc_lo, v8
	v_and_b32_e32 v5, v5, v7
	v_cmp_gt_i32_e32 vcc_lo, 0, v55
	v_not_b32_e32 v7, v3
	v_ashrrev_i32_e32 v6, 31, v6
	s_wait_alu 0xf1ff
	v_xor_b32_e32 v9, s19, v9
	v_and_b32_e32 v5, v5, v8
	v_cmp_gt_i32_e64 s19, 0, v3
	v_ashrrev_i32_e32 v3, 31, v7
	s_wait_alu 0xfffd
	v_xor_b32_e32 v6, vcc_lo, v6
	v_add_nc_u32_e32 v57, v2, v4
	v_and_b32_e32 v5, v5, v9
	s_wait_alu 0xf1ff
	v_xor_b32_e32 v3, s19, v3
	ds_load_b32 v52, v57 offset:128
	v_and_b32_e32 v4, v5, v6
	; wave barrier
	s_delay_alu instid0(VALU_DEP_1) | instskip(NEXT) | instid1(VALU_DEP_1)
	v_and_b32_e32 v3, v4, v3
	v_mbcnt_lo_u32_b32 v53, v3, 0
	v_cmp_ne_u32_e64 s19, 0, v3
	s_delay_alu instid0(VALU_DEP_2)
	v_cmp_eq_u32_e32 vcc_lo, 0, v53
	s_and_b32 s20, s19, vcc_lo
	s_wait_alu 0xfffe
	s_and_saveexec_b32 s19, s20
	s_cbranch_execz .LBB181_55
; %bb.54:
	s_wait_dscnt 0x0
	v_bcnt_u32_b32 v3, v3, v52
	ds_store_b32 v57, v3 offset:128
.LBB181_55:
	s_wait_alu 0xfffe
	s_or_b32 exec_lo, exec_lo, s19
	v_lshrrev_b32_e32 v3, s44, v19
	; wave barrier
	s_delay_alu instid0(VALU_DEP_1) | instskip(NEXT) | instid1(VALU_DEP_1)
	v_and_b32_e32 v3, s49, v3
	v_and_b32_e32 v5, 1, v3
	v_lshlrev_b32_e32 v6, 30, v3
	v_lshlrev_b32_e32 v7, 29, v3
	;; [unrolled: 1-line block ×4, first 2 shown]
	v_add_co_u32 v5, s19, v5, -1
	s_wait_alu 0xf1ff
	v_cndmask_b32_e64 v9, 0, 1, s19
	v_not_b32_e32 v59, v6
	v_cmp_gt_i32_e64 s19, 0, v6
	v_not_b32_e32 v6, v7
	v_lshlrev_b32_e32 v56, 26, v3
	v_cmp_ne_u32_e32 vcc_lo, 0, v9
	v_ashrrev_i32_e32 v9, 31, v59
	v_lshlrev_b32_e32 v58, 25, v3
	v_ashrrev_i32_e32 v6, 31, v6
	v_mul_lo_u32 v4, 0x84, v3
	s_wait_alu 0xfffd
	v_xor_b32_e32 v5, vcc_lo, v5
	v_cmp_gt_i32_e32 vcc_lo, 0, v7
	v_not_b32_e32 v7, v8
	s_wait_alu 0xf1ff
	v_xor_b32_e32 v9, s19, v9
	v_cmp_gt_i32_e64 s19, 0, v8
	v_and_b32_e32 v5, exec_lo, v5
	v_not_b32_e32 v8, v55
	v_ashrrev_i32_e32 v7, 31, v7
	s_wait_alu 0xfffd
	v_xor_b32_e32 v6, vcc_lo, v6
	v_cmp_gt_i32_e32 vcc_lo, 0, v55
	v_and_b32_e32 v5, v5, v9
	v_not_b32_e32 v9, v56
	v_ashrrev_i32_e32 v8, 31, v8
	s_wait_alu 0xf1ff
	v_xor_b32_e32 v7, s19, v7
	v_lshlrev_b32_e32 v3, 24, v3
	v_and_b32_e32 v5, v5, v6
	v_cmp_gt_i32_e64 s19, 0, v56
	v_not_b32_e32 v6, v58
	v_ashrrev_i32_e32 v9, 31, v9
	s_wait_alu 0xfffd
	v_xor_b32_e32 v8, vcc_lo, v8
	v_and_b32_e32 v5, v5, v7
	v_cmp_gt_i32_e32 vcc_lo, 0, v58
	v_not_b32_e32 v7, v3
	v_ashrrev_i32_e32 v6, 31, v6
	s_wait_alu 0xf1ff
	v_xor_b32_e32 v9, s19, v9
	v_and_b32_e32 v5, v5, v8
	v_cmp_gt_i32_e64 s19, 0, v3
	v_ashrrev_i32_e32 v3, 31, v7
	s_wait_alu 0xfffd
	v_xor_b32_e32 v6, vcc_lo, v6
	v_add_nc_u32_e32 v60, v2, v4
	v_and_b32_e32 v5, v5, v9
	s_wait_alu 0xf1ff
	v_xor_b32_e32 v3, s19, v3
	ds_load_b32 v55, v60 offset:128
	v_and_b32_e32 v4, v5, v6
	; wave barrier
	s_delay_alu instid0(VALU_DEP_1) | instskip(NEXT) | instid1(VALU_DEP_1)
	v_and_b32_e32 v3, v4, v3
	v_mbcnt_lo_u32_b32 v56, v3, 0
	v_cmp_ne_u32_e64 s19, 0, v3
	s_delay_alu instid0(VALU_DEP_2)
	v_cmp_eq_u32_e32 vcc_lo, 0, v56
	s_and_b32 s20, s19, vcc_lo
	s_wait_alu 0xfffe
	s_and_saveexec_b32 s19, s20
	s_cbranch_execz .LBB181_57
; %bb.56:
	s_wait_dscnt 0x0
	v_bcnt_u32_b32 v3, v3, v55
	ds_store_b32 v60, v3 offset:128
.LBB181_57:
	s_wait_alu 0xfffe
	s_or_b32 exec_lo, exec_lo, s19
	v_lshrrev_b32_e32 v3, s44, v22
	; wave barrier
	s_delay_alu instid0(VALU_DEP_1) | instskip(NEXT) | instid1(VALU_DEP_1)
	v_and_b32_e32 v3, s49, v3
	v_and_b32_e32 v5, 1, v3
	v_lshlrev_b32_e32 v6, 30, v3
	v_lshlrev_b32_e32 v7, 29, v3
	;; [unrolled: 1-line block ×4, first 2 shown]
	v_add_co_u32 v5, s19, v5, -1
	s_wait_alu 0xf1ff
	v_cndmask_b32_e64 v9, 0, 1, s19
	v_not_b32_e32 v62, v6
	v_cmp_gt_i32_e64 s19, 0, v6
	v_not_b32_e32 v6, v7
	v_lshlrev_b32_e32 v59, 26, v3
	v_cmp_ne_u32_e32 vcc_lo, 0, v9
	v_ashrrev_i32_e32 v9, 31, v62
	v_lshlrev_b32_e32 v61, 25, v3
	v_ashrrev_i32_e32 v6, 31, v6
	v_mul_lo_u32 v4, 0x84, v3
	s_wait_alu 0xfffd
	v_xor_b32_e32 v5, vcc_lo, v5
	v_cmp_gt_i32_e32 vcc_lo, 0, v7
	v_not_b32_e32 v7, v8
	s_wait_alu 0xf1ff
	v_xor_b32_e32 v9, s19, v9
	v_cmp_gt_i32_e64 s19, 0, v8
	v_and_b32_e32 v5, exec_lo, v5
	v_not_b32_e32 v8, v58
	v_ashrrev_i32_e32 v7, 31, v7
	s_wait_alu 0xfffd
	v_xor_b32_e32 v6, vcc_lo, v6
	v_cmp_gt_i32_e32 vcc_lo, 0, v58
	v_and_b32_e32 v5, v5, v9
	v_not_b32_e32 v9, v59
	v_ashrrev_i32_e32 v8, 31, v8
	s_wait_alu 0xf1ff
	v_xor_b32_e32 v7, s19, v7
	v_lshlrev_b32_e32 v3, 24, v3
	v_and_b32_e32 v5, v5, v6
	v_cmp_gt_i32_e64 s19, 0, v59
	v_not_b32_e32 v6, v61
	v_ashrrev_i32_e32 v9, 31, v9
	s_wait_alu 0xfffd
	v_xor_b32_e32 v8, vcc_lo, v8
	v_and_b32_e32 v5, v5, v7
	v_cmp_gt_i32_e32 vcc_lo, 0, v61
	v_not_b32_e32 v7, v3
	v_ashrrev_i32_e32 v6, 31, v6
	s_wait_alu 0xf1ff
	v_xor_b32_e32 v9, s19, v9
	v_and_b32_e32 v5, v5, v8
	v_cmp_gt_i32_e64 s19, 0, v3
	v_ashrrev_i32_e32 v3, 31, v7
	s_wait_alu 0xfffd
	v_xor_b32_e32 v6, vcc_lo, v6
	v_add_nc_u32_e32 v63, v2, v4
	v_and_b32_e32 v5, v5, v9
	s_wait_alu 0xf1ff
	v_xor_b32_e32 v3, s19, v3
	ds_load_b32 v58, v63 offset:128
	v_and_b32_e32 v4, v5, v6
	; wave barrier
	s_delay_alu instid0(VALU_DEP_1) | instskip(NEXT) | instid1(VALU_DEP_1)
	v_and_b32_e32 v3, v4, v3
	v_mbcnt_lo_u32_b32 v59, v3, 0
	v_cmp_ne_u32_e64 s19, 0, v3
	s_delay_alu instid0(VALU_DEP_2)
	v_cmp_eq_u32_e32 vcc_lo, 0, v59
	s_and_b32 s20, s19, vcc_lo
	s_wait_alu 0xfffe
	s_and_saveexec_b32 s19, s20
	s_cbranch_execz .LBB181_59
; %bb.58:
	s_wait_dscnt 0x0
	v_bcnt_u32_b32 v3, v3, v58
	ds_store_b32 v63, v3 offset:128
.LBB181_59:
	s_wait_alu 0xfffe
	s_or_b32 exec_lo, exec_lo, s19
	v_lshrrev_b32_e32 v3, s44, v21
	; wave barrier
	s_delay_alu instid0(VALU_DEP_1) | instskip(NEXT) | instid1(VALU_DEP_1)
	v_and_b32_e32 v3, s49, v3
	v_and_b32_e32 v5, 1, v3
	v_lshlrev_b32_e32 v6, 30, v3
	v_lshlrev_b32_e32 v7, 29, v3
	v_lshlrev_b32_e32 v8, 28, v3
	v_lshlrev_b32_e32 v61, 27, v3
	v_add_co_u32 v5, s19, v5, -1
	s_wait_alu 0xf1ff
	v_cndmask_b32_e64 v9, 0, 1, s19
	v_not_b32_e32 v65, v6
	v_cmp_gt_i32_e64 s19, 0, v6
	v_not_b32_e32 v6, v7
	v_lshlrev_b32_e32 v62, 26, v3
	v_cmp_ne_u32_e32 vcc_lo, 0, v9
	v_ashrrev_i32_e32 v9, 31, v65
	v_lshlrev_b32_e32 v64, 25, v3
	v_ashrrev_i32_e32 v6, 31, v6
	v_mul_lo_u32 v4, 0x84, v3
	s_wait_alu 0xfffd
	v_xor_b32_e32 v5, vcc_lo, v5
	v_cmp_gt_i32_e32 vcc_lo, 0, v7
	v_not_b32_e32 v7, v8
	s_wait_alu 0xf1ff
	v_xor_b32_e32 v9, s19, v9
	v_cmp_gt_i32_e64 s19, 0, v8
	v_and_b32_e32 v5, exec_lo, v5
	v_not_b32_e32 v8, v61
	v_ashrrev_i32_e32 v7, 31, v7
	s_wait_alu 0xfffd
	v_xor_b32_e32 v6, vcc_lo, v6
	v_cmp_gt_i32_e32 vcc_lo, 0, v61
	v_and_b32_e32 v5, v5, v9
	v_not_b32_e32 v9, v62
	v_ashrrev_i32_e32 v8, 31, v8
	s_wait_alu 0xf1ff
	v_xor_b32_e32 v7, s19, v7
	v_lshlrev_b32_e32 v3, 24, v3
	v_and_b32_e32 v5, v5, v6
	v_cmp_gt_i32_e64 s19, 0, v62
	v_not_b32_e32 v6, v64
	v_ashrrev_i32_e32 v9, 31, v9
	s_wait_alu 0xfffd
	v_xor_b32_e32 v8, vcc_lo, v8
	v_and_b32_e32 v5, v5, v7
	v_cmp_gt_i32_e32 vcc_lo, 0, v64
	v_not_b32_e32 v7, v3
	v_ashrrev_i32_e32 v6, 31, v6
	s_wait_alu 0xf1ff
	v_xor_b32_e32 v9, s19, v9
	v_and_b32_e32 v5, v5, v8
	v_cmp_gt_i32_e64 s19, 0, v3
	v_ashrrev_i32_e32 v3, 31, v7
	s_wait_alu 0xfffd
	v_xor_b32_e32 v6, vcc_lo, v6
	v_add_nc_u32_e32 v66, v2, v4
	v_and_b32_e32 v5, v5, v9
	s_wait_alu 0xf1ff
	v_xor_b32_e32 v3, s19, v3
	ds_load_b32 v61, v66 offset:128
	v_and_b32_e32 v4, v5, v6
	; wave barrier
	s_delay_alu instid0(VALU_DEP_1) | instskip(NEXT) | instid1(VALU_DEP_1)
	v_and_b32_e32 v3, v4, v3
	v_mbcnt_lo_u32_b32 v62, v3, 0
	v_cmp_ne_u32_e64 s19, 0, v3
	s_delay_alu instid0(VALU_DEP_2)
	v_cmp_eq_u32_e32 vcc_lo, 0, v62
	s_and_b32 s20, s19, vcc_lo
	s_wait_alu 0xfffe
	s_and_saveexec_b32 s19, s20
	s_cbranch_execz .LBB181_61
; %bb.60:
	s_wait_dscnt 0x0
	v_bcnt_u32_b32 v3, v3, v61
	ds_store_b32 v66, v3 offset:128
.LBB181_61:
	s_wait_alu 0xfffe
	s_or_b32 exec_lo, exec_lo, s19
	v_lshrrev_b32_e32 v3, s44, v24
	; wave barrier
	s_delay_alu instid0(VALU_DEP_1) | instskip(NEXT) | instid1(VALU_DEP_1)
	v_and_b32_e32 v3, s49, v3
	v_and_b32_e32 v5, 1, v3
	v_lshlrev_b32_e32 v6, 30, v3
	v_lshlrev_b32_e32 v7, 29, v3
	;; [unrolled: 1-line block ×4, first 2 shown]
	v_add_co_u32 v5, s19, v5, -1
	s_wait_alu 0xf1ff
	v_cndmask_b32_e64 v9, 0, 1, s19
	v_not_b32_e32 v68, v6
	v_cmp_gt_i32_e64 s19, 0, v6
	v_not_b32_e32 v6, v7
	v_lshlrev_b32_e32 v65, 26, v3
	v_cmp_ne_u32_e32 vcc_lo, 0, v9
	v_ashrrev_i32_e32 v9, 31, v68
	v_lshlrev_b32_e32 v67, 25, v3
	v_ashrrev_i32_e32 v6, 31, v6
	v_mul_lo_u32 v4, 0x84, v3
	s_wait_alu 0xfffd
	v_xor_b32_e32 v5, vcc_lo, v5
	v_cmp_gt_i32_e32 vcc_lo, 0, v7
	v_not_b32_e32 v7, v8
	s_wait_alu 0xf1ff
	v_xor_b32_e32 v9, s19, v9
	v_cmp_gt_i32_e64 s19, 0, v8
	v_and_b32_e32 v5, exec_lo, v5
	v_not_b32_e32 v8, v64
	v_ashrrev_i32_e32 v7, 31, v7
	s_wait_alu 0xfffd
	v_xor_b32_e32 v6, vcc_lo, v6
	v_cmp_gt_i32_e32 vcc_lo, 0, v64
	v_and_b32_e32 v5, v5, v9
	v_not_b32_e32 v9, v65
	v_ashrrev_i32_e32 v8, 31, v8
	s_wait_alu 0xf1ff
	v_xor_b32_e32 v7, s19, v7
	v_lshlrev_b32_e32 v3, 24, v3
	v_and_b32_e32 v5, v5, v6
	v_cmp_gt_i32_e64 s19, 0, v65
	v_not_b32_e32 v6, v67
	v_ashrrev_i32_e32 v9, 31, v9
	s_wait_alu 0xfffd
	v_xor_b32_e32 v8, vcc_lo, v8
	v_and_b32_e32 v5, v5, v7
	v_cmp_gt_i32_e32 vcc_lo, 0, v67
	v_not_b32_e32 v7, v3
	v_ashrrev_i32_e32 v6, 31, v6
	s_wait_alu 0xf1ff
	v_xor_b32_e32 v9, s19, v9
	v_and_b32_e32 v5, v5, v8
	v_cmp_gt_i32_e64 s19, 0, v3
	v_ashrrev_i32_e32 v3, 31, v7
	s_wait_alu 0xfffd
	v_xor_b32_e32 v6, vcc_lo, v6
	v_add_nc_u32_e32 v69, v2, v4
	v_and_b32_e32 v5, v5, v9
	s_wait_alu 0xf1ff
	v_xor_b32_e32 v3, s19, v3
	ds_load_b32 v64, v69 offset:128
	v_and_b32_e32 v4, v5, v6
	; wave barrier
	s_delay_alu instid0(VALU_DEP_1) | instskip(NEXT) | instid1(VALU_DEP_1)
	v_and_b32_e32 v3, v4, v3
	v_mbcnt_lo_u32_b32 v65, v3, 0
	v_cmp_ne_u32_e64 s19, 0, v3
	s_delay_alu instid0(VALU_DEP_2)
	v_cmp_eq_u32_e32 vcc_lo, 0, v65
	s_and_b32 s20, s19, vcc_lo
	s_wait_alu 0xfffe
	s_and_saveexec_b32 s19, s20
	s_cbranch_execz .LBB181_63
; %bb.62:
	s_wait_dscnt 0x0
	v_bcnt_u32_b32 v3, v3, v64
	ds_store_b32 v69, v3 offset:128
.LBB181_63:
	s_wait_alu 0xfffe
	s_or_b32 exec_lo, exec_lo, s19
	v_lshrrev_b32_e32 v3, s44, v23
	; wave barrier
	s_delay_alu instid0(VALU_DEP_1) | instskip(NEXT) | instid1(VALU_DEP_1)
	v_and_b32_e32 v3, s49, v3
	v_and_b32_e32 v5, 1, v3
	v_lshlrev_b32_e32 v6, 30, v3
	v_lshlrev_b32_e32 v7, 29, v3
	;; [unrolled: 1-line block ×4, first 2 shown]
	v_add_co_u32 v5, s19, v5, -1
	s_wait_alu 0xf1ff
	v_cndmask_b32_e64 v9, 0, 1, s19
	v_not_b32_e32 v71, v6
	v_cmp_gt_i32_e64 s19, 0, v6
	v_not_b32_e32 v6, v7
	v_lshlrev_b32_e32 v68, 26, v3
	v_cmp_ne_u32_e32 vcc_lo, 0, v9
	v_ashrrev_i32_e32 v9, 31, v71
	v_lshlrev_b32_e32 v70, 25, v3
	v_ashrrev_i32_e32 v6, 31, v6
	v_mul_lo_u32 v4, 0x84, v3
	s_wait_alu 0xfffd
	v_xor_b32_e32 v5, vcc_lo, v5
	v_cmp_gt_i32_e32 vcc_lo, 0, v7
	v_not_b32_e32 v7, v8
	s_wait_alu 0xf1ff
	v_xor_b32_e32 v9, s19, v9
	v_cmp_gt_i32_e64 s19, 0, v8
	v_and_b32_e32 v5, exec_lo, v5
	v_not_b32_e32 v8, v67
	v_ashrrev_i32_e32 v7, 31, v7
	s_wait_alu 0xfffd
	v_xor_b32_e32 v6, vcc_lo, v6
	v_cmp_gt_i32_e32 vcc_lo, 0, v67
	v_and_b32_e32 v5, v5, v9
	v_not_b32_e32 v9, v68
	v_ashrrev_i32_e32 v8, 31, v8
	s_wait_alu 0xf1ff
	v_xor_b32_e32 v7, s19, v7
	v_lshlrev_b32_e32 v3, 24, v3
	v_and_b32_e32 v5, v5, v6
	v_cmp_gt_i32_e64 s19, 0, v68
	v_not_b32_e32 v6, v70
	v_ashrrev_i32_e32 v9, 31, v9
	s_wait_alu 0xfffd
	v_xor_b32_e32 v8, vcc_lo, v8
	v_and_b32_e32 v5, v5, v7
	v_cmp_gt_i32_e32 vcc_lo, 0, v70
	v_not_b32_e32 v7, v3
	v_ashrrev_i32_e32 v6, 31, v6
	s_wait_alu 0xf1ff
	v_xor_b32_e32 v9, s19, v9
	v_and_b32_e32 v5, v5, v8
	v_cmp_gt_i32_e64 s19, 0, v3
	v_ashrrev_i32_e32 v3, 31, v7
	s_wait_alu 0xfffd
	v_xor_b32_e32 v6, vcc_lo, v6
	v_add_nc_u32_e32 v72, v2, v4
	v_and_b32_e32 v5, v5, v9
	s_wait_alu 0xf1ff
	v_xor_b32_e32 v3, s19, v3
	ds_load_b32 v67, v72 offset:128
	v_and_b32_e32 v4, v5, v6
	; wave barrier
	s_delay_alu instid0(VALU_DEP_1) | instskip(NEXT) | instid1(VALU_DEP_1)
	v_and_b32_e32 v3, v4, v3
	v_mbcnt_lo_u32_b32 v68, v3, 0
	v_cmp_ne_u32_e64 s19, 0, v3
	s_delay_alu instid0(VALU_DEP_2)
	v_cmp_eq_u32_e32 vcc_lo, 0, v68
	s_and_b32 s20, s19, vcc_lo
	s_wait_alu 0xfffe
	s_and_saveexec_b32 s19, s20
	s_cbranch_execz .LBB181_65
; %bb.64:
	s_wait_dscnt 0x0
	v_bcnt_u32_b32 v3, v3, v67
	ds_store_b32 v72, v3 offset:128
.LBB181_65:
	s_wait_alu 0xfffe
	s_or_b32 exec_lo, exec_lo, s19
	v_lshrrev_b32_e32 v3, s44, v26
	; wave barrier
	s_delay_alu instid0(VALU_DEP_1) | instskip(NEXT) | instid1(VALU_DEP_1)
	v_and_b32_e32 v3, s49, v3
	v_and_b32_e32 v5, 1, v3
	v_lshlrev_b32_e32 v6, 30, v3
	v_lshlrev_b32_e32 v7, 29, v3
	v_lshlrev_b32_e32 v8, 28, v3
	v_lshlrev_b32_e32 v70, 27, v3
	v_add_co_u32 v5, s19, v5, -1
	s_wait_alu 0xf1ff
	v_cndmask_b32_e64 v9, 0, 1, s19
	v_not_b32_e32 v74, v6
	v_cmp_gt_i32_e64 s19, 0, v6
	v_not_b32_e32 v6, v7
	v_lshlrev_b32_e32 v71, 26, v3
	v_cmp_ne_u32_e32 vcc_lo, 0, v9
	v_ashrrev_i32_e32 v9, 31, v74
	v_lshlrev_b32_e32 v73, 25, v3
	v_ashrrev_i32_e32 v6, 31, v6
	v_mul_lo_u32 v4, 0x84, v3
	s_wait_alu 0xfffd
	v_xor_b32_e32 v5, vcc_lo, v5
	v_cmp_gt_i32_e32 vcc_lo, 0, v7
	v_not_b32_e32 v7, v8
	s_wait_alu 0xf1ff
	v_xor_b32_e32 v9, s19, v9
	v_cmp_gt_i32_e64 s19, 0, v8
	v_and_b32_e32 v5, exec_lo, v5
	v_not_b32_e32 v8, v70
	v_ashrrev_i32_e32 v7, 31, v7
	s_wait_alu 0xfffd
	v_xor_b32_e32 v6, vcc_lo, v6
	v_cmp_gt_i32_e32 vcc_lo, 0, v70
	v_and_b32_e32 v5, v5, v9
	v_not_b32_e32 v9, v71
	v_ashrrev_i32_e32 v8, 31, v8
	s_wait_alu 0xf1ff
	v_xor_b32_e32 v7, s19, v7
	v_lshlrev_b32_e32 v3, 24, v3
	v_and_b32_e32 v5, v5, v6
	v_cmp_gt_i32_e64 s19, 0, v71
	v_not_b32_e32 v6, v73
	v_ashrrev_i32_e32 v9, 31, v9
	s_wait_alu 0xfffd
	v_xor_b32_e32 v8, vcc_lo, v8
	v_and_b32_e32 v5, v5, v7
	v_cmp_gt_i32_e32 vcc_lo, 0, v73
	v_not_b32_e32 v7, v3
	v_ashrrev_i32_e32 v6, 31, v6
	s_wait_alu 0xf1ff
	v_xor_b32_e32 v9, s19, v9
	v_and_b32_e32 v5, v5, v8
	v_cmp_gt_i32_e64 s19, 0, v3
	v_ashrrev_i32_e32 v3, 31, v7
	s_wait_alu 0xfffd
	v_xor_b32_e32 v6, vcc_lo, v6
	v_add_nc_u32_e32 v75, v2, v4
	v_and_b32_e32 v5, v5, v9
	s_wait_alu 0xf1ff
	v_xor_b32_e32 v3, s19, v3
	ds_load_b32 v70, v75 offset:128
	v_and_b32_e32 v4, v5, v6
	; wave barrier
	s_delay_alu instid0(VALU_DEP_1) | instskip(NEXT) | instid1(VALU_DEP_1)
	v_and_b32_e32 v3, v4, v3
	v_mbcnt_lo_u32_b32 v71, v3, 0
	v_cmp_ne_u32_e64 s19, 0, v3
	s_delay_alu instid0(VALU_DEP_2)
	v_cmp_eq_u32_e32 vcc_lo, 0, v71
	s_and_b32 s20, s19, vcc_lo
	s_wait_alu 0xfffe
	s_and_saveexec_b32 s19, s20
	s_cbranch_execz .LBB181_67
; %bb.66:
	s_wait_dscnt 0x0
	v_bcnt_u32_b32 v3, v3, v70
	ds_store_b32 v75, v3 offset:128
.LBB181_67:
	s_wait_alu 0xfffe
	s_or_b32 exec_lo, exec_lo, s19
	v_lshrrev_b32_e32 v3, s44, v25
	; wave barrier
	s_delay_alu instid0(VALU_DEP_1) | instskip(NEXT) | instid1(VALU_DEP_1)
	v_and_b32_e32 v3, s49, v3
	v_and_b32_e32 v5, 1, v3
	v_lshlrev_b32_e32 v6, 30, v3
	v_lshlrev_b32_e32 v7, 29, v3
	;; [unrolled: 1-line block ×4, first 2 shown]
	v_add_co_u32 v5, s19, v5, -1
	s_wait_alu 0xf1ff
	v_cndmask_b32_e64 v9, 0, 1, s19
	v_not_b32_e32 v77, v6
	v_cmp_gt_i32_e64 s19, 0, v6
	v_not_b32_e32 v6, v7
	v_lshlrev_b32_e32 v74, 26, v3
	v_cmp_ne_u32_e32 vcc_lo, 0, v9
	v_ashrrev_i32_e32 v9, 31, v77
	v_lshlrev_b32_e32 v76, 25, v3
	v_ashrrev_i32_e32 v6, 31, v6
	v_mul_lo_u32 v4, 0x84, v3
	s_wait_alu 0xfffd
	v_xor_b32_e32 v5, vcc_lo, v5
	v_cmp_gt_i32_e32 vcc_lo, 0, v7
	v_not_b32_e32 v7, v8
	s_wait_alu 0xf1ff
	v_xor_b32_e32 v9, s19, v9
	v_cmp_gt_i32_e64 s19, 0, v8
	v_and_b32_e32 v5, exec_lo, v5
	v_not_b32_e32 v8, v73
	v_ashrrev_i32_e32 v7, 31, v7
	s_wait_alu 0xfffd
	v_xor_b32_e32 v6, vcc_lo, v6
	v_cmp_gt_i32_e32 vcc_lo, 0, v73
	v_and_b32_e32 v5, v5, v9
	v_not_b32_e32 v9, v74
	v_ashrrev_i32_e32 v8, 31, v8
	s_wait_alu 0xf1ff
	v_xor_b32_e32 v7, s19, v7
	v_lshlrev_b32_e32 v3, 24, v3
	v_and_b32_e32 v5, v5, v6
	v_cmp_gt_i32_e64 s19, 0, v74
	v_not_b32_e32 v6, v76
	v_ashrrev_i32_e32 v9, 31, v9
	s_wait_alu 0xfffd
	v_xor_b32_e32 v8, vcc_lo, v8
	v_and_b32_e32 v5, v5, v7
	v_cmp_gt_i32_e32 vcc_lo, 0, v76
	v_not_b32_e32 v7, v3
	v_ashrrev_i32_e32 v6, 31, v6
	s_wait_alu 0xf1ff
	v_xor_b32_e32 v9, s19, v9
	v_and_b32_e32 v5, v5, v8
	v_cmp_gt_i32_e64 s19, 0, v3
	v_ashrrev_i32_e32 v3, 31, v7
	s_wait_alu 0xfffd
	v_xor_b32_e32 v6, vcc_lo, v6
	v_add_nc_u32_e32 v79, v2, v4
	v_and_b32_e32 v5, v5, v9
	s_wait_alu 0xf1ff
	v_xor_b32_e32 v2, s19, v3
	ds_load_b32 v73, v79 offset:128
	v_and_b32_e32 v3, v5, v6
	; wave barrier
	s_delay_alu instid0(VALU_DEP_1) | instskip(NEXT) | instid1(VALU_DEP_1)
	v_and_b32_e32 v2, v3, v2
	v_mbcnt_lo_u32_b32 v74, v2, 0
	v_cmp_ne_u32_e64 s19, 0, v2
	s_delay_alu instid0(VALU_DEP_2)
	v_cmp_eq_u32_e32 vcc_lo, 0, v74
	s_and_b32 s20, s19, vcc_lo
	s_wait_alu 0xfffe
	s_and_saveexec_b32 s19, s20
	s_cbranch_execz .LBB181_69
; %bb.68:
	s_wait_dscnt 0x0
	v_bcnt_u32_b32 v2, v2, v73
	ds_store_b32 v79, v2 offset:128
.LBB181_69:
	s_wait_alu 0xfffe
	s_or_b32 exec_lo, exec_lo, s19
	; wave barrier
	s_wait_loadcnt_dscnt 0x0
	s_barrier_signal -1
	s_barrier_wait -1
	global_inv scope:SCOPE_SE
	ds_load_2addr_b32 v[8:9], v30 offset0:32 offset1:33
	ds_load_2addr_b32 v[6:7], v30 offset0:34 offset1:35
	;; [unrolled: 1-line block ×4, first 2 shown]
	ds_load_b32 v76, v30 offset:160
	v_and_b32_e32 v80, 16, v36
	v_and_b32_e32 v81, 31, v1
	s_mov_b32 s24, exec_lo
	s_delay_alu instid0(VALU_DEP_2) | instskip(SKIP_3) | instid1(VALU_DEP_1)
	v_cmp_eq_u32_e64 s22, 0, v80
	s_wait_dscnt 0x3
	v_add3_u32 v77, v9, v8, v6
	s_wait_dscnt 0x2
	v_add3_u32 v77, v77, v7, v4
	s_wait_dscnt 0x1
	s_delay_alu instid0(VALU_DEP_1) | instskip(SKIP_1) | instid1(VALU_DEP_1)
	v_add3_u32 v77, v77, v5, v2
	s_wait_dscnt 0x0
	v_add3_u32 v76, v77, v3, v76
	v_and_b32_e32 v77, 15, v36
	s_delay_alu instid0(VALU_DEP_2) | instskip(NEXT) | instid1(VALU_DEP_2)
	v_mov_b32_dpp v78, v76 row_shr:1 row_mask:0xf bank_mask:0xf
	v_cmp_eq_u32_e32 vcc_lo, 0, v77
	v_cmp_lt_u32_e64 s19, 1, v77
	v_cmp_lt_u32_e64 s20, 3, v77
	;; [unrolled: 1-line block ×3, first 2 shown]
	s_wait_alu 0xfffd
	v_cndmask_b32_e64 v78, v78, 0, vcc_lo
	s_delay_alu instid0(VALU_DEP_1) | instskip(NEXT) | instid1(VALU_DEP_1)
	v_add_nc_u32_e32 v76, v78, v76
	v_mov_b32_dpp v78, v76 row_shr:2 row_mask:0xf bank_mask:0xf
	s_wait_alu 0xf1ff
	s_delay_alu instid0(VALU_DEP_1) | instskip(NEXT) | instid1(VALU_DEP_1)
	v_cndmask_b32_e64 v78, 0, v78, s19
	v_add_nc_u32_e32 v76, v76, v78
	s_delay_alu instid0(VALU_DEP_1) | instskip(NEXT) | instid1(VALU_DEP_1)
	v_mov_b32_dpp v78, v76 row_shr:4 row_mask:0xf bank_mask:0xf
	v_cndmask_b32_e64 v78, 0, v78, s20
	s_delay_alu instid0(VALU_DEP_1) | instskip(NEXT) | instid1(VALU_DEP_1)
	v_add_nc_u32_e32 v76, v76, v78
	v_mov_b32_dpp v78, v76 row_shr:8 row_mask:0xf bank_mask:0xf
	s_delay_alu instid0(VALU_DEP_1) | instskip(SKIP_1) | instid1(VALU_DEP_2)
	v_cndmask_b32_e64 v77, 0, v78, s21
	v_bfe_i32 v78, v36, 4, 1
	v_add_nc_u32_e32 v76, v76, v77
	ds_swizzle_b32 v77, v76 offset:swizzle(BROADCAST,32,15)
	s_wait_dscnt 0x0
	v_and_b32_e32 v78, v78, v77
	v_lshrrev_b32_e32 v77, 5, v1
	s_delay_alu instid0(VALU_DEP_2)
	v_add_nc_u32_e32 v76, v76, v78
	v_cmpx_eq_u32_e32 31, v81
; %bb.70:
	s_delay_alu instid0(VALU_DEP_3)
	v_lshlrev_b32_e32 v78, 2, v77
	ds_store_b32 v78, v76
; %bb.71:
	s_or_b32 exec_lo, exec_lo, s24
	v_cmp_lt_u32_e64 s23, 31, v1
	s_mov_b32 s50, exec_lo
	s_wait_loadcnt_dscnt 0x0
	s_barrier_signal -1
	s_barrier_wait -1
	global_inv scope:SCOPE_SE
	v_cmpx_gt_u32_e32 32, v1
	s_cbranch_execz .LBB181_73
; %bb.72:
	v_lshlrev_b32_e32 v78, 2, v1
	ds_load_b32 v80, v78
	s_wait_dscnt 0x0
	v_mov_b32_dpp v81, v80 row_shr:1 row_mask:0xf bank_mask:0xf
	s_delay_alu instid0(VALU_DEP_1) | instskip(NEXT) | instid1(VALU_DEP_1)
	v_cndmask_b32_e64 v81, v81, 0, vcc_lo
	v_add_nc_u32_e32 v80, v81, v80
	s_delay_alu instid0(VALU_DEP_1) | instskip(NEXT) | instid1(VALU_DEP_1)
	v_mov_b32_dpp v81, v80 row_shr:2 row_mask:0xf bank_mask:0xf
	v_cndmask_b32_e64 v81, 0, v81, s19
	s_delay_alu instid0(VALU_DEP_1) | instskip(NEXT) | instid1(VALU_DEP_1)
	v_add_nc_u32_e32 v80, v80, v81
	v_mov_b32_dpp v81, v80 row_shr:4 row_mask:0xf bank_mask:0xf
	s_delay_alu instid0(VALU_DEP_1) | instskip(NEXT) | instid1(VALU_DEP_1)
	v_cndmask_b32_e64 v81, 0, v81, s20
	v_add_nc_u32_e32 v80, v80, v81
	s_delay_alu instid0(VALU_DEP_1) | instskip(NEXT) | instid1(VALU_DEP_1)
	v_mov_b32_dpp v81, v80 row_shr:8 row_mask:0xf bank_mask:0xf
	v_cndmask_b32_e64 v81, 0, v81, s21
	s_delay_alu instid0(VALU_DEP_1) | instskip(SKIP_3) | instid1(VALU_DEP_1)
	v_add_nc_u32_e32 v80, v80, v81
	ds_swizzle_b32 v81, v80 offset:swizzle(BROADCAST,32,15)
	s_wait_dscnt 0x0
	v_cndmask_b32_e64 v81, v81, 0, s22
	v_add_nc_u32_e32 v80, v80, v81
	ds_store_b32 v78, v80
.LBB181_73:
	s_or_b32 exec_lo, exec_lo, s50
	v_mov_b32_e32 v78, 0
	s_wait_loadcnt_dscnt 0x0
	s_barrier_signal -1
	s_barrier_wait -1
	global_inv scope:SCOPE_SE
	s_and_saveexec_b32 s19, s23
; %bb.74:
	v_lshl_add_u32 v77, v77, 2, -4
	ds_load_b32 v78, v77
; %bb.75:
	s_wait_alu 0xfffe
	s_or_b32 exec_lo, exec_lo, s19
	v_sub_co_u32 v77, vcc_lo, v36, 1
	s_wait_dscnt 0x0
	v_add_nc_u32_e32 v76, v78, v76
	s_delay_alu instid0(VALU_DEP_2) | instskip(SKIP_1) | instid1(VALU_DEP_1)
	v_cmp_gt_i32_e64 s19, 0, v77
	s_wait_alu 0xf1ff
	v_cndmask_b32_e64 v77, v77, v36, s19
	v_cmp_lt_u32_e64 s19, 0xff, v1
	s_delay_alu instid0(VALU_DEP_2)
	v_lshlrev_b32_e32 v77, 2, v77
	ds_bpermute_b32 v76, v77, v76
	s_wait_dscnt 0x0
	s_wait_alu 0xfffd
	v_cndmask_b32_e32 v76, v76, v78, vcc_lo
	v_cmp_gt_u32_e32 vcc_lo, 0x100, v1
	s_delay_alu instid0(VALU_DEP_2) | instskip(NEXT) | instid1(VALU_DEP_1)
	v_cndmask_b32_e64 v76, v76, 0, s2
	v_add_nc_u32_e32 v8, v76, v8
	s_delay_alu instid0(VALU_DEP_1) | instskip(NEXT) | instid1(VALU_DEP_1)
	v_add_nc_u32_e32 v9, v8, v9
	v_add_nc_u32_e32 v6, v9, v6
	s_delay_alu instid0(VALU_DEP_1) | instskip(NEXT) | instid1(VALU_DEP_1)
	v_add_nc_u32_e32 v7, v6, v7
	;; [unrolled: 3-line block ×3, first 2 shown]
	v_add_nc_u32_e32 v2, v5, v2
	s_delay_alu instid0(VALU_DEP_1)
	v_add_nc_u32_e32 v3, v2, v3
	ds_store_2addr_b32 v30, v76, v8 offset0:32 offset1:33
	ds_store_2addr_b32 v30, v9, v6 offset0:34 offset1:35
	;; [unrolled: 1-line block ×4, first 2 shown]
	ds_store_b32 v30, v3 offset:160
	s_wait_loadcnt_dscnt 0x0
	s_barrier_signal -1
	s_barrier_wait -1
	global_inv scope:SCOPE_SE
	ds_load_b32 v8, v34 offset:128
	ds_load_b32 v9, v39 offset:128
	;; [unrolled: 1-line block ×16, first 2 shown]
                                        ; implicit-def: $vgpr39
                                        ; implicit-def: $vgpr42
	s_and_saveexec_b32 s21, vcc_lo
	s_cbranch_execz .LBB181_79
; %bb.76:
	v_mul_u32_u24_e32 v2, 0x84, v1
	v_add_nc_u32_e32 v3, 1, v1
	s_mov_b32 s22, exec_lo
	ds_load_b32 v39, v2 offset:128
	v_mov_b32_e32 v2, 0x4000
	v_cmpx_ne_u32_e32 0x100, v3
; %bb.77:
	v_mul_u32_u24_e32 v2, 0x84, v3
	ds_load_b32 v2, v2 offset:128
; %bb.78:
	s_wait_alu 0xfffe
	s_or_b32 exec_lo, exec_lo, s22
	s_wait_dscnt 0x0
	v_sub_nc_u32_e32 v42, v2, v39
.LBB181_79:
	s_wait_alu 0xfffe
	s_or_b32 exec_lo, exec_lo, s21
	v_mov_b32_e32 v3, 0
	v_lshlrev_b32_e32 v45, 2, v1
	s_wait_loadcnt_dscnt 0x0
	s_barrier_signal -1
	s_barrier_wait -1
	global_inv scope:SCOPE_SE
	s_and_saveexec_b32 s20, vcc_lo
	s_cbranch_execz .LBB181_89
; %bb.80:
	v_lshl_add_u32 v2, s25, 8, v1
	v_mov_b32_e32 v69, 0
	s_mov_b32 s21, 0
	s_mov_b32 s22, s25
                                        ; implicit-def: $sgpr23
	s_delay_alu instid0(VALU_DEP_2) | instskip(SKIP_1) | instid1(VALU_DEP_2)
	v_lshlrev_b64_e32 v[4:5], 2, v[2:3]
	v_or_b32_e32 v2, 2.0, v42
	v_add_co_u32 v4, vcc_lo, s26, v4
	s_wait_alu 0xfffd
	s_delay_alu instid0(VALU_DEP_3)
	v_add_co_ci_u32_e64 v5, null, s27, v5, vcc_lo
	global_store_b32 v[4:5], v2, off scope:SCOPE_DEV
	s_branch .LBB181_83
.LBB181_81:                             ;   in Loop: Header=BB181_83 Depth=1
	s_or_b32 exec_lo, exec_lo, s24
.LBB181_82:                             ;   in Loop: Header=BB181_83 Depth=1
	s_delay_alu instid0(SALU_CYCLE_1) | instskip(SKIP_2) | instid1(VALU_DEP_2)
	s_or_b32 exec_lo, exec_lo, s23
	v_and_b32_e32 v6, 0x3fffffff, v2
	v_cmp_gt_i32_e64 s23, -2.0, v2
	v_add_nc_u32_e32 v69, v6, v69
	s_and_b32 s24, exec_lo, s23
	s_wait_alu 0xfffe
	s_or_b32 s21, s24, s21
	s_wait_alu 0xfffe
	s_and_not1_b32 exec_lo, exec_lo, s21
	s_cbranch_execz .LBB181_88
.LBB181_83:                             ; =>This Loop Header: Depth=1
                                        ;     Child Loop BB181_86 Depth 2
	s_or_b32 s23, s23, exec_lo
	s_wait_alu 0xfffe
	s_cmp_eq_u32 s22, 0
	s_cbranch_scc1 .LBB181_87
; %bb.84:                               ;   in Loop: Header=BB181_83 Depth=1
	s_add_co_i32 s22, s22, -1
	s_mov_b32 s23, exec_lo
	s_wait_alu 0xfffe
	v_lshl_or_b32 v2, s22, 8, v1
	s_delay_alu instid0(VALU_DEP_1) | instskip(NEXT) | instid1(VALU_DEP_1)
	v_lshlrev_b64_e32 v[6:7], 2, v[2:3]
	v_add_co_u32 v6, vcc_lo, s26, v6
	s_wait_alu 0xfffd
	s_delay_alu instid0(VALU_DEP_2)
	v_add_co_ci_u32_e64 v7, null, s27, v7, vcc_lo
	global_load_b32 v2, v[6:7], off scope:SCOPE_DEV
	s_wait_loadcnt 0x0
	v_cmpx_gt_u32_e32 2.0, v2
	s_cbranch_execz .LBB181_82
; %bb.85:                               ;   in Loop: Header=BB181_83 Depth=1
	s_mov_b32 s24, 0
.LBB181_86:                             ;   Parent Loop BB181_83 Depth=1
                                        ; =>  This Inner Loop Header: Depth=2
	global_load_b32 v2, v[6:7], off scope:SCOPE_DEV
	s_wait_loadcnt 0x0
	v_cmp_lt_u32_e32 vcc_lo, 0x3fffffff, v2
	s_wait_alu 0xfffe
	s_or_b32 s24, vcc_lo, s24
	s_wait_alu 0xfffe
	s_and_not1_b32 exec_lo, exec_lo, s24
	s_cbranch_execnz .LBB181_86
	s_branch .LBB181_81
.LBB181_87:                             ;   in Loop: Header=BB181_83 Depth=1
                                        ; implicit-def: $sgpr22
	s_and_b32 s24, exec_lo, s23
	s_wait_alu 0xfffe
	s_or_b32 s21, s24, s21
	s_wait_alu 0xfffe
	s_and_not1_b32 exec_lo, exec_lo, s21
	s_cbranch_execnz .LBB181_83
.LBB181_88:
	s_or_b32 exec_lo, exec_lo, s21
	v_add_nc_u32_e32 v2, v69, v42
	v_sub_nc_u32_e32 v3, v69, v39
	s_delay_alu instid0(VALU_DEP_2)
	v_or_b32_e32 v2, 0x80000000, v2
	global_store_b32 v[4:5], v2, off scope:SCOPE_DEV
	global_load_b32 v2, v45, s[28:29]
	s_wait_loadcnt 0x0
	v_add_nc_u32_e32 v2, v3, v2
	ds_store_b32 v45, v2
.LBB181_89:
	s_wait_alu 0xfffe
	s_or_b32 exec_lo, exec_lo, s20
	v_dual_mov_b32 v3, 0 :: v_dual_add_nc_u32 v48, v48, v27
	v_add3_u32 v51, v74, v51, v73
	v_add3_u32 v54, v71, v54, v70
	;; [unrolled: 1-line block ×15, first 2 shown]
	v_mov_b32_e32 v4, v1
	s_mov_b32 s20, 32
	s_mov_b32 s23, 0
	s_mov_b32 s22, -1
	s_mov_b32 s21, 0
	s_branch .LBB181_91
.LBB181_90:                             ;   in Loop: Header=BB181_91 Depth=1
	s_wait_alu 0xfffe
	s_or_b32 exec_lo, exec_lo, s24
	v_add_nc_u32_e32 v4, 0x2000, v4
	s_xor_b32 s23, s22, -1
	s_addk_co_i32 s21, 0xe000
	s_mov_b32 s22, 0
	s_wait_alu 0xfffe
	s_and_b32 vcc_lo, exec_lo, s23
	s_mov_b32 s23, s20
	s_wait_loadcnt 0x0
	s_wait_storecnt 0x0
	s_barrier_signal -1
	s_barrier_wait -1
	global_inv scope:SCOPE_SE
	s_wait_alu 0xfffe
	s_cbranch_vccnz .LBB181_107
.LBB181_91:                             ; =>This Inner Loop Header: Depth=1
	s_wait_alu 0xfffe
	v_add_nc_u32_e32 v2, s21, v48
	v_add_nc_u32_e32 v5, s21, v44
	;; [unrolled: 1-line block ×5, first 2 shown]
	v_min_u32_e32 v2, 0x2000, v2
	v_add_nc_u32_e32 v9, s21, v43
	v_min_u32_e32 v5, 0x2000, v5
	v_min_u32_e32 v6, 0x2000, v6
	;; [unrolled: 1-line block ×3, first 2 shown]
	v_lshlrev_b32_e32 v2, 2, v2
	v_min_u32_e32 v8, 0x2000, v8
	v_min_u32_e32 v9, 0x2000, v9
	v_lshlrev_b32_e32 v5, 2, v5
	v_lshlrev_b32_e32 v6, 2, v6
	ds_store_b32 v2, v12 offset:1024
	v_lshlrev_b32_e32 v2, 2, v7
	v_lshlrev_b32_e32 v7, 2, v8
	;; [unrolled: 1-line block ×3, first 2 shown]
	ds_store_b32 v5, v11 offset:1024
	ds_store_b32 v6, v14 offset:1024
	;; [unrolled: 1-line block ×5, first 2 shown]
	v_add_nc_u32_e32 v2, s21, v46
	v_add_nc_u32_e32 v5, s21, v49
	;; [unrolled: 1-line block ×5, first 2 shown]
	v_min_u32_e32 v2, 0x2000, v2
	v_min_u32_e32 v5, 0x2000, v5
	;; [unrolled: 1-line block ×5, first 2 shown]
	v_lshlrev_b32_e32 v2, 2, v2
	v_lshlrev_b32_e32 v5, 2, v5
	;; [unrolled: 1-line block ×5, first 2 shown]
	ds_store_b32 v2, v18 offset:1024
	ds_store_b32 v5, v17 offset:1024
	;; [unrolled: 1-line block ×5, first 2 shown]
	v_add_nc_u32_e32 v2, s21, v61
	v_add_nc_u32_e32 v5, s21, v60
	;; [unrolled: 1-line block ×5, first 2 shown]
	v_min_u32_e32 v2, 0x2000, v2
	v_min_u32_e32 v5, 0x2000, v5
	;; [unrolled: 1-line block ×5, first 2 shown]
	v_lshlrev_b32_e32 v2, 2, v2
	v_lshlrev_b32_e32 v5, 2, v5
	;; [unrolled: 1-line block ×4, first 2 shown]
	s_mov_b32 s24, exec_lo
	v_lshlrev_b32_e32 v8, 2, v8
	ds_store_b32 v2, v21 offset:1024
	ds_store_b32 v5, v24 offset:1024
	;; [unrolled: 1-line block ×5, first 2 shown]
	s_wait_storecnt 0x0
	s_wait_loadcnt_dscnt 0x0
	s_barrier_signal -1
	s_barrier_wait -1
	global_inv scope:SCOPE_SE
	v_cmpx_gt_u32_e64 s33, v4
	s_cbranch_execz .LBB181_93
; %bb.92:                               ;   in Loop: Header=BB181_91 Depth=1
	ds_load_b32 v7, v45 offset:1024
	s_wait_dscnt 0x0
	v_lshrrev_b32_e32 v2, s44, v7
	s_delay_alu instid0(VALU_DEP_1) | instskip(NEXT) | instid1(VALU_DEP_1)
	v_and_b32_e32 v8, s49, v2
	v_lshlrev_b32_e32 v2, 2, v8
	ds_load_b32 v2, v2
	s_wait_dscnt 0x0
	v_add_nc_u32_e32 v2, v4, v2
	s_delay_alu instid0(VALU_DEP_1) | instskip(NEXT) | instid1(VALU_DEP_1)
	v_lshlrev_b64_e32 v[5:6], 2, v[2:3]
	v_add_co_u32 v5, vcc_lo, s38, v5
	s_wait_alu 0xfffd
	s_delay_alu instid0(VALU_DEP_2)
	v_add_co_ci_u32_e64 v6, null, s39, v6, vcc_lo
	global_store_b32 v[5:6], v7, off
	scratch_store_b32 off, v8, s23
.LBB181_93:                             ;   in Loop: Header=BB181_91 Depth=1
	s_wait_alu 0xfffe
	s_or_b32 exec_lo, exec_lo, s24
	v_add_nc_u32_e32 v2, 0x400, v4
	s_mov_b32 s24, exec_lo
	s_delay_alu instid0(VALU_DEP_1)
	v_cmpx_gt_u32_e64 s33, v2
	s_cbranch_execz .LBB181_95
; %bb.94:                               ;   in Loop: Header=BB181_91 Depth=1
	ds_load_b32 v7, v45 offset:5120
	s_wait_dscnt 0x0
	v_lshrrev_b32_e32 v2, s44, v7
	s_delay_alu instid0(VALU_DEP_1) | instskip(NEXT) | instid1(VALU_DEP_1)
	v_and_b32_e32 v8, s49, v2
	v_lshlrev_b32_e32 v2, 2, v8
	ds_load_b32 v2, v2
	s_wait_dscnt 0x0
	v_add3_u32 v2, v4, v2, 0x400
	s_delay_alu instid0(VALU_DEP_1) | instskip(NEXT) | instid1(VALU_DEP_1)
	v_lshlrev_b64_e32 v[5:6], 2, v[2:3]
	v_add_co_u32 v5, vcc_lo, s38, v5
	s_wait_alu 0xfffd
	s_delay_alu instid0(VALU_DEP_2)
	v_add_co_ci_u32_e64 v6, null, s39, v6, vcc_lo
	global_store_b32 v[5:6], v7, off
	scratch_store_b32 off, v8, s23 offset:4
.LBB181_95:                             ;   in Loop: Header=BB181_91 Depth=1
	s_wait_alu 0xfffe
	s_or_b32 exec_lo, exec_lo, s24
	v_add_nc_u32_e32 v2, 0x800, v4
	s_mov_b32 s24, exec_lo
	s_delay_alu instid0(VALU_DEP_1)
	v_cmpx_gt_u32_e64 s33, v2
	s_cbranch_execz .LBB181_97
; %bb.96:                               ;   in Loop: Header=BB181_91 Depth=1
	ds_load_b32 v7, v45 offset:9216
	s_wait_dscnt 0x0
	v_lshrrev_b32_e32 v2, s44, v7
	s_delay_alu instid0(VALU_DEP_1) | instskip(NEXT) | instid1(VALU_DEP_1)
	v_and_b32_e32 v8, s49, v2
	v_lshlrev_b32_e32 v2, 2, v8
	ds_load_b32 v2, v2
	s_wait_dscnt 0x0
	v_add3_u32 v2, v4, v2, 0x800
	s_delay_alu instid0(VALU_DEP_1) | instskip(NEXT) | instid1(VALU_DEP_1)
	v_lshlrev_b64_e32 v[5:6], 2, v[2:3]
	v_add_co_u32 v5, vcc_lo, s38, v5
	s_wait_alu 0xfffd
	s_delay_alu instid0(VALU_DEP_2)
	v_add_co_ci_u32_e64 v6, null, s39, v6, vcc_lo
	global_store_b32 v[5:6], v7, off
	scratch_store_b32 off, v8, s23 offset:8
.LBB181_97:                             ;   in Loop: Header=BB181_91 Depth=1
	;; [unrolled: 26-line block ×3, first 2 shown]
	s_wait_alu 0xfffe
	s_or_b32 exec_lo, exec_lo, s24
	v_add_nc_u32_e32 v2, 0x1000, v4
	s_mov_b32 s24, exec_lo
	s_delay_alu instid0(VALU_DEP_1)
	v_cmpx_gt_u32_e64 s33, v2
	s_cbranch_execz .LBB181_101
; %bb.100:                              ;   in Loop: Header=BB181_91 Depth=1
	ds_load_b32 v7, v45 offset:17408
	s_wait_dscnt 0x0
	v_lshrrev_b32_e32 v2, s44, v7
	s_delay_alu instid0(VALU_DEP_1) | instskip(NEXT) | instid1(VALU_DEP_1)
	v_and_b32_e32 v8, s49, v2
	v_lshlrev_b32_e32 v2, 2, v8
	ds_load_b32 v2, v2
	s_wait_dscnt 0x0
	v_add3_u32 v2, v4, v2, 0x1000
	s_delay_alu instid0(VALU_DEP_1) | instskip(NEXT) | instid1(VALU_DEP_1)
	v_lshlrev_b64_e32 v[5:6], 2, v[2:3]
	v_add_co_u32 v5, vcc_lo, s38, v5
	s_wait_alu 0xfffd
	s_delay_alu instid0(VALU_DEP_2)
	v_add_co_ci_u32_e64 v6, null, s39, v6, vcc_lo
	global_store_b32 v[5:6], v7, off
	scratch_store_b32 off, v8, s23 offset:16
.LBB181_101:                            ;   in Loop: Header=BB181_91 Depth=1
	s_wait_alu 0xfffe
	s_or_b32 exec_lo, exec_lo, s24
	v_add_nc_u32_e32 v2, 0x1400, v4
	s_mov_b32 s24, exec_lo
	s_delay_alu instid0(VALU_DEP_1)
	v_cmpx_gt_u32_e64 s33, v2
	s_cbranch_execz .LBB181_103
; %bb.102:                              ;   in Loop: Header=BB181_91 Depth=1
	ds_load_b32 v7, v45 offset:21504
	s_wait_dscnt 0x0
	v_lshrrev_b32_e32 v2, s44, v7
	s_delay_alu instid0(VALU_DEP_1) | instskip(NEXT) | instid1(VALU_DEP_1)
	v_and_b32_e32 v8, s49, v2
	v_lshlrev_b32_e32 v2, 2, v8
	ds_load_b32 v2, v2
	s_wait_dscnt 0x0
	v_add3_u32 v2, v4, v2, 0x1400
	s_delay_alu instid0(VALU_DEP_1) | instskip(NEXT) | instid1(VALU_DEP_1)
	v_lshlrev_b64_e32 v[5:6], 2, v[2:3]
	v_add_co_u32 v5, vcc_lo, s38, v5
	s_wait_alu 0xfffd
	s_delay_alu instid0(VALU_DEP_2)
	v_add_co_ci_u32_e64 v6, null, s39, v6, vcc_lo
	global_store_b32 v[5:6], v7, off
	scratch_store_b32 off, v8, s23 offset:20
.LBB181_103:                            ;   in Loop: Header=BB181_91 Depth=1
	;; [unrolled: 26-line block ×3, first 2 shown]
	s_wait_alu 0xfffe
	s_or_b32 exec_lo, exec_lo, s24
	v_add_nc_u32_e32 v2, 0x1c00, v4
	s_mov_b32 s24, exec_lo
	s_delay_alu instid0(VALU_DEP_1)
	v_cmpx_gt_u32_e64 s33, v2
	s_cbranch_execz .LBB181_90
; %bb.106:                              ;   in Loop: Header=BB181_91 Depth=1
	ds_load_b32 v7, v45 offset:29696
	s_wait_dscnt 0x0
	v_lshrrev_b32_e32 v2, s44, v7
	s_delay_alu instid0(VALU_DEP_1) | instskip(NEXT) | instid1(VALU_DEP_1)
	v_and_b32_e32 v8, s49, v2
	v_lshlrev_b32_e32 v2, 2, v8
	ds_load_b32 v2, v2
	s_wait_dscnt 0x0
	v_add3_u32 v2, v4, v2, 0x1c00
	s_delay_alu instid0(VALU_DEP_1) | instskip(NEXT) | instid1(VALU_DEP_1)
	v_lshlrev_b64_e32 v[5:6], 2, v[2:3]
	v_add_co_u32 v5, vcc_lo, s38, v5
	s_wait_alu 0xfffd
	s_delay_alu instid0(VALU_DEP_2)
	v_add_co_ci_u32_e64 v6, null, s39, v6, vcc_lo
	global_store_b32 v[5:6], v7, off
	scratch_store_b32 off, v8, s23 offset:28
	s_branch .LBB181_90
.LBB181_107:
	v_dual_mov_b32 v3, 0 :: v_dual_lshlrev_b32 v2, 3, v36
	s_lshl_b64 s[20:21], s[46:47], 3
	v_lshlrev_b32_e32 v4, 3, v10
	s_wait_alu 0xfffe
	s_add_nc_u64 s[20:21], s[40:41], s[20:21]
	s_wait_alu 0xfffe
	v_add_co_u32 v2, s20, s20, v2
	s_wait_alu 0xf1ff
	v_add_co_ci_u32_e64 v5, null, s21, 0, s20
	s_delay_alu instid0(VALU_DEP_2) | instskip(SKIP_1) | instid1(VALU_DEP_2)
	v_add_co_u32 v34, vcc_lo, v2, v4
	s_wait_alu 0xfffd
	v_add_co_ci_u32_e64 v35, null, 0, v5, vcc_lo
	v_dual_mov_b32 v5, 0 :: v_dual_mov_b32 v4, 0
	s_and_saveexec_b32 s20, s18
	s_cbranch_execz .LBB181_109
; %bb.108:
	global_load_b64 v[4:5], v[34:35], off
.LBB181_109:
	s_wait_alu 0xfffe
	s_or_b32 exec_lo, exec_lo, s20
	v_mov_b32_e32 v2, 0
	s_and_saveexec_b32 s18, s17
	s_cbranch_execz .LBB181_111
; %bb.110:
	global_load_b64 v[2:3], v[34:35], off offset:256
.LBB181_111:
	s_wait_alu 0xfffe
	s_or_b32 exec_lo, exec_lo, s18
	v_dual_mov_b32 v7, 0 :: v_dual_mov_b32 v8, 0
	v_mov_b32_e32 v9, 0
	s_and_saveexec_b32 s17, s16
	s_cbranch_execz .LBB181_113
; %bb.112:
	global_load_b64 v[8:9], v[34:35], off offset:512
.LBB181_113:
	s_or_b32 exec_lo, exec_lo, s17
	v_mov_b32_e32 v6, 0
	s_and_saveexec_b32 s16, s15
	s_cbranch_execz .LBB181_115
; %bb.114:
	global_load_b64 v[6:7], v[34:35], off offset:768
.LBB181_115:
	s_or_b32 exec_lo, exec_lo, s16
	v_dual_mov_b32 v11, 0 :: v_dual_mov_b32 v12, 0
	v_mov_b32_e32 v13, 0
	s_and_saveexec_b32 s15, s14
	s_cbranch_execz .LBB181_117
; %bb.116:
	global_load_b64 v[12:13], v[34:35], off offset:1024
.LBB181_117:
	s_or_b32 exec_lo, exec_lo, s15
	v_mov_b32_e32 v10, 0
	s_and_saveexec_b32 s14, s13
	s_cbranch_execz .LBB181_119
; %bb.118:
	global_load_b64 v[10:11], v[34:35], off offset:1280
.LBB181_119:
	;; [unrolled: 15-line block ×6, first 2 shown]
	s_or_b32 exec_lo, exec_lo, s6
	v_dual_mov_b32 v31, 0 :: v_dual_mov_b32 v32, 0
	v_mov_b32_e32 v33, 0
	s_and_saveexec_b32 s5, s4
	s_cbranch_execz .LBB181_137
; %bb.136:
	global_load_b64 v[32:33], v[34:35], off offset:3584
.LBB181_137:
	s_wait_alu 0xfffe
	s_or_b32 exec_lo, exec_lo, s5
	v_mov_b32_e32 v30, 0
	s_and_saveexec_b32 s4, s3
	s_cbranch_execz .LBB181_139
; %bb.138:
	global_load_b64 v[30:31], v[34:35], off offset:3840
.LBB181_139:
	s_wait_alu 0xfffe
	s_or_b32 exec_lo, exec_lo, s4
	v_dual_mov_b32 v50, v1 :: v_dual_lshlrev_b32 v47, 3, v1
	v_mov_b32_e32 v35, 0
	s_or_b32 s3, 0, 8
	s_mov_b32 s4, 0
	s_branch .LBB181_141
.LBB181_140:                            ;   in Loop: Header=BB181_141 Depth=1
	s_wait_alu 0xfffe
	s_or_b32 exec_lo, exec_lo, s5
	v_add_nc_u32_e32 v50, 0x1000, v50
	s_addk_co_i32 s4, 0xf000
	s_add_co_i32 s3, s3, 16
	s_wait_alu 0xfffe
	s_cmp_eq_u32 s4, 0xffffc000
	s_wait_loadcnt 0x0
	s_wait_storecnt 0x0
	s_barrier_signal -1
	s_barrier_wait -1
	global_inv scope:SCOPE_SE
	s_cbranch_scc1 .LBB181_149
.LBB181_141:                            ; =>This Inner Loop Header: Depth=1
	s_wait_alu 0xfffe
	v_add_nc_u32_e32 v34, s4, v48
	v_add_nc_u32_e32 v53, s4, v44
	;; [unrolled: 1-line block ×5, first 2 shown]
	v_min_u32_e32 v34, 0x1000, v34
	v_add_nc_u32_e32 v63, s4, v43
	v_min_u32_e32 v53, 0x1000, v53
	v_min_u32_e32 v56, 0x1000, v56
	;; [unrolled: 1-line block ×3, first 2 shown]
	v_lshlrev_b32_e32 v34, 3, v34
	v_min_u32_e32 v62, 0x1000, v62
	v_min_u32_e32 v63, 0x1000, v63
	v_lshlrev_b32_e32 v53, 3, v53
	v_lshlrev_b32_e32 v56, 3, v56
	s_wait_loadcnt 0x0
	ds_store_b64 v34, v[4:5] offset:1024
	v_lshlrev_b32_e32 v34, 3, v59
	v_lshlrev_b32_e32 v59, 3, v62
	;; [unrolled: 1-line block ×3, first 2 shown]
	ds_store_b64 v53, v[2:3] offset:1024
	ds_store_b64 v56, v[8:9] offset:1024
	;; [unrolled: 1-line block ×5, first 2 shown]
	v_add_nc_u32_e32 v34, s4, v46
	v_add_nc_u32_e32 v53, s4, v49
	;; [unrolled: 1-line block ×5, first 2 shown]
	v_min_u32_e32 v34, 0x1000, v34
	v_min_u32_e32 v53, 0x1000, v53
	;; [unrolled: 1-line block ×5, first 2 shown]
	v_lshlrev_b32_e32 v34, 3, v34
	v_lshlrev_b32_e32 v53, 3, v53
	;; [unrolled: 1-line block ×5, first 2 shown]
	ds_store_b64 v34, v[16:17] offset:1024
	ds_store_b64 v53, v[14:15] offset:1024
	;; [unrolled: 1-line block ×5, first 2 shown]
	v_add_nc_u32_e32 v34, s4, v61
	v_add_nc_u32_e32 v53, s4, v60
	;; [unrolled: 1-line block ×5, first 2 shown]
	v_min_u32_e32 v34, 0x1000, v34
	v_min_u32_e32 v53, 0x1000, v53
	;; [unrolled: 1-line block ×5, first 2 shown]
	v_lshlrev_b32_e32 v34, 3, v34
	v_lshlrev_b32_e32 v53, 3, v53
	;; [unrolled: 1-line block ×4, first 2 shown]
	s_mov_b32 s5, exec_lo
	v_lshlrev_b32_e32 v62, 3, v62
	ds_store_b64 v34, v[22:23] offset:1024
	ds_store_b64 v53, v[28:29] offset:1024
	;; [unrolled: 1-line block ×5, first 2 shown]
	s_wait_dscnt 0x0
	s_barrier_signal -1
	s_barrier_wait -1
	global_inv scope:SCOPE_SE
	v_cmpx_gt_u32_e64 s33, v50
	s_cbranch_execz .LBB181_143
; %bb.142:                              ;   in Loop: Header=BB181_141 Depth=1
	scratch_load_b32 v34, off, s3 offset:-8
	s_wait_loadcnt 0x0
	v_lshlrev_b32_e32 v34, 2, v34
	ds_load_b32 v34, v34
	ds_load_b64 v[62:63], v47 offset:1024
	s_wait_dscnt 0x1
	v_add_nc_u32_e32 v34, v50, v34
	s_delay_alu instid0(VALU_DEP_1) | instskip(NEXT) | instid1(VALU_DEP_1)
	v_lshlrev_b64_e32 v[64:65], 3, v[34:35]
	v_add_co_u32 v64, vcc_lo, s42, v64
	s_wait_alu 0xfffd
	s_delay_alu instid0(VALU_DEP_2)
	v_add_co_ci_u32_e64 v65, null, s43, v65, vcc_lo
	s_wait_dscnt 0x0
	global_store_b64 v[64:65], v[62:63], off
.LBB181_143:                            ;   in Loop: Header=BB181_141 Depth=1
	s_wait_alu 0xfffe
	s_or_b32 exec_lo, exec_lo, s5
	v_add_nc_u32_e32 v34, 0x400, v50
	s_mov_b32 s5, exec_lo
	s_delay_alu instid0(VALU_DEP_1)
	v_cmpx_gt_u32_e64 s33, v34
	s_cbranch_execz .LBB181_145
; %bb.144:                              ;   in Loop: Header=BB181_141 Depth=1
	scratch_load_b32 v34, off, s3 offset:-4
	s_wait_loadcnt 0x0
	v_lshlrev_b32_e32 v34, 2, v34
	ds_load_b32 v34, v34
	ds_load_b64 v[62:63], v47 offset:9216
	s_wait_dscnt 0x1
	v_add3_u32 v34, v50, v34, 0x400
	s_delay_alu instid0(VALU_DEP_1) | instskip(NEXT) | instid1(VALU_DEP_1)
	v_lshlrev_b64_e32 v[64:65], 3, v[34:35]
	v_add_co_u32 v64, vcc_lo, s42, v64
	s_wait_alu 0xfffd
	s_delay_alu instid0(VALU_DEP_2)
	v_add_co_ci_u32_e64 v65, null, s43, v65, vcc_lo
	s_wait_dscnt 0x0
	global_store_b64 v[64:65], v[62:63], off
.LBB181_145:                            ;   in Loop: Header=BB181_141 Depth=1
	s_wait_alu 0xfffe
	s_or_b32 exec_lo, exec_lo, s5
	v_add_nc_u32_e32 v34, 0x800, v50
	s_mov_b32 s5, exec_lo
	s_delay_alu instid0(VALU_DEP_1)
	v_cmpx_gt_u32_e64 s33, v34
	s_cbranch_execz .LBB181_147
; %bb.146:                              ;   in Loop: Header=BB181_141 Depth=1
	scratch_load_b32 v34, off, s3
	s_wait_loadcnt 0x0
	v_lshlrev_b32_e32 v34, 2, v34
	ds_load_b32 v34, v34
	ds_load_b64 v[62:63], v47 offset:17408
	s_wait_dscnt 0x1
	v_add3_u32 v34, v50, v34, 0x800
	s_delay_alu instid0(VALU_DEP_1) | instskip(NEXT) | instid1(VALU_DEP_1)
	v_lshlrev_b64_e32 v[64:65], 3, v[34:35]
	v_add_co_u32 v64, vcc_lo, s42, v64
	s_wait_alu 0xfffd
	s_delay_alu instid0(VALU_DEP_2)
	v_add_co_ci_u32_e64 v65, null, s43, v65, vcc_lo
	s_wait_dscnt 0x0
	global_store_b64 v[64:65], v[62:63], off
.LBB181_147:                            ;   in Loop: Header=BB181_141 Depth=1
	s_wait_alu 0xfffe
	s_or_b32 exec_lo, exec_lo, s5
	v_add_nc_u32_e32 v34, 0xc00, v50
	s_mov_b32 s5, exec_lo
	s_delay_alu instid0(VALU_DEP_1)
	v_cmpx_gt_u32_e64 s33, v34
	s_cbranch_execz .LBB181_140
; %bb.148:                              ;   in Loop: Header=BB181_141 Depth=1
	scratch_load_b32 v34, off, s3 offset:4
	s_wait_loadcnt 0x0
	v_lshlrev_b32_e32 v34, 2, v34
	ds_load_b32 v34, v34
	ds_load_b64 v[62:63], v47 offset:25600
	s_wait_dscnt 0x1
	v_add3_u32 v34, v50, v34, 0xc00
	s_delay_alu instid0(VALU_DEP_1) | instskip(NEXT) | instid1(VALU_DEP_1)
	v_lshlrev_b64_e32 v[64:65], 3, v[34:35]
	v_add_co_u32 v64, vcc_lo, s42, v64
	s_wait_alu 0xfffd
	s_delay_alu instid0(VALU_DEP_2)
	v_add_co_ci_u32_e64 v65, null, s43, v65, vcc_lo
	s_wait_dscnt 0x0
	global_store_b64 v[64:65], v[62:63], off
	s_branch .LBB181_140
.LBB181_149:
	s_add_co_i32 s48, s48, -1
	s_wait_alu 0xfffe
	s_cmp_eq_u32 s25, s48
	s_cselect_b32 s3, -1, 0
	s_xor_b32 s4, s19, -1
	s_wait_alu 0xfffe
	s_and_b32 s4, s4, s3
	s_wait_alu 0xfffe
	s_and_saveexec_b32 s3, s4
	s_cbranch_execz .LBB181_151
; %bb.150:
	ds_load_b32 v2, v45
	s_wait_dscnt 0x0
	v_add3_u32 v2, v39, v42, v2
	global_store_b32 v45, v2, s[30:31]
.LBB181_151:
	s_wait_alu 0xfffe
	s_or_b32 exec_lo, exec_lo, s3
	s_mov_b32 s4, 0
.LBB181_152:
	s_wait_alu 0xfffe
	s_and_b32 vcc_lo, exec_lo, s4
	s_wait_alu 0xfffe
	s_cbranch_vccz .LBB181_211
; %bb.153:
	s_lshl_b32 s8, s25, 14
	s_mov_b32 s9, 0
	v_and_b32_e32 v10, 0x3e00, v37
	v_lshlrev_b32_e32 v2, 2, v36
	s_lshl_b64 s[4:5], s[8:9], 2
	s_wait_alu 0xfffe
	s_add_nc_u64 s[4:5], s[36:37], s[4:5]
	v_lshlrev_b32_e32 v3, 2, v10
	s_wait_alu 0xfffe
	v_add_co_u32 v2, s3, s4, v2
	s_wait_alu 0xf1ff
	v_add_co_ci_u32_e64 v4, null, s5, 0, s3
	s_delay_alu instid0(VALU_DEP_2) | instskip(SKIP_1) | instid1(VALU_DEP_2)
	v_add_co_u32 v2, vcc_lo, v2, v3
	s_wait_alu 0xfffd
	v_add_co_ci_u32_e64 v3, null, 0, v4, vcc_lo
	s_clause 0xf
	global_load_b32 v11, v[2:3], off
	global_load_b32 v12, v[2:3], off offset:128
	global_load_b32 v13, v[2:3], off offset:256
	;; [unrolled: 1-line block ×15, first 2 shown]
	s_clause 0x1
	s_load_b32 s7, s[0:1], 0x58
	s_load_u16 s3, s[0:1], 0x66
	s_wait_kmcnt 0x0
	s_cmp_lt_u32 ttmp9, s7
	s_cselect_b32 s0, 12, 18
	s_lshl_b32 s1, -1, s45
	s_delay_alu instid0(SALU_CYCLE_1) | instskip(SKIP_1) | instid1(SALU_CYCLE_1)
	s_not_b32 s10, s1
	s_mov_b32 s1, s9
	s_add_nc_u64 s[0:1], s[34:35], s[0:1]
	s_load_u16 s1, s[0:1], 0x0
	s_wait_loadcnt 0xf
	v_lshrrev_b32_e32 v2, s44, v11
	s_delay_alu instid0(VALU_DEP_1) | instskip(SKIP_2) | instid1(VALU_DEP_3)
	v_and_b32_e32 v4, s10, v2
	v_bfe_u32 v2, v0, 10, 10
	v_bfe_u32 v0, v0, 20, 10
	v_and_b32_e32 v3, 1, v4
	v_lshlrev_b32_e32 v5, 30, v4
	v_lshlrev_b32_e32 v6, 29, v4
	;; [unrolled: 1-line block ×4, first 2 shown]
	v_add_co_u32 v3, s0, v3, -1
	s_delay_alu instid0(VALU_DEP_1)
	v_cndmask_b32_e64 v8, 0, 1, s0
	v_not_b32_e32 v29, v5
	v_cmp_gt_i32_e64 s0, 0, v5
	v_not_b32_e32 v5, v6
	v_lshlrev_b32_e32 v27, 26, v4
	v_cmp_ne_u32_e32 vcc_lo, 0, v8
	v_ashrrev_i32_e32 v29, 31, v29
	v_lshlrev_b32_e32 v28, 25, v4
	v_ashrrev_i32_e32 v5, 31, v5
	v_lshlrev_b32_e32 v8, 24, v4
	s_wait_alu 0xfffd
	v_xor_b32_e32 v3, vcc_lo, v3
	v_cmp_gt_i32_e32 vcc_lo, 0, v6
	v_not_b32_e32 v6, v7
	s_wait_alu 0xf1ff
	v_xor_b32_e32 v29, s0, v29
	v_cmp_gt_i32_e64 s0, 0, v7
	v_and_b32_e32 v3, exec_lo, v3
	v_not_b32_e32 v7, v9
	v_ashrrev_i32_e32 v6, 31, v6
	s_wait_alu 0xfffd
	v_xor_b32_e32 v5, vcc_lo, v5
	v_cmp_gt_i32_e32 vcc_lo, 0, v9
	v_and_b32_e32 v3, v3, v29
	v_not_b32_e32 v9, v27
	v_ashrrev_i32_e32 v7, 31, v7
	s_wait_alu 0xf1ff
	v_xor_b32_e32 v6, s0, v6
	v_cmp_gt_i32_e64 s0, 0, v27
	v_and_b32_e32 v3, v3, v5
	v_not_b32_e32 v5, v28
	v_ashrrev_i32_e32 v9, 31, v9
	s_wait_alu 0xfffd
	v_xor_b32_e32 v7, vcc_lo, v7
	v_cmp_gt_i32_e32 vcc_lo, 0, v28
	v_and_b32_e32 v3, v3, v6
	v_ashrrev_i32_e32 v5, 31, v5
	s_wait_alu 0xf1ff
	v_xor_b32_e32 v9, s0, v9
	v_not_b32_e32 v6, v8
	v_mad_u32_u24 v0, v0, s3, v2
	v_and_b32_e32 v3, v3, v7
	s_wait_alu 0xfffd
	v_xor_b32_e32 v5, vcc_lo, v5
	v_cmp_gt_i32_e64 s0, 0, v8
	v_ashrrev_i32_e32 v6, 31, v6
	v_mul_lo_u32 v4, 0x84, v4
	v_and_b32_e32 v3, v3, v9
	v_mul_u32_u24_e32 v29, 36, v1
	v_mov_b32_e32 v7, 0
	s_wait_alu 0xf1ff
	v_xor_b32_e32 v6, s0, v6
	ds_store_2addr_b32 v29, v7, v7 offset0:32 offset1:33
	ds_store_2addr_b32 v29, v7, v7 offset0:34 offset1:35
	;; [unrolled: 1-line block ×4, first 2 shown]
	v_and_b32_e32 v5, v3, v5
	s_wait_kmcnt 0x0
	v_mad_co_u64_u32 v[2:3], null, v0, s1, v[1:2]
	ds_store_b32 v29, v7 offset:160
	s_wait_storecnt 0x0
	s_wait_loadcnt_dscnt 0x0
	v_and_b32_e32 v3, v5, v6
	s_barrier_signal -1
	s_barrier_wait -1
	global_inv scope:SCOPE_SE
	v_lshrrev_b32_e32 v2, 3, v2
	v_mbcnt_lo_u32_b32 v0, v3, 0
	v_cmp_ne_u32_e64 s0, 0, v3
	; wave barrier
	s_delay_alu instid0(VALU_DEP_3) | instskip(NEXT) | instid1(VALU_DEP_3)
	v_and_b32_e32 v2, 0x1ffffffc, v2
	v_cmp_eq_u32_e32 vcc_lo, 0, v0
	s_delay_alu instid0(VALU_DEP_2)
	v_add_nc_u32_e32 v30, v2, v4
	s_and_b32 s1, s0, vcc_lo
	s_wait_alu 0xfffe
	s_and_saveexec_b32 s0, s1
; %bb.154:
	v_bcnt_u32_b32 v3, v3, 0
	ds_store_b32 v30, v3 offset:128
; %bb.155:
	s_wait_alu 0xfffe
	s_or_b32 exec_lo, exec_lo, s0
	v_lshrrev_b32_e32 v3, s44, v12
	; wave barrier
	s_delay_alu instid0(VALU_DEP_1) | instskip(NEXT) | instid1(VALU_DEP_1)
	v_and_b32_e32 v3, s10, v3
	v_and_b32_e32 v5, 1, v3
	v_lshlrev_b32_e32 v6, 30, v3
	v_lshlrev_b32_e32 v7, 29, v3
	;; [unrolled: 1-line block ×4, first 2 shown]
	v_add_co_u32 v5, s0, v5, -1
	s_wait_alu 0xf1ff
	v_cndmask_b32_e64 v9, 0, 1, s0
	v_not_b32_e32 v32, v6
	v_cmp_gt_i32_e64 s0, 0, v6
	v_not_b32_e32 v6, v7
	v_lshlrev_b32_e32 v28, 26, v3
	v_cmp_ne_u32_e32 vcc_lo, 0, v9
	v_ashrrev_i32_e32 v9, 31, v32
	v_lshlrev_b32_e32 v31, 25, v3
	v_ashrrev_i32_e32 v6, 31, v6
	v_mul_lo_u32 v4, 0x84, v3
	s_wait_alu 0xfffd
	v_xor_b32_e32 v5, vcc_lo, v5
	v_cmp_gt_i32_e32 vcc_lo, 0, v7
	v_not_b32_e32 v7, v8
	s_wait_alu 0xf1ff
	v_xor_b32_e32 v9, s0, v9
	v_cmp_gt_i32_e64 s0, 0, v8
	v_and_b32_e32 v5, exec_lo, v5
	v_not_b32_e32 v8, v27
	v_ashrrev_i32_e32 v7, 31, v7
	s_wait_alu 0xfffd
	v_xor_b32_e32 v6, vcc_lo, v6
	v_cmp_gt_i32_e32 vcc_lo, 0, v27
	v_and_b32_e32 v5, v5, v9
	v_not_b32_e32 v9, v28
	v_ashrrev_i32_e32 v8, 31, v8
	s_wait_alu 0xf1ff
	v_xor_b32_e32 v7, s0, v7
	v_lshlrev_b32_e32 v3, 24, v3
	v_and_b32_e32 v5, v5, v6
	v_cmp_gt_i32_e64 s0, 0, v28
	v_not_b32_e32 v6, v31
	v_ashrrev_i32_e32 v9, 31, v9
	s_wait_alu 0xfffd
	v_xor_b32_e32 v8, vcc_lo, v8
	v_and_b32_e32 v5, v5, v7
	v_cmp_gt_i32_e32 vcc_lo, 0, v31
	v_not_b32_e32 v7, v3
	v_ashrrev_i32_e32 v6, 31, v6
	s_wait_alu 0xf1ff
	v_xor_b32_e32 v9, s0, v9
	v_and_b32_e32 v5, v5, v8
	v_cmp_gt_i32_e64 s0, 0, v3
	v_ashrrev_i32_e32 v3, 31, v7
	s_wait_alu 0xfffd
	v_xor_b32_e32 v6, vcc_lo, v6
	v_add_nc_u32_e32 v33, v2, v4
	v_and_b32_e32 v5, v5, v9
	s_wait_alu 0xf1ff
	v_xor_b32_e32 v3, s0, v3
	ds_load_b32 v27, v33 offset:128
	v_and_b32_e32 v4, v5, v6
	; wave barrier
	s_delay_alu instid0(VALU_DEP_1) | instskip(NEXT) | instid1(VALU_DEP_1)
	v_and_b32_e32 v3, v4, v3
	v_mbcnt_lo_u32_b32 v28, v3, 0
	v_cmp_ne_u32_e64 s0, 0, v3
	s_delay_alu instid0(VALU_DEP_2)
	v_cmp_eq_u32_e32 vcc_lo, 0, v28
	s_and_b32 s1, s0, vcc_lo
	s_wait_alu 0xfffe
	s_and_saveexec_b32 s0, s1
	s_cbranch_execz .LBB181_157
; %bb.156:
	s_wait_dscnt 0x0
	v_bcnt_u32_b32 v3, v3, v27
	ds_store_b32 v33, v3 offset:128
.LBB181_157:
	s_wait_alu 0xfffe
	s_or_b32 exec_lo, exec_lo, s0
	v_lshrrev_b32_e32 v3, s44, v13
	; wave barrier
	s_delay_alu instid0(VALU_DEP_1) | instskip(NEXT) | instid1(VALU_DEP_1)
	v_and_b32_e32 v3, s10, v3
	v_and_b32_e32 v5, 1, v3
	v_lshlrev_b32_e32 v6, 30, v3
	v_lshlrev_b32_e32 v7, 29, v3
	;; [unrolled: 1-line block ×4, first 2 shown]
	v_add_co_u32 v5, s0, v5, -1
	s_wait_alu 0xf1ff
	v_cndmask_b32_e64 v9, 0, 1, s0
	v_not_b32_e32 v35, v6
	v_cmp_gt_i32_e64 s0, 0, v6
	v_not_b32_e32 v6, v7
	v_lshlrev_b32_e32 v32, 26, v3
	v_cmp_ne_u32_e32 vcc_lo, 0, v9
	v_ashrrev_i32_e32 v9, 31, v35
	v_lshlrev_b32_e32 v34, 25, v3
	v_ashrrev_i32_e32 v6, 31, v6
	v_mul_lo_u32 v4, 0x84, v3
	s_wait_alu 0xfffd
	v_xor_b32_e32 v5, vcc_lo, v5
	v_cmp_gt_i32_e32 vcc_lo, 0, v7
	v_not_b32_e32 v7, v8
	s_wait_alu 0xf1ff
	v_xor_b32_e32 v9, s0, v9
	v_cmp_gt_i32_e64 s0, 0, v8
	v_and_b32_e32 v5, exec_lo, v5
	v_not_b32_e32 v8, v31
	v_ashrrev_i32_e32 v7, 31, v7
	s_wait_alu 0xfffd
	v_xor_b32_e32 v6, vcc_lo, v6
	v_cmp_gt_i32_e32 vcc_lo, 0, v31
	v_and_b32_e32 v5, v5, v9
	v_not_b32_e32 v9, v32
	v_ashrrev_i32_e32 v8, 31, v8
	s_wait_alu 0xf1ff
	v_xor_b32_e32 v7, s0, v7
	v_lshlrev_b32_e32 v3, 24, v3
	v_and_b32_e32 v5, v5, v6
	v_cmp_gt_i32_e64 s0, 0, v32
	v_not_b32_e32 v6, v34
	v_ashrrev_i32_e32 v9, 31, v9
	s_wait_alu 0xfffd
	v_xor_b32_e32 v8, vcc_lo, v8
	v_and_b32_e32 v5, v5, v7
	v_cmp_gt_i32_e32 vcc_lo, 0, v34
	v_not_b32_e32 v7, v3
	v_ashrrev_i32_e32 v6, 31, v6
	s_wait_alu 0xf1ff
	v_xor_b32_e32 v9, s0, v9
	v_and_b32_e32 v5, v5, v8
	v_cmp_gt_i32_e64 s0, 0, v3
	v_ashrrev_i32_e32 v3, 31, v7
	s_wait_alu 0xfffd
	v_xor_b32_e32 v6, vcc_lo, v6
	v_add_nc_u32_e32 v37, v2, v4
	v_and_b32_e32 v5, v5, v9
	s_wait_alu 0xf1ff
	v_xor_b32_e32 v3, s0, v3
	ds_load_b32 v31, v37 offset:128
	v_and_b32_e32 v4, v5, v6
	; wave barrier
	s_delay_alu instid0(VALU_DEP_1) | instskip(NEXT) | instid1(VALU_DEP_1)
	v_and_b32_e32 v3, v4, v3
	v_mbcnt_lo_u32_b32 v32, v3, 0
	v_cmp_ne_u32_e64 s0, 0, v3
	s_delay_alu instid0(VALU_DEP_2)
	v_cmp_eq_u32_e32 vcc_lo, 0, v32
	s_and_b32 s1, s0, vcc_lo
	s_wait_alu 0xfffe
	s_and_saveexec_b32 s0, s1
	s_cbranch_execz .LBB181_159
; %bb.158:
	s_wait_dscnt 0x0
	v_bcnt_u32_b32 v3, v3, v31
	ds_store_b32 v37, v3 offset:128
.LBB181_159:
	s_wait_alu 0xfffe
	s_or_b32 exec_lo, exec_lo, s0
	v_lshrrev_b32_e32 v3, s44, v14
	; wave barrier
	s_delay_alu instid0(VALU_DEP_1) | instskip(NEXT) | instid1(VALU_DEP_1)
	v_and_b32_e32 v3, s10, v3
	v_and_b32_e32 v5, 1, v3
	v_lshlrev_b32_e32 v6, 30, v3
	v_lshlrev_b32_e32 v7, 29, v3
	;; [unrolled: 1-line block ×4, first 2 shown]
	v_add_co_u32 v5, s0, v5, -1
	s_wait_alu 0xf1ff
	v_cndmask_b32_e64 v9, 0, 1, s0
	v_not_b32_e32 v39, v6
	v_cmp_gt_i32_e64 s0, 0, v6
	v_not_b32_e32 v6, v7
	v_lshlrev_b32_e32 v35, 26, v3
	v_cmp_ne_u32_e32 vcc_lo, 0, v9
	v_ashrrev_i32_e32 v9, 31, v39
	v_lshlrev_b32_e32 v38, 25, v3
	v_ashrrev_i32_e32 v6, 31, v6
	v_mul_lo_u32 v4, 0x84, v3
	s_wait_alu 0xfffd
	v_xor_b32_e32 v5, vcc_lo, v5
	v_cmp_gt_i32_e32 vcc_lo, 0, v7
	v_not_b32_e32 v7, v8
	s_wait_alu 0xf1ff
	v_xor_b32_e32 v9, s0, v9
	v_cmp_gt_i32_e64 s0, 0, v8
	v_and_b32_e32 v5, exec_lo, v5
	v_not_b32_e32 v8, v34
	v_ashrrev_i32_e32 v7, 31, v7
	s_wait_alu 0xfffd
	v_xor_b32_e32 v6, vcc_lo, v6
	v_cmp_gt_i32_e32 vcc_lo, 0, v34
	v_and_b32_e32 v5, v5, v9
	v_not_b32_e32 v9, v35
	v_ashrrev_i32_e32 v8, 31, v8
	s_wait_alu 0xf1ff
	v_xor_b32_e32 v7, s0, v7
	v_lshlrev_b32_e32 v3, 24, v3
	v_and_b32_e32 v5, v5, v6
	v_cmp_gt_i32_e64 s0, 0, v35
	v_not_b32_e32 v6, v38
	v_ashrrev_i32_e32 v9, 31, v9
	s_wait_alu 0xfffd
	v_xor_b32_e32 v8, vcc_lo, v8
	v_and_b32_e32 v5, v5, v7
	v_cmp_gt_i32_e32 vcc_lo, 0, v38
	v_not_b32_e32 v7, v3
	v_ashrrev_i32_e32 v6, 31, v6
	s_wait_alu 0xf1ff
	v_xor_b32_e32 v9, s0, v9
	v_and_b32_e32 v5, v5, v8
	v_cmp_gt_i32_e64 s0, 0, v3
	v_ashrrev_i32_e32 v3, 31, v7
	s_wait_alu 0xfffd
	v_xor_b32_e32 v6, vcc_lo, v6
	v_add_nc_u32_e32 v40, v2, v4
	v_and_b32_e32 v5, v5, v9
	s_wait_alu 0xf1ff
	v_xor_b32_e32 v3, s0, v3
	ds_load_b32 v34, v40 offset:128
	v_and_b32_e32 v4, v5, v6
	; wave barrier
	s_delay_alu instid0(VALU_DEP_1) | instskip(NEXT) | instid1(VALU_DEP_1)
	v_and_b32_e32 v3, v4, v3
	v_mbcnt_lo_u32_b32 v35, v3, 0
	v_cmp_ne_u32_e64 s0, 0, v3
	s_delay_alu instid0(VALU_DEP_2)
	v_cmp_eq_u32_e32 vcc_lo, 0, v35
	s_and_b32 s1, s0, vcc_lo
	s_wait_alu 0xfffe
	s_and_saveexec_b32 s0, s1
	s_cbranch_execz .LBB181_161
; %bb.160:
	s_wait_dscnt 0x0
	v_bcnt_u32_b32 v3, v3, v34
	ds_store_b32 v40, v3 offset:128
.LBB181_161:
	s_wait_alu 0xfffe
	s_or_b32 exec_lo, exec_lo, s0
	v_lshrrev_b32_e32 v3, s44, v15
	; wave barrier
	s_delay_alu instid0(VALU_DEP_1) | instskip(NEXT) | instid1(VALU_DEP_1)
	v_and_b32_e32 v3, s10, v3
	v_and_b32_e32 v5, 1, v3
	v_lshlrev_b32_e32 v6, 30, v3
	v_lshlrev_b32_e32 v7, 29, v3
	;; [unrolled: 1-line block ×4, first 2 shown]
	v_add_co_u32 v5, s0, v5, -1
	s_wait_alu 0xf1ff
	v_cndmask_b32_e64 v9, 0, 1, s0
	v_not_b32_e32 v42, v6
	v_cmp_gt_i32_e64 s0, 0, v6
	v_not_b32_e32 v6, v7
	v_lshlrev_b32_e32 v39, 26, v3
	v_cmp_ne_u32_e32 vcc_lo, 0, v9
	v_ashrrev_i32_e32 v9, 31, v42
	v_lshlrev_b32_e32 v41, 25, v3
	v_ashrrev_i32_e32 v6, 31, v6
	v_mul_lo_u32 v4, 0x84, v3
	s_wait_alu 0xfffd
	v_xor_b32_e32 v5, vcc_lo, v5
	v_cmp_gt_i32_e32 vcc_lo, 0, v7
	v_not_b32_e32 v7, v8
	s_wait_alu 0xf1ff
	v_xor_b32_e32 v9, s0, v9
	v_cmp_gt_i32_e64 s0, 0, v8
	v_and_b32_e32 v5, exec_lo, v5
	v_not_b32_e32 v8, v38
	v_ashrrev_i32_e32 v7, 31, v7
	s_wait_alu 0xfffd
	v_xor_b32_e32 v6, vcc_lo, v6
	v_cmp_gt_i32_e32 vcc_lo, 0, v38
	v_and_b32_e32 v5, v5, v9
	v_not_b32_e32 v9, v39
	v_ashrrev_i32_e32 v8, 31, v8
	s_wait_alu 0xf1ff
	v_xor_b32_e32 v7, s0, v7
	v_lshlrev_b32_e32 v3, 24, v3
	v_and_b32_e32 v5, v5, v6
	v_cmp_gt_i32_e64 s0, 0, v39
	v_not_b32_e32 v6, v41
	v_ashrrev_i32_e32 v9, 31, v9
	s_wait_alu 0xfffd
	v_xor_b32_e32 v8, vcc_lo, v8
	v_and_b32_e32 v5, v5, v7
	v_cmp_gt_i32_e32 vcc_lo, 0, v41
	v_not_b32_e32 v7, v3
	v_ashrrev_i32_e32 v6, 31, v6
	s_wait_alu 0xf1ff
	v_xor_b32_e32 v9, s0, v9
	v_and_b32_e32 v5, v5, v8
	v_cmp_gt_i32_e64 s0, 0, v3
	v_ashrrev_i32_e32 v3, 31, v7
	s_wait_alu 0xfffd
	v_xor_b32_e32 v6, vcc_lo, v6
	v_add_nc_u32_e32 v43, v2, v4
	v_and_b32_e32 v5, v5, v9
	s_wait_alu 0xf1ff
	v_xor_b32_e32 v3, s0, v3
	ds_load_b32 v38, v43 offset:128
	v_and_b32_e32 v4, v5, v6
	; wave barrier
	s_delay_alu instid0(VALU_DEP_1) | instskip(NEXT) | instid1(VALU_DEP_1)
	v_and_b32_e32 v3, v4, v3
	v_mbcnt_lo_u32_b32 v39, v3, 0
	v_cmp_ne_u32_e64 s0, 0, v3
	s_delay_alu instid0(VALU_DEP_2)
	v_cmp_eq_u32_e32 vcc_lo, 0, v39
	s_and_b32 s1, s0, vcc_lo
	s_wait_alu 0xfffe
	s_and_saveexec_b32 s0, s1
	s_cbranch_execz .LBB181_163
; %bb.162:
	s_wait_dscnt 0x0
	v_bcnt_u32_b32 v3, v3, v38
	ds_store_b32 v43, v3 offset:128
.LBB181_163:
	s_wait_alu 0xfffe
	s_or_b32 exec_lo, exec_lo, s0
	v_lshrrev_b32_e32 v3, s44, v16
	; wave barrier
	s_delay_alu instid0(VALU_DEP_1) | instskip(NEXT) | instid1(VALU_DEP_1)
	v_and_b32_e32 v3, s10, v3
	v_and_b32_e32 v5, 1, v3
	v_lshlrev_b32_e32 v6, 30, v3
	v_lshlrev_b32_e32 v7, 29, v3
	;; [unrolled: 1-line block ×4, first 2 shown]
	v_add_co_u32 v5, s0, v5, -1
	s_wait_alu 0xf1ff
	v_cndmask_b32_e64 v9, 0, 1, s0
	v_not_b32_e32 v45, v6
	v_cmp_gt_i32_e64 s0, 0, v6
	v_not_b32_e32 v6, v7
	v_lshlrev_b32_e32 v42, 26, v3
	v_cmp_ne_u32_e32 vcc_lo, 0, v9
	v_ashrrev_i32_e32 v9, 31, v45
	v_lshlrev_b32_e32 v44, 25, v3
	v_ashrrev_i32_e32 v6, 31, v6
	v_mul_lo_u32 v4, 0x84, v3
	s_wait_alu 0xfffd
	v_xor_b32_e32 v5, vcc_lo, v5
	v_cmp_gt_i32_e32 vcc_lo, 0, v7
	v_not_b32_e32 v7, v8
	s_wait_alu 0xf1ff
	v_xor_b32_e32 v9, s0, v9
	v_cmp_gt_i32_e64 s0, 0, v8
	v_and_b32_e32 v5, exec_lo, v5
	v_not_b32_e32 v8, v41
	v_ashrrev_i32_e32 v7, 31, v7
	s_wait_alu 0xfffd
	v_xor_b32_e32 v6, vcc_lo, v6
	v_cmp_gt_i32_e32 vcc_lo, 0, v41
	v_and_b32_e32 v5, v5, v9
	v_not_b32_e32 v9, v42
	v_ashrrev_i32_e32 v8, 31, v8
	s_wait_alu 0xf1ff
	v_xor_b32_e32 v7, s0, v7
	v_lshlrev_b32_e32 v3, 24, v3
	v_and_b32_e32 v5, v5, v6
	v_cmp_gt_i32_e64 s0, 0, v42
	v_not_b32_e32 v6, v44
	v_ashrrev_i32_e32 v9, 31, v9
	s_wait_alu 0xfffd
	v_xor_b32_e32 v8, vcc_lo, v8
	v_and_b32_e32 v5, v5, v7
	v_cmp_gt_i32_e32 vcc_lo, 0, v44
	v_not_b32_e32 v7, v3
	v_ashrrev_i32_e32 v6, 31, v6
	s_wait_alu 0xf1ff
	v_xor_b32_e32 v9, s0, v9
	v_and_b32_e32 v5, v5, v8
	v_cmp_gt_i32_e64 s0, 0, v3
	v_ashrrev_i32_e32 v3, 31, v7
	s_wait_alu 0xfffd
	v_xor_b32_e32 v6, vcc_lo, v6
	v_add_nc_u32_e32 v46, v2, v4
	v_and_b32_e32 v5, v5, v9
	s_wait_alu 0xf1ff
	v_xor_b32_e32 v3, s0, v3
	ds_load_b32 v41, v46 offset:128
	v_and_b32_e32 v4, v5, v6
	; wave barrier
	s_delay_alu instid0(VALU_DEP_1) | instskip(NEXT) | instid1(VALU_DEP_1)
	v_and_b32_e32 v3, v4, v3
	v_mbcnt_lo_u32_b32 v42, v3, 0
	v_cmp_ne_u32_e64 s0, 0, v3
	s_delay_alu instid0(VALU_DEP_2)
	v_cmp_eq_u32_e32 vcc_lo, 0, v42
	s_and_b32 s1, s0, vcc_lo
	s_wait_alu 0xfffe
	s_and_saveexec_b32 s0, s1
	s_cbranch_execz .LBB181_165
; %bb.164:
	s_wait_dscnt 0x0
	v_bcnt_u32_b32 v3, v3, v41
	ds_store_b32 v46, v3 offset:128
.LBB181_165:
	s_wait_alu 0xfffe
	s_or_b32 exec_lo, exec_lo, s0
	v_lshrrev_b32_e32 v3, s44, v17
	; wave barrier
	s_delay_alu instid0(VALU_DEP_1) | instskip(NEXT) | instid1(VALU_DEP_1)
	v_and_b32_e32 v3, s10, v3
	v_and_b32_e32 v5, 1, v3
	v_lshlrev_b32_e32 v6, 30, v3
	v_lshlrev_b32_e32 v7, 29, v3
	;; [unrolled: 1-line block ×4, first 2 shown]
	v_add_co_u32 v5, s0, v5, -1
	s_wait_alu 0xf1ff
	v_cndmask_b32_e64 v9, 0, 1, s0
	v_not_b32_e32 v48, v6
	v_cmp_gt_i32_e64 s0, 0, v6
	v_not_b32_e32 v6, v7
	v_lshlrev_b32_e32 v45, 26, v3
	v_cmp_ne_u32_e32 vcc_lo, 0, v9
	v_ashrrev_i32_e32 v9, 31, v48
	v_lshlrev_b32_e32 v47, 25, v3
	v_ashrrev_i32_e32 v6, 31, v6
	v_mul_lo_u32 v4, 0x84, v3
	s_wait_alu 0xfffd
	v_xor_b32_e32 v5, vcc_lo, v5
	v_cmp_gt_i32_e32 vcc_lo, 0, v7
	v_not_b32_e32 v7, v8
	s_wait_alu 0xf1ff
	v_xor_b32_e32 v9, s0, v9
	v_cmp_gt_i32_e64 s0, 0, v8
	v_and_b32_e32 v5, exec_lo, v5
	v_not_b32_e32 v8, v44
	v_ashrrev_i32_e32 v7, 31, v7
	s_wait_alu 0xfffd
	v_xor_b32_e32 v6, vcc_lo, v6
	v_cmp_gt_i32_e32 vcc_lo, 0, v44
	v_and_b32_e32 v5, v5, v9
	v_not_b32_e32 v9, v45
	v_ashrrev_i32_e32 v8, 31, v8
	s_wait_alu 0xf1ff
	v_xor_b32_e32 v7, s0, v7
	v_lshlrev_b32_e32 v3, 24, v3
	v_and_b32_e32 v5, v5, v6
	v_cmp_gt_i32_e64 s0, 0, v45
	v_not_b32_e32 v6, v47
	v_ashrrev_i32_e32 v9, 31, v9
	s_wait_alu 0xfffd
	v_xor_b32_e32 v8, vcc_lo, v8
	v_and_b32_e32 v5, v5, v7
	v_cmp_gt_i32_e32 vcc_lo, 0, v47
	v_not_b32_e32 v7, v3
	v_ashrrev_i32_e32 v6, 31, v6
	s_wait_alu 0xf1ff
	v_xor_b32_e32 v9, s0, v9
	v_and_b32_e32 v5, v5, v8
	v_cmp_gt_i32_e64 s0, 0, v3
	v_ashrrev_i32_e32 v3, 31, v7
	s_wait_alu 0xfffd
	v_xor_b32_e32 v6, vcc_lo, v6
	v_add_nc_u32_e32 v49, v2, v4
	v_and_b32_e32 v5, v5, v9
	s_wait_alu 0xf1ff
	v_xor_b32_e32 v3, s0, v3
	ds_load_b32 v44, v49 offset:128
	v_and_b32_e32 v4, v5, v6
	; wave barrier
	s_delay_alu instid0(VALU_DEP_1) | instskip(NEXT) | instid1(VALU_DEP_1)
	v_and_b32_e32 v3, v4, v3
	v_mbcnt_lo_u32_b32 v45, v3, 0
	v_cmp_ne_u32_e64 s0, 0, v3
	s_delay_alu instid0(VALU_DEP_2)
	v_cmp_eq_u32_e32 vcc_lo, 0, v45
	s_and_b32 s1, s0, vcc_lo
	s_wait_alu 0xfffe
	s_and_saveexec_b32 s0, s1
	s_cbranch_execz .LBB181_167
; %bb.166:
	s_wait_dscnt 0x0
	v_bcnt_u32_b32 v3, v3, v44
	ds_store_b32 v49, v3 offset:128
.LBB181_167:
	s_wait_alu 0xfffe
	s_or_b32 exec_lo, exec_lo, s0
	v_lshrrev_b32_e32 v3, s44, v18
	; wave barrier
	s_delay_alu instid0(VALU_DEP_1) | instskip(NEXT) | instid1(VALU_DEP_1)
	v_and_b32_e32 v3, s10, v3
	v_and_b32_e32 v5, 1, v3
	v_lshlrev_b32_e32 v6, 30, v3
	v_lshlrev_b32_e32 v7, 29, v3
	;; [unrolled: 1-line block ×4, first 2 shown]
	v_add_co_u32 v5, s0, v5, -1
	s_wait_alu 0xf1ff
	v_cndmask_b32_e64 v9, 0, 1, s0
	v_not_b32_e32 v51, v6
	v_cmp_gt_i32_e64 s0, 0, v6
	v_not_b32_e32 v6, v7
	v_lshlrev_b32_e32 v48, 26, v3
	v_cmp_ne_u32_e32 vcc_lo, 0, v9
	v_ashrrev_i32_e32 v9, 31, v51
	v_lshlrev_b32_e32 v50, 25, v3
	v_ashrrev_i32_e32 v6, 31, v6
	v_mul_lo_u32 v4, 0x84, v3
	s_wait_alu 0xfffd
	v_xor_b32_e32 v5, vcc_lo, v5
	v_cmp_gt_i32_e32 vcc_lo, 0, v7
	v_not_b32_e32 v7, v8
	s_wait_alu 0xf1ff
	v_xor_b32_e32 v9, s0, v9
	v_cmp_gt_i32_e64 s0, 0, v8
	v_and_b32_e32 v5, exec_lo, v5
	v_not_b32_e32 v8, v47
	v_ashrrev_i32_e32 v7, 31, v7
	s_wait_alu 0xfffd
	v_xor_b32_e32 v6, vcc_lo, v6
	v_cmp_gt_i32_e32 vcc_lo, 0, v47
	v_and_b32_e32 v5, v5, v9
	v_not_b32_e32 v9, v48
	v_ashrrev_i32_e32 v8, 31, v8
	s_wait_alu 0xf1ff
	v_xor_b32_e32 v7, s0, v7
	v_lshlrev_b32_e32 v3, 24, v3
	v_and_b32_e32 v5, v5, v6
	v_cmp_gt_i32_e64 s0, 0, v48
	v_not_b32_e32 v6, v50
	v_ashrrev_i32_e32 v9, 31, v9
	s_wait_alu 0xfffd
	v_xor_b32_e32 v8, vcc_lo, v8
	v_and_b32_e32 v5, v5, v7
	v_cmp_gt_i32_e32 vcc_lo, 0, v50
	v_not_b32_e32 v7, v3
	v_ashrrev_i32_e32 v6, 31, v6
	s_wait_alu 0xf1ff
	v_xor_b32_e32 v9, s0, v9
	v_and_b32_e32 v5, v5, v8
	v_cmp_gt_i32_e64 s0, 0, v3
	v_ashrrev_i32_e32 v3, 31, v7
	s_wait_alu 0xfffd
	v_xor_b32_e32 v6, vcc_lo, v6
	v_add_nc_u32_e32 v52, v2, v4
	v_and_b32_e32 v5, v5, v9
	s_wait_alu 0xf1ff
	v_xor_b32_e32 v3, s0, v3
	ds_load_b32 v47, v52 offset:128
	v_and_b32_e32 v4, v5, v6
	; wave barrier
	s_delay_alu instid0(VALU_DEP_1) | instskip(NEXT) | instid1(VALU_DEP_1)
	v_and_b32_e32 v3, v4, v3
	v_mbcnt_lo_u32_b32 v48, v3, 0
	v_cmp_ne_u32_e64 s0, 0, v3
	s_delay_alu instid0(VALU_DEP_2)
	v_cmp_eq_u32_e32 vcc_lo, 0, v48
	s_and_b32 s1, s0, vcc_lo
	s_wait_alu 0xfffe
	s_and_saveexec_b32 s0, s1
	s_cbranch_execz .LBB181_169
; %bb.168:
	s_wait_dscnt 0x0
	v_bcnt_u32_b32 v3, v3, v47
	ds_store_b32 v52, v3 offset:128
.LBB181_169:
	s_wait_alu 0xfffe
	s_or_b32 exec_lo, exec_lo, s0
	v_lshrrev_b32_e32 v3, s44, v19
	; wave barrier
	s_delay_alu instid0(VALU_DEP_1) | instskip(NEXT) | instid1(VALU_DEP_1)
	v_and_b32_e32 v3, s10, v3
	v_and_b32_e32 v5, 1, v3
	v_lshlrev_b32_e32 v6, 30, v3
	v_lshlrev_b32_e32 v7, 29, v3
	;; [unrolled: 1-line block ×4, first 2 shown]
	v_add_co_u32 v5, s0, v5, -1
	s_wait_alu 0xf1ff
	v_cndmask_b32_e64 v9, 0, 1, s0
	v_not_b32_e32 v54, v6
	v_cmp_gt_i32_e64 s0, 0, v6
	v_not_b32_e32 v6, v7
	v_lshlrev_b32_e32 v51, 26, v3
	v_cmp_ne_u32_e32 vcc_lo, 0, v9
	v_ashrrev_i32_e32 v9, 31, v54
	v_lshlrev_b32_e32 v53, 25, v3
	v_ashrrev_i32_e32 v6, 31, v6
	v_mul_lo_u32 v4, 0x84, v3
	s_wait_alu 0xfffd
	v_xor_b32_e32 v5, vcc_lo, v5
	v_cmp_gt_i32_e32 vcc_lo, 0, v7
	v_not_b32_e32 v7, v8
	s_wait_alu 0xf1ff
	v_xor_b32_e32 v9, s0, v9
	v_cmp_gt_i32_e64 s0, 0, v8
	v_and_b32_e32 v5, exec_lo, v5
	v_not_b32_e32 v8, v50
	v_ashrrev_i32_e32 v7, 31, v7
	s_wait_alu 0xfffd
	v_xor_b32_e32 v6, vcc_lo, v6
	v_cmp_gt_i32_e32 vcc_lo, 0, v50
	v_and_b32_e32 v5, v5, v9
	v_not_b32_e32 v9, v51
	v_ashrrev_i32_e32 v8, 31, v8
	s_wait_alu 0xf1ff
	v_xor_b32_e32 v7, s0, v7
	v_lshlrev_b32_e32 v3, 24, v3
	v_and_b32_e32 v5, v5, v6
	v_cmp_gt_i32_e64 s0, 0, v51
	v_not_b32_e32 v6, v53
	v_ashrrev_i32_e32 v9, 31, v9
	s_wait_alu 0xfffd
	v_xor_b32_e32 v8, vcc_lo, v8
	v_and_b32_e32 v5, v5, v7
	v_cmp_gt_i32_e32 vcc_lo, 0, v53
	v_not_b32_e32 v7, v3
	v_ashrrev_i32_e32 v6, 31, v6
	s_wait_alu 0xf1ff
	v_xor_b32_e32 v9, s0, v9
	v_and_b32_e32 v5, v5, v8
	v_cmp_gt_i32_e64 s0, 0, v3
	v_ashrrev_i32_e32 v3, 31, v7
	s_wait_alu 0xfffd
	v_xor_b32_e32 v6, vcc_lo, v6
	v_add_nc_u32_e32 v55, v2, v4
	v_and_b32_e32 v5, v5, v9
	s_wait_alu 0xf1ff
	v_xor_b32_e32 v3, s0, v3
	ds_load_b32 v50, v55 offset:128
	v_and_b32_e32 v4, v5, v6
	; wave barrier
	s_delay_alu instid0(VALU_DEP_1) | instskip(NEXT) | instid1(VALU_DEP_1)
	v_and_b32_e32 v3, v4, v3
	v_mbcnt_lo_u32_b32 v51, v3, 0
	v_cmp_ne_u32_e64 s0, 0, v3
	s_delay_alu instid0(VALU_DEP_2)
	v_cmp_eq_u32_e32 vcc_lo, 0, v51
	s_and_b32 s1, s0, vcc_lo
	s_wait_alu 0xfffe
	s_and_saveexec_b32 s0, s1
	s_cbranch_execz .LBB181_171
; %bb.170:
	s_wait_dscnt 0x0
	v_bcnt_u32_b32 v3, v3, v50
	ds_store_b32 v55, v3 offset:128
.LBB181_171:
	s_wait_alu 0xfffe
	s_or_b32 exec_lo, exec_lo, s0
	v_lshrrev_b32_e32 v3, s44, v20
	; wave barrier
	s_delay_alu instid0(VALU_DEP_1) | instskip(NEXT) | instid1(VALU_DEP_1)
	v_and_b32_e32 v3, s10, v3
	v_and_b32_e32 v5, 1, v3
	v_lshlrev_b32_e32 v6, 30, v3
	v_lshlrev_b32_e32 v7, 29, v3
	;; [unrolled: 1-line block ×4, first 2 shown]
	v_add_co_u32 v5, s0, v5, -1
	s_wait_alu 0xf1ff
	v_cndmask_b32_e64 v9, 0, 1, s0
	v_not_b32_e32 v57, v6
	v_cmp_gt_i32_e64 s0, 0, v6
	v_not_b32_e32 v6, v7
	v_lshlrev_b32_e32 v54, 26, v3
	v_cmp_ne_u32_e32 vcc_lo, 0, v9
	v_ashrrev_i32_e32 v9, 31, v57
	v_lshlrev_b32_e32 v56, 25, v3
	v_ashrrev_i32_e32 v6, 31, v6
	v_mul_lo_u32 v4, 0x84, v3
	s_wait_alu 0xfffd
	v_xor_b32_e32 v5, vcc_lo, v5
	v_cmp_gt_i32_e32 vcc_lo, 0, v7
	v_not_b32_e32 v7, v8
	s_wait_alu 0xf1ff
	v_xor_b32_e32 v9, s0, v9
	v_cmp_gt_i32_e64 s0, 0, v8
	v_and_b32_e32 v5, exec_lo, v5
	v_not_b32_e32 v8, v53
	v_ashrrev_i32_e32 v7, 31, v7
	s_wait_alu 0xfffd
	v_xor_b32_e32 v6, vcc_lo, v6
	v_cmp_gt_i32_e32 vcc_lo, 0, v53
	v_and_b32_e32 v5, v5, v9
	v_not_b32_e32 v9, v54
	v_ashrrev_i32_e32 v8, 31, v8
	s_wait_alu 0xf1ff
	v_xor_b32_e32 v7, s0, v7
	v_lshlrev_b32_e32 v3, 24, v3
	v_and_b32_e32 v5, v5, v6
	v_cmp_gt_i32_e64 s0, 0, v54
	v_not_b32_e32 v6, v56
	v_ashrrev_i32_e32 v9, 31, v9
	s_wait_alu 0xfffd
	v_xor_b32_e32 v8, vcc_lo, v8
	v_and_b32_e32 v5, v5, v7
	v_cmp_gt_i32_e32 vcc_lo, 0, v56
	v_not_b32_e32 v7, v3
	v_ashrrev_i32_e32 v6, 31, v6
	s_wait_alu 0xf1ff
	v_xor_b32_e32 v9, s0, v9
	v_and_b32_e32 v5, v5, v8
	v_cmp_gt_i32_e64 s0, 0, v3
	v_ashrrev_i32_e32 v3, 31, v7
	s_wait_alu 0xfffd
	v_xor_b32_e32 v6, vcc_lo, v6
	v_add_nc_u32_e32 v59, v2, v4
	v_and_b32_e32 v5, v5, v9
	s_wait_alu 0xf1ff
	v_xor_b32_e32 v3, s0, v3
	ds_load_b32 v53, v59 offset:128
	v_and_b32_e32 v4, v5, v6
	; wave barrier
	s_delay_alu instid0(VALU_DEP_1) | instskip(NEXT) | instid1(VALU_DEP_1)
	v_and_b32_e32 v3, v4, v3
	v_mbcnt_lo_u32_b32 v54, v3, 0
	v_cmp_ne_u32_e64 s0, 0, v3
	s_delay_alu instid0(VALU_DEP_2)
	v_cmp_eq_u32_e32 vcc_lo, 0, v54
	s_and_b32 s1, s0, vcc_lo
	s_wait_alu 0xfffe
	s_and_saveexec_b32 s0, s1
	s_cbranch_execz .LBB181_173
; %bb.172:
	s_wait_dscnt 0x0
	v_bcnt_u32_b32 v3, v3, v53
	ds_store_b32 v59, v3 offset:128
.LBB181_173:
	s_wait_alu 0xfffe
	s_or_b32 exec_lo, exec_lo, s0
	v_lshrrev_b32_e32 v3, s44, v21
	; wave barrier
	s_delay_alu instid0(VALU_DEP_1) | instskip(NEXT) | instid1(VALU_DEP_1)
	v_and_b32_e32 v3, s10, v3
	v_and_b32_e32 v5, 1, v3
	v_lshlrev_b32_e32 v6, 30, v3
	v_lshlrev_b32_e32 v7, 29, v3
	;; [unrolled: 1-line block ×4, first 2 shown]
	v_add_co_u32 v5, s0, v5, -1
	s_wait_alu 0xf1ff
	v_cndmask_b32_e64 v9, 0, 1, s0
	v_not_b32_e32 v60, v6
	v_cmp_gt_i32_e64 s0, 0, v6
	v_not_b32_e32 v6, v7
	v_lshlrev_b32_e32 v57, 26, v3
	v_cmp_ne_u32_e32 vcc_lo, 0, v9
	v_ashrrev_i32_e32 v9, 31, v60
	v_lshlrev_b32_e32 v58, 25, v3
	v_ashrrev_i32_e32 v6, 31, v6
	v_mul_lo_u32 v4, 0x84, v3
	s_wait_alu 0xfffd
	v_xor_b32_e32 v5, vcc_lo, v5
	v_cmp_gt_i32_e32 vcc_lo, 0, v7
	v_not_b32_e32 v7, v8
	s_wait_alu 0xf1ff
	v_xor_b32_e32 v9, s0, v9
	v_cmp_gt_i32_e64 s0, 0, v8
	v_and_b32_e32 v5, exec_lo, v5
	v_not_b32_e32 v8, v56
	v_ashrrev_i32_e32 v7, 31, v7
	s_wait_alu 0xfffd
	v_xor_b32_e32 v6, vcc_lo, v6
	v_cmp_gt_i32_e32 vcc_lo, 0, v56
	v_and_b32_e32 v5, v5, v9
	v_not_b32_e32 v9, v57
	v_ashrrev_i32_e32 v8, 31, v8
	s_wait_alu 0xf1ff
	v_xor_b32_e32 v7, s0, v7
	v_lshlrev_b32_e32 v3, 24, v3
	v_and_b32_e32 v5, v5, v6
	v_cmp_gt_i32_e64 s0, 0, v57
	v_not_b32_e32 v6, v58
	v_ashrrev_i32_e32 v9, 31, v9
	s_wait_alu 0xfffd
	v_xor_b32_e32 v8, vcc_lo, v8
	v_and_b32_e32 v5, v5, v7
	v_cmp_gt_i32_e32 vcc_lo, 0, v58
	v_not_b32_e32 v7, v3
	v_ashrrev_i32_e32 v6, 31, v6
	s_wait_alu 0xf1ff
	v_xor_b32_e32 v9, s0, v9
	v_and_b32_e32 v5, v5, v8
	v_cmp_gt_i32_e64 s0, 0, v3
	v_ashrrev_i32_e32 v3, 31, v7
	s_wait_alu 0xfffd
	v_xor_b32_e32 v6, vcc_lo, v6
	v_add_nc_u32_e32 v62, v2, v4
	v_and_b32_e32 v5, v5, v9
	s_wait_alu 0xf1ff
	v_xor_b32_e32 v3, s0, v3
	ds_load_b32 v56, v62 offset:128
	v_and_b32_e32 v4, v5, v6
	; wave barrier
	s_delay_alu instid0(VALU_DEP_1) | instskip(NEXT) | instid1(VALU_DEP_1)
	v_and_b32_e32 v3, v4, v3
	v_mbcnt_lo_u32_b32 v57, v3, 0
	v_cmp_ne_u32_e64 s0, 0, v3
	s_delay_alu instid0(VALU_DEP_2)
	v_cmp_eq_u32_e32 vcc_lo, 0, v57
	s_and_b32 s1, s0, vcc_lo
	s_wait_alu 0xfffe
	s_and_saveexec_b32 s0, s1
	s_cbranch_execz .LBB181_175
; %bb.174:
	s_wait_dscnt 0x0
	v_bcnt_u32_b32 v3, v3, v56
	ds_store_b32 v62, v3 offset:128
.LBB181_175:
	s_wait_alu 0xfffe
	s_or_b32 exec_lo, exec_lo, s0
	v_lshrrev_b32_e32 v3, s44, v22
	; wave barrier
	s_delay_alu instid0(VALU_DEP_1) | instskip(NEXT) | instid1(VALU_DEP_1)
	v_and_b32_e32 v3, s10, v3
	v_and_b32_e32 v5, 1, v3
	v_lshlrev_b32_e32 v6, 30, v3
	v_lshlrev_b32_e32 v7, 29, v3
	;; [unrolled: 1-line block ×4, first 2 shown]
	v_add_co_u32 v5, s0, v5, -1
	s_wait_alu 0xf1ff
	v_cndmask_b32_e64 v9, 0, 1, s0
	v_not_b32_e32 v63, v6
	v_cmp_gt_i32_e64 s0, 0, v6
	v_not_b32_e32 v6, v7
	v_lshlrev_b32_e32 v60, 26, v3
	v_cmp_ne_u32_e32 vcc_lo, 0, v9
	v_ashrrev_i32_e32 v9, 31, v63
	v_lshlrev_b32_e32 v61, 25, v3
	v_ashrrev_i32_e32 v6, 31, v6
	v_mul_lo_u32 v4, 0x84, v3
	s_wait_alu 0xfffd
	v_xor_b32_e32 v5, vcc_lo, v5
	v_cmp_gt_i32_e32 vcc_lo, 0, v7
	v_not_b32_e32 v7, v8
	s_wait_alu 0xf1ff
	v_xor_b32_e32 v9, s0, v9
	v_cmp_gt_i32_e64 s0, 0, v8
	v_and_b32_e32 v5, exec_lo, v5
	v_not_b32_e32 v8, v58
	v_ashrrev_i32_e32 v7, 31, v7
	s_wait_alu 0xfffd
	v_xor_b32_e32 v6, vcc_lo, v6
	v_cmp_gt_i32_e32 vcc_lo, 0, v58
	v_and_b32_e32 v5, v5, v9
	v_not_b32_e32 v9, v60
	v_ashrrev_i32_e32 v8, 31, v8
	s_wait_alu 0xf1ff
	v_xor_b32_e32 v7, s0, v7
	v_lshlrev_b32_e32 v3, 24, v3
	v_and_b32_e32 v5, v5, v6
	v_cmp_gt_i32_e64 s0, 0, v60
	v_not_b32_e32 v6, v61
	v_ashrrev_i32_e32 v9, 31, v9
	s_wait_alu 0xfffd
	v_xor_b32_e32 v8, vcc_lo, v8
	v_and_b32_e32 v5, v5, v7
	v_cmp_gt_i32_e32 vcc_lo, 0, v61
	v_not_b32_e32 v7, v3
	v_ashrrev_i32_e32 v6, 31, v6
	s_wait_alu 0xf1ff
	v_xor_b32_e32 v9, s0, v9
	v_and_b32_e32 v5, v5, v8
	v_cmp_gt_i32_e64 s0, 0, v3
	v_ashrrev_i32_e32 v3, 31, v7
	s_wait_alu 0xfffd
	v_xor_b32_e32 v6, vcc_lo, v6
	v_add_nc_u32_e32 v65, v2, v4
	v_and_b32_e32 v5, v5, v9
	s_wait_alu 0xf1ff
	v_xor_b32_e32 v3, s0, v3
	ds_load_b32 v60, v65 offset:128
	v_and_b32_e32 v4, v5, v6
	; wave barrier
	s_delay_alu instid0(VALU_DEP_1) | instskip(NEXT) | instid1(VALU_DEP_1)
	v_and_b32_e32 v3, v4, v3
	v_mbcnt_lo_u32_b32 v61, v3, 0
	v_cmp_ne_u32_e64 s0, 0, v3
	s_delay_alu instid0(VALU_DEP_2)
	v_cmp_eq_u32_e32 vcc_lo, 0, v61
	s_and_b32 s1, s0, vcc_lo
	s_wait_alu 0xfffe
	s_and_saveexec_b32 s0, s1
	s_cbranch_execz .LBB181_177
; %bb.176:
	s_wait_dscnt 0x0
	v_bcnt_u32_b32 v3, v3, v60
	ds_store_b32 v65, v3 offset:128
.LBB181_177:
	s_wait_alu 0xfffe
	s_or_b32 exec_lo, exec_lo, s0
	v_lshrrev_b32_e32 v3, s44, v23
	; wave barrier
	s_delay_alu instid0(VALU_DEP_1) | instskip(NEXT) | instid1(VALU_DEP_1)
	v_and_b32_e32 v3, s10, v3
	v_and_b32_e32 v5, 1, v3
	v_lshlrev_b32_e32 v6, 30, v3
	v_lshlrev_b32_e32 v7, 29, v3
	;; [unrolled: 1-line block ×4, first 2 shown]
	v_add_co_u32 v5, s0, v5, -1
	s_wait_alu 0xf1ff
	v_cndmask_b32_e64 v9, 0, 1, s0
	v_not_b32_e32 v66, v6
	v_cmp_gt_i32_e64 s0, 0, v6
	v_not_b32_e32 v6, v7
	v_lshlrev_b32_e32 v63, 26, v3
	v_cmp_ne_u32_e32 vcc_lo, 0, v9
	v_ashrrev_i32_e32 v9, 31, v66
	v_lshlrev_b32_e32 v64, 25, v3
	v_ashrrev_i32_e32 v6, 31, v6
	v_mul_lo_u32 v4, 0x84, v3
	s_wait_alu 0xfffd
	v_xor_b32_e32 v5, vcc_lo, v5
	v_cmp_gt_i32_e32 vcc_lo, 0, v7
	v_not_b32_e32 v7, v8
	s_wait_alu 0xf1ff
	v_xor_b32_e32 v9, s0, v9
	v_cmp_gt_i32_e64 s0, 0, v8
	v_and_b32_e32 v5, exec_lo, v5
	v_not_b32_e32 v8, v58
	v_ashrrev_i32_e32 v7, 31, v7
	s_wait_alu 0xfffd
	v_xor_b32_e32 v6, vcc_lo, v6
	v_cmp_gt_i32_e32 vcc_lo, 0, v58
	v_and_b32_e32 v5, v5, v9
	v_not_b32_e32 v9, v63
	v_ashrrev_i32_e32 v8, 31, v8
	s_wait_alu 0xf1ff
	v_xor_b32_e32 v7, s0, v7
	v_lshlrev_b32_e32 v3, 24, v3
	v_and_b32_e32 v5, v5, v6
	v_cmp_gt_i32_e64 s0, 0, v63
	v_not_b32_e32 v6, v64
	v_ashrrev_i32_e32 v9, 31, v9
	s_wait_alu 0xfffd
	v_xor_b32_e32 v8, vcc_lo, v8
	v_and_b32_e32 v5, v5, v7
	v_cmp_gt_i32_e32 vcc_lo, 0, v64
	v_not_b32_e32 v7, v3
	v_ashrrev_i32_e32 v6, 31, v6
	s_wait_alu 0xf1ff
	v_xor_b32_e32 v9, s0, v9
	v_and_b32_e32 v5, v5, v8
	v_cmp_gt_i32_e64 s0, 0, v3
	v_ashrrev_i32_e32 v3, 31, v7
	s_wait_alu 0xfffd
	v_xor_b32_e32 v6, vcc_lo, v6
	v_add_nc_u32_e32 v68, v2, v4
	v_and_b32_e32 v5, v5, v9
	s_wait_alu 0xf1ff
	v_xor_b32_e32 v3, s0, v3
	ds_load_b32 v63, v68 offset:128
	v_and_b32_e32 v4, v5, v6
	; wave barrier
	s_delay_alu instid0(VALU_DEP_1) | instskip(NEXT) | instid1(VALU_DEP_1)
	v_and_b32_e32 v3, v4, v3
	v_mbcnt_lo_u32_b32 v64, v3, 0
	v_cmp_ne_u32_e64 s0, 0, v3
	s_delay_alu instid0(VALU_DEP_2)
	v_cmp_eq_u32_e32 vcc_lo, 0, v64
	s_and_b32 s1, s0, vcc_lo
	s_wait_alu 0xfffe
	s_and_saveexec_b32 s0, s1
	s_cbranch_execz .LBB181_179
; %bb.178:
	s_wait_dscnt 0x0
	v_bcnt_u32_b32 v3, v3, v63
	ds_store_b32 v68, v3 offset:128
.LBB181_179:
	s_wait_alu 0xfffe
	s_or_b32 exec_lo, exec_lo, s0
	v_lshrrev_b32_e32 v3, s44, v24
	; wave barrier
	s_delay_alu instid0(VALU_DEP_1) | instskip(NEXT) | instid1(VALU_DEP_1)
	v_and_b32_e32 v3, s10, v3
	v_and_b32_e32 v5, 1, v3
	v_lshlrev_b32_e32 v6, 30, v3
	v_lshlrev_b32_e32 v7, 29, v3
	;; [unrolled: 1-line block ×4, first 2 shown]
	v_add_co_u32 v5, s0, v5, -1
	s_wait_alu 0xf1ff
	v_cndmask_b32_e64 v9, 0, 1, s0
	v_not_b32_e32 v69, v6
	v_cmp_gt_i32_e64 s0, 0, v6
	v_not_b32_e32 v6, v7
	v_lshlrev_b32_e32 v66, 26, v3
	v_cmp_ne_u32_e32 vcc_lo, 0, v9
	v_ashrrev_i32_e32 v9, 31, v69
	v_lshlrev_b32_e32 v67, 25, v3
	v_ashrrev_i32_e32 v6, 31, v6
	v_mul_lo_u32 v4, 0x84, v3
	s_wait_alu 0xfffd
	v_xor_b32_e32 v5, vcc_lo, v5
	v_cmp_gt_i32_e32 vcc_lo, 0, v7
	v_not_b32_e32 v7, v8
	s_wait_alu 0xf1ff
	v_xor_b32_e32 v9, s0, v9
	v_cmp_gt_i32_e64 s0, 0, v8
	v_and_b32_e32 v5, exec_lo, v5
	v_not_b32_e32 v8, v58
	v_ashrrev_i32_e32 v7, 31, v7
	s_wait_alu 0xfffd
	v_xor_b32_e32 v6, vcc_lo, v6
	v_cmp_gt_i32_e32 vcc_lo, 0, v58
	v_and_b32_e32 v5, v5, v9
	v_not_b32_e32 v9, v66
	v_ashrrev_i32_e32 v8, 31, v8
	s_wait_alu 0xf1ff
	v_xor_b32_e32 v7, s0, v7
	v_lshlrev_b32_e32 v3, 24, v3
	v_and_b32_e32 v5, v5, v6
	v_cmp_gt_i32_e64 s0, 0, v66
	v_not_b32_e32 v6, v67
	v_ashrrev_i32_e32 v9, 31, v9
	s_wait_alu 0xfffd
	v_xor_b32_e32 v8, vcc_lo, v8
	v_and_b32_e32 v5, v5, v7
	v_cmp_gt_i32_e32 vcc_lo, 0, v67
	v_not_b32_e32 v7, v3
	v_ashrrev_i32_e32 v6, 31, v6
	s_wait_alu 0xf1ff
	v_xor_b32_e32 v9, s0, v9
	v_and_b32_e32 v5, v5, v8
	v_cmp_gt_i32_e64 s0, 0, v3
	v_ashrrev_i32_e32 v3, 31, v7
	s_wait_alu 0xfffd
	v_xor_b32_e32 v6, vcc_lo, v6
	v_add_nc_u32_e32 v71, v2, v4
	v_and_b32_e32 v5, v5, v9
	s_wait_alu 0xf1ff
	v_xor_b32_e32 v3, s0, v3
	ds_load_b32 v66, v71 offset:128
	v_and_b32_e32 v4, v5, v6
	; wave barrier
	s_delay_alu instid0(VALU_DEP_1) | instskip(NEXT) | instid1(VALU_DEP_1)
	v_and_b32_e32 v3, v4, v3
	v_mbcnt_lo_u32_b32 v67, v3, 0
	v_cmp_ne_u32_e64 s0, 0, v3
	s_delay_alu instid0(VALU_DEP_2)
	v_cmp_eq_u32_e32 vcc_lo, 0, v67
	s_and_b32 s1, s0, vcc_lo
	s_wait_alu 0xfffe
	s_and_saveexec_b32 s0, s1
	s_cbranch_execz .LBB181_181
; %bb.180:
	s_wait_dscnt 0x0
	v_bcnt_u32_b32 v3, v3, v66
	ds_store_b32 v71, v3 offset:128
.LBB181_181:
	s_wait_alu 0xfffe
	s_or_b32 exec_lo, exec_lo, s0
	v_lshrrev_b32_e32 v3, s44, v25
	; wave barrier
	s_delay_alu instid0(VALU_DEP_1) | instskip(NEXT) | instid1(VALU_DEP_1)
	v_and_b32_e32 v3, s10, v3
	v_and_b32_e32 v5, 1, v3
	v_lshlrev_b32_e32 v6, 30, v3
	v_lshlrev_b32_e32 v7, 29, v3
	v_lshlrev_b32_e32 v8, 28, v3
	v_lshlrev_b32_e32 v58, 27, v3
	v_add_co_u32 v5, s0, v5, -1
	s_wait_alu 0xf1ff
	v_cndmask_b32_e64 v9, 0, 1, s0
	v_not_b32_e32 v72, v6
	v_cmp_gt_i32_e64 s0, 0, v6
	v_not_b32_e32 v6, v7
	v_lshlrev_b32_e32 v69, 26, v3
	v_cmp_ne_u32_e32 vcc_lo, 0, v9
	v_ashrrev_i32_e32 v9, 31, v72
	v_lshlrev_b32_e32 v70, 25, v3
	v_ashrrev_i32_e32 v6, 31, v6
	v_mul_lo_u32 v4, 0x84, v3
	s_wait_alu 0xfffd
	v_xor_b32_e32 v5, vcc_lo, v5
	v_cmp_gt_i32_e32 vcc_lo, 0, v7
	v_not_b32_e32 v7, v8
	s_wait_alu 0xf1ff
	v_xor_b32_e32 v9, s0, v9
	v_cmp_gt_i32_e64 s0, 0, v8
	v_and_b32_e32 v5, exec_lo, v5
	v_not_b32_e32 v8, v58
	v_ashrrev_i32_e32 v7, 31, v7
	s_wait_alu 0xfffd
	v_xor_b32_e32 v6, vcc_lo, v6
	v_cmp_gt_i32_e32 vcc_lo, 0, v58
	v_and_b32_e32 v5, v5, v9
	v_not_b32_e32 v9, v69
	v_ashrrev_i32_e32 v8, 31, v8
	s_wait_alu 0xf1ff
	v_xor_b32_e32 v7, s0, v7
	v_lshlrev_b32_e32 v3, 24, v3
	v_and_b32_e32 v5, v5, v6
	v_cmp_gt_i32_e64 s0, 0, v69
	v_not_b32_e32 v6, v70
	v_ashrrev_i32_e32 v9, 31, v9
	s_wait_alu 0xfffd
	v_xor_b32_e32 v8, vcc_lo, v8
	v_and_b32_e32 v5, v5, v7
	v_cmp_gt_i32_e32 vcc_lo, 0, v70
	v_not_b32_e32 v7, v3
	v_ashrrev_i32_e32 v6, 31, v6
	s_wait_alu 0xf1ff
	v_xor_b32_e32 v9, s0, v9
	v_and_b32_e32 v5, v5, v8
	v_cmp_gt_i32_e64 s0, 0, v3
	v_ashrrev_i32_e32 v3, 31, v7
	s_wait_alu 0xfffd
	v_xor_b32_e32 v6, vcc_lo, v6
	v_add_nc_u32_e32 v74, v2, v4
	v_and_b32_e32 v5, v5, v9
	s_wait_alu 0xf1ff
	v_xor_b32_e32 v3, s0, v3
	ds_load_b32 v69, v74 offset:128
	v_and_b32_e32 v4, v5, v6
	; wave barrier
	s_delay_alu instid0(VALU_DEP_1) | instskip(NEXT) | instid1(VALU_DEP_1)
	v_and_b32_e32 v3, v4, v3
	v_mbcnt_lo_u32_b32 v70, v3, 0
	v_cmp_ne_u32_e64 s0, 0, v3
	s_delay_alu instid0(VALU_DEP_2)
	v_cmp_eq_u32_e32 vcc_lo, 0, v70
	s_and_b32 s1, s0, vcc_lo
	s_wait_alu 0xfffe
	s_and_saveexec_b32 s0, s1
	s_cbranch_execz .LBB181_183
; %bb.182:
	s_wait_dscnt 0x0
	v_bcnt_u32_b32 v3, v3, v69
	ds_store_b32 v74, v3 offset:128
.LBB181_183:
	s_wait_alu 0xfffe
	s_or_b32 exec_lo, exec_lo, s0
	v_lshrrev_b32_e32 v3, s44, v26
	; wave barrier
	s_delay_alu instid0(VALU_DEP_1) | instskip(NEXT) | instid1(VALU_DEP_1)
	v_and_b32_e32 v3, s10, v3
	v_and_b32_e32 v5, 1, v3
	v_lshlrev_b32_e32 v6, 30, v3
	v_lshlrev_b32_e32 v7, 29, v3
	;; [unrolled: 1-line block ×4, first 2 shown]
	v_add_co_u32 v5, s0, v5, -1
	s_wait_alu 0xf1ff
	v_cndmask_b32_e64 v9, 0, 1, s0
	v_not_b32_e32 v75, v6
	v_cmp_gt_i32_e64 s0, 0, v6
	v_not_b32_e32 v6, v7
	v_lshlrev_b32_e32 v72, 26, v3
	v_cmp_ne_u32_e32 vcc_lo, 0, v9
	v_ashrrev_i32_e32 v9, 31, v75
	v_lshlrev_b32_e32 v73, 25, v3
	v_ashrrev_i32_e32 v6, 31, v6
	v_mul_lo_u32 v4, 0x84, v3
	s_wait_alu 0xfffd
	v_xor_b32_e32 v5, vcc_lo, v5
	v_cmp_gt_i32_e32 vcc_lo, 0, v7
	v_not_b32_e32 v7, v8
	s_wait_alu 0xf1ff
	v_xor_b32_e32 v9, s0, v9
	v_cmp_gt_i32_e64 s0, 0, v8
	v_and_b32_e32 v5, exec_lo, v5
	v_not_b32_e32 v8, v58
	v_ashrrev_i32_e32 v7, 31, v7
	s_wait_alu 0xfffd
	v_xor_b32_e32 v6, vcc_lo, v6
	v_cmp_gt_i32_e32 vcc_lo, 0, v58
	v_and_b32_e32 v5, v5, v9
	v_not_b32_e32 v9, v72
	v_ashrrev_i32_e32 v8, 31, v8
	s_wait_alu 0xf1ff
	v_xor_b32_e32 v7, s0, v7
	v_lshlrev_b32_e32 v3, 24, v3
	v_and_b32_e32 v5, v5, v6
	v_cmp_gt_i32_e64 s0, 0, v72
	v_not_b32_e32 v6, v73
	v_ashrrev_i32_e32 v9, 31, v9
	s_wait_alu 0xfffd
	v_xor_b32_e32 v8, vcc_lo, v8
	v_and_b32_e32 v5, v5, v7
	v_cmp_gt_i32_e32 vcc_lo, 0, v73
	v_not_b32_e32 v7, v3
	v_ashrrev_i32_e32 v6, 31, v6
	s_wait_alu 0xf1ff
	v_xor_b32_e32 v9, s0, v9
	v_and_b32_e32 v5, v5, v8
	v_cmp_gt_i32_e64 s0, 0, v3
	v_ashrrev_i32_e32 v3, 31, v7
	s_wait_alu 0xfffd
	v_xor_b32_e32 v6, vcc_lo, v6
	v_add_nc_u32_e32 v78, v2, v4
	v_and_b32_e32 v5, v5, v9
	s_wait_alu 0xf1ff
	v_xor_b32_e32 v2, s0, v3
	ds_load_b32 v72, v78 offset:128
	v_and_b32_e32 v3, v5, v6
	; wave barrier
	s_delay_alu instid0(VALU_DEP_1) | instskip(NEXT) | instid1(VALU_DEP_1)
	v_and_b32_e32 v2, v3, v2
	v_mbcnt_lo_u32_b32 v73, v2, 0
	v_cmp_ne_u32_e64 s0, 0, v2
	s_delay_alu instid0(VALU_DEP_2)
	v_cmp_eq_u32_e32 vcc_lo, 0, v73
	s_and_b32 s1, s0, vcc_lo
	s_wait_alu 0xfffe
	s_and_saveexec_b32 s0, s1
	s_cbranch_execz .LBB181_185
; %bb.184:
	s_wait_dscnt 0x0
	v_bcnt_u32_b32 v2, v2, v72
	ds_store_b32 v78, v2 offset:128
.LBB181_185:
	s_wait_alu 0xfffe
	s_or_b32 exec_lo, exec_lo, s0
	; wave barrier
	s_wait_loadcnt_dscnt 0x0
	s_barrier_signal -1
	s_barrier_wait -1
	global_inv scope:SCOPE_SE
	ds_load_2addr_b32 v[8:9], v29 offset0:32 offset1:33
	ds_load_2addr_b32 v[6:7], v29 offset0:34 offset1:35
	;; [unrolled: 1-line block ×4, first 2 shown]
	ds_load_b32 v58, v29 offset:160
	v_and_b32_e32 v77, 16, v36
	v_and_b32_e32 v79, 31, v1
	s_mov_b32 s6, exec_lo
	s_delay_alu instid0(VALU_DEP_2) | instskip(SKIP_3) | instid1(VALU_DEP_1)
	v_cmp_eq_u32_e64 s4, 0, v77
	s_wait_dscnt 0x3
	v_add3_u32 v75, v9, v8, v6
	s_wait_dscnt 0x2
	v_add3_u32 v75, v75, v7, v4
	s_wait_dscnt 0x1
	s_delay_alu instid0(VALU_DEP_1) | instskip(SKIP_1) | instid1(VALU_DEP_1)
	v_add3_u32 v75, v75, v5, v2
	s_wait_dscnt 0x0
	v_add3_u32 v58, v75, v3, v58
	v_and_b32_e32 v75, 15, v36
	s_delay_alu instid0(VALU_DEP_2) | instskip(NEXT) | instid1(VALU_DEP_2)
	v_mov_b32_dpp v76, v58 row_shr:1 row_mask:0xf bank_mask:0xf
	v_cmp_eq_u32_e32 vcc_lo, 0, v75
	v_cmp_lt_u32_e64 s0, 1, v75
	v_cmp_lt_u32_e64 s1, 3, v75
	;; [unrolled: 1-line block ×3, first 2 shown]
	s_wait_alu 0xfffd
	v_cndmask_b32_e64 v76, v76, 0, vcc_lo
	s_delay_alu instid0(VALU_DEP_1) | instskip(NEXT) | instid1(VALU_DEP_1)
	v_add_nc_u32_e32 v58, v76, v58
	v_mov_b32_dpp v76, v58 row_shr:2 row_mask:0xf bank_mask:0xf
	s_wait_alu 0xf1ff
	s_delay_alu instid0(VALU_DEP_1) | instskip(NEXT) | instid1(VALU_DEP_1)
	v_cndmask_b32_e64 v76, 0, v76, s0
	v_add_nc_u32_e32 v58, v58, v76
	s_delay_alu instid0(VALU_DEP_1) | instskip(NEXT) | instid1(VALU_DEP_1)
	v_mov_b32_dpp v76, v58 row_shr:4 row_mask:0xf bank_mask:0xf
	v_cndmask_b32_e64 v76, 0, v76, s1
	s_delay_alu instid0(VALU_DEP_1) | instskip(NEXT) | instid1(VALU_DEP_1)
	v_add_nc_u32_e32 v58, v58, v76
	v_mov_b32_dpp v76, v58 row_shr:8 row_mask:0xf bank_mask:0xf
	s_delay_alu instid0(VALU_DEP_1) | instskip(SKIP_1) | instid1(VALU_DEP_2)
	v_cndmask_b32_e64 v75, 0, v76, s3
	v_bfe_i32 v76, v36, 4, 1
	v_add_nc_u32_e32 v58, v58, v75
	ds_swizzle_b32 v75, v58 offset:swizzle(BROADCAST,32,15)
	s_wait_dscnt 0x0
	v_and_b32_e32 v75, v76, v75
	v_lshrrev_b32_e32 v76, 5, v1
	s_delay_alu instid0(VALU_DEP_2)
	v_add_nc_u32_e32 v75, v58, v75
	v_cmpx_eq_u32_e32 31, v79
; %bb.186:
	s_delay_alu instid0(VALU_DEP_3)
	v_lshlrev_b32_e32 v58, 2, v76
	ds_store_b32 v58, v75
; %bb.187:
	s_or_b32 exec_lo, exec_lo, s6
	v_cmp_lt_u32_e64 s5, 31, v1
	v_lshlrev_b32_e32 v58, 2, v1
	s_mov_b32 s11, exec_lo
	s_wait_loadcnt_dscnt 0x0
	s_barrier_signal -1
	s_barrier_wait -1
	global_inv scope:SCOPE_SE
	v_cmpx_gt_u32_e32 32, v1
	s_cbranch_execz .LBB181_189
; %bb.188:
	ds_load_b32 v77, v58
	s_wait_dscnt 0x0
	v_mov_b32_dpp v79, v77 row_shr:1 row_mask:0xf bank_mask:0xf
	s_delay_alu instid0(VALU_DEP_1) | instskip(NEXT) | instid1(VALU_DEP_1)
	v_cndmask_b32_e64 v79, v79, 0, vcc_lo
	v_add_nc_u32_e32 v77, v79, v77
	s_delay_alu instid0(VALU_DEP_1) | instskip(NEXT) | instid1(VALU_DEP_1)
	v_mov_b32_dpp v79, v77 row_shr:2 row_mask:0xf bank_mask:0xf
	v_cndmask_b32_e64 v79, 0, v79, s0
	s_delay_alu instid0(VALU_DEP_1) | instskip(NEXT) | instid1(VALU_DEP_1)
	v_add_nc_u32_e32 v77, v77, v79
	v_mov_b32_dpp v79, v77 row_shr:4 row_mask:0xf bank_mask:0xf
	s_delay_alu instid0(VALU_DEP_1) | instskip(NEXT) | instid1(VALU_DEP_1)
	v_cndmask_b32_e64 v79, 0, v79, s1
	v_add_nc_u32_e32 v77, v77, v79
	s_delay_alu instid0(VALU_DEP_1) | instskip(NEXT) | instid1(VALU_DEP_1)
	v_mov_b32_dpp v79, v77 row_shr:8 row_mask:0xf bank_mask:0xf
	v_cndmask_b32_e64 v79, 0, v79, s3
	s_delay_alu instid0(VALU_DEP_1) | instskip(SKIP_3) | instid1(VALU_DEP_1)
	v_add_nc_u32_e32 v77, v77, v79
	ds_swizzle_b32 v79, v77 offset:swizzle(BROADCAST,32,15)
	s_wait_dscnt 0x0
	v_cndmask_b32_e64 v79, v79, 0, s4
	v_add_nc_u32_e32 v77, v77, v79
	ds_store_b32 v58, v77
.LBB181_189:
	s_wait_alu 0xfffe
	s_or_b32 exec_lo, exec_lo, s11
	v_mov_b32_e32 v77, 0
	s_wait_loadcnt_dscnt 0x0
	s_barrier_signal -1
	s_barrier_wait -1
	global_inv scope:SCOPE_SE
	s_and_saveexec_b32 s0, s5
; %bb.190:
	v_lshl_add_u32 v76, v76, 2, -4
	ds_load_b32 v77, v76
; %bb.191:
	s_wait_alu 0xfffe
	s_or_b32 exec_lo, exec_lo, s0
	v_sub_co_u32 v76, vcc_lo, v36, 1
	s_wait_dscnt 0x0
	v_add_nc_u32_e32 v75, v77, v75
	s_delay_alu instid0(VALU_DEP_2) | instskip(SKIP_1) | instid1(VALU_DEP_1)
	v_cmp_gt_i32_e64 s0, 0, v76
	s_wait_alu 0xf1ff
	v_cndmask_b32_e64 v76, v76, v36, s0
	v_cmp_lt_u32_e64 s0, 0xff, v1
	s_delay_alu instid0(VALU_DEP_2)
	v_lshlrev_b32_e32 v76, 2, v76
	ds_bpermute_b32 v75, v76, v75
	s_wait_dscnt 0x0
	s_wait_alu 0xfffd
	v_cndmask_b32_e32 v75, v75, v77, vcc_lo
	v_cmp_gt_u32_e32 vcc_lo, 0x100, v1
	s_delay_alu instid0(VALU_DEP_2) | instskip(NEXT) | instid1(VALU_DEP_1)
	v_cndmask_b32_e64 v75, v75, 0, s2
	v_add_nc_u32_e32 v8, v75, v8
	s_delay_alu instid0(VALU_DEP_1) | instskip(NEXT) | instid1(VALU_DEP_1)
	v_add_nc_u32_e32 v9, v8, v9
	v_add_nc_u32_e32 v6, v9, v6
	s_delay_alu instid0(VALU_DEP_1) | instskip(NEXT) | instid1(VALU_DEP_1)
	v_add_nc_u32_e32 v7, v6, v7
	;; [unrolled: 3-line block ×3, first 2 shown]
	v_add_nc_u32_e32 v2, v5, v2
	s_delay_alu instid0(VALU_DEP_1)
	v_add_nc_u32_e32 v3, v2, v3
	ds_store_2addr_b32 v29, v75, v8 offset0:32 offset1:33
	ds_store_2addr_b32 v29, v9, v6 offset0:34 offset1:35
	;; [unrolled: 1-line block ×4, first 2 shown]
	ds_store_b32 v29, v3 offset:160
	s_wait_loadcnt_dscnt 0x0
	s_barrier_signal -1
	s_barrier_wait -1
	global_inv scope:SCOPE_SE
	ds_load_b32 v8, v33 offset:128
	ds_load_b32 v9, v37 offset:128
	ds_load_b32 v29, v40 offset:128
	ds_load_b32 v33, v43 offset:128
	ds_load_b32 v75, v46 offset:128
	ds_load_b32 v76, v49 offset:128
	ds_load_b32 v77, v52 offset:128
	ds_load_b32 v79, v55 offset:128
	ds_load_b32 v43, v30 offset:128
	ds_load_b32 v30, v59 offset:128
	ds_load_b32 v59, v62 offset:128
	ds_load_b32 v55, v65 offset:128
	ds_load_b32 v52, v68 offset:128
	ds_load_b32 v49, v71 offset:128
	ds_load_b32 v46, v74 offset:128
	ds_load_b32 v62, v78 offset:128
                                        ; implicit-def: $vgpr37
                                        ; implicit-def: $vgpr40
	s_and_saveexec_b32 s2, vcc_lo
	s_cbranch_execz .LBB181_195
; %bb.192:
	v_mul_u32_u24_e32 v2, 0x84, v1
	v_add_nc_u32_e32 v3, 1, v1
	s_mov_b32 s3, exec_lo
	ds_load_b32 v37, v2 offset:128
	v_mov_b32_e32 v2, 0x4000
	v_cmpx_ne_u32_e32 0x100, v3
; %bb.193:
	v_mul_u32_u24_e32 v2, 0x84, v3
	ds_load_b32 v2, v2 offset:128
; %bb.194:
	s_wait_alu 0xfffe
	s_or_b32 exec_lo, exec_lo, s3
	s_wait_dscnt 0x0
	v_sub_nc_u32_e32 v40, v2, v37
.LBB181_195:
	s_wait_alu 0xfffe
	s_or_b32 exec_lo, exec_lo, s2
	v_mov_b32_e32 v3, 0
	s_wait_loadcnt_dscnt 0x0
	s_barrier_signal -1
	s_barrier_wait -1
	global_inv scope:SCOPE_SE
	s_and_saveexec_b32 s1, vcc_lo
	s_cbranch_execz .LBB181_205
; %bb.196:
	v_lshl_add_u32 v2, s25, 8, v1
	v_mov_b32_e32 v65, 0
	s_mov_b32 s2, 0
	s_mov_b32 s3, s25
                                        ; implicit-def: $sgpr4
	s_delay_alu instid0(VALU_DEP_2) | instskip(SKIP_1) | instid1(VALU_DEP_2)
	v_lshlrev_b64_e32 v[4:5], 2, v[2:3]
	v_or_b32_e32 v2, 2.0, v40
	v_add_co_u32 v4, vcc_lo, s26, v4
	s_wait_alu 0xfffd
	s_delay_alu instid0(VALU_DEP_3)
	v_add_co_ci_u32_e64 v5, null, s27, v5, vcc_lo
	global_store_b32 v[4:5], v2, off scope:SCOPE_DEV
	s_branch .LBB181_199
.LBB181_197:                            ;   in Loop: Header=BB181_199 Depth=1
	s_or_b32 exec_lo, exec_lo, s5
.LBB181_198:                            ;   in Loop: Header=BB181_199 Depth=1
	s_delay_alu instid0(SALU_CYCLE_1) | instskip(SKIP_2) | instid1(VALU_DEP_2)
	s_or_b32 exec_lo, exec_lo, s4
	v_and_b32_e32 v6, 0x3fffffff, v2
	v_cmp_gt_i32_e64 s4, -2.0, v2
	v_add_nc_u32_e32 v65, v6, v65
	s_and_b32 s5, exec_lo, s4
	s_wait_alu 0xfffe
	s_or_b32 s2, s5, s2
	s_wait_alu 0xfffe
	s_and_not1_b32 exec_lo, exec_lo, s2
	s_cbranch_execz .LBB181_204
.LBB181_199:                            ; =>This Loop Header: Depth=1
                                        ;     Child Loop BB181_202 Depth 2
	s_or_b32 s4, s4, exec_lo
	s_wait_alu 0xfffe
	s_cmp_eq_u32 s3, 0
	s_cbranch_scc1 .LBB181_203
; %bb.200:                              ;   in Loop: Header=BB181_199 Depth=1
	s_add_co_i32 s3, s3, -1
	s_mov_b32 s4, exec_lo
	s_wait_alu 0xfffe
	v_lshl_or_b32 v2, s3, 8, v1
	s_delay_alu instid0(VALU_DEP_1) | instskip(NEXT) | instid1(VALU_DEP_1)
	v_lshlrev_b64_e32 v[6:7], 2, v[2:3]
	v_add_co_u32 v6, vcc_lo, s26, v6
	s_wait_alu 0xfffd
	s_delay_alu instid0(VALU_DEP_2)
	v_add_co_ci_u32_e64 v7, null, s27, v7, vcc_lo
	global_load_b32 v2, v[6:7], off scope:SCOPE_DEV
	s_wait_loadcnt 0x0
	v_cmpx_gt_u32_e32 2.0, v2
	s_cbranch_execz .LBB181_198
; %bb.201:                              ;   in Loop: Header=BB181_199 Depth=1
	s_mov_b32 s5, 0
.LBB181_202:                            ;   Parent Loop BB181_199 Depth=1
                                        ; =>  This Inner Loop Header: Depth=2
	global_load_b32 v2, v[6:7], off scope:SCOPE_DEV
	s_wait_loadcnt 0x0
	v_cmp_lt_u32_e32 vcc_lo, 0x3fffffff, v2
	s_wait_alu 0xfffe
	s_or_b32 s5, vcc_lo, s5
	s_wait_alu 0xfffe
	s_and_not1_b32 exec_lo, exec_lo, s5
	s_cbranch_execnz .LBB181_202
	s_branch .LBB181_197
.LBB181_203:                            ;   in Loop: Header=BB181_199 Depth=1
                                        ; implicit-def: $sgpr3
	s_and_b32 s5, exec_lo, s4
	s_wait_alu 0xfffe
	s_or_b32 s2, s5, s2
	s_wait_alu 0xfffe
	s_and_not1_b32 exec_lo, exec_lo, s2
	s_cbranch_execnz .LBB181_199
.LBB181_204:
	s_or_b32 exec_lo, exec_lo, s2
	v_add_nc_u32_e32 v2, v65, v40
	v_sub_nc_u32_e32 v3, v65, v37
	s_delay_alu instid0(VALU_DEP_2)
	v_or_b32_e32 v2, 0x80000000, v2
	global_store_b32 v[4:5], v2, off scope:SCOPE_DEV
	global_load_b32 v2, v58, s[28:29]
	s_wait_loadcnt 0x0
	v_add_nc_u32_e32 v2, v3, v2
	ds_store_b32 v58, v2
.LBB181_205:
	s_wait_alu 0xfffe
	s_or_b32 exec_lo, exec_lo, s1
	v_dual_mov_b32 v3, 0 :: v_dual_add_nc_u32 v0, v43, v0
	v_or_b32_e32 v4, 0x1c00, v1
	v_add3_u32 v43, v73, v62, v72
	v_add3_u32 v46, v70, v46, v69
	;; [unrolled: 1-line block ×15, first 2 shown]
	s_mov_b32 s2, 32
	s_mov_b32 s3, 0
	s_mov_b32 s5, -1
	s_mov_b32 s4, 0
.LBB181_206:                            ; =>This Inner Loop Header: Depth=1
	s_wait_alu 0xfffe
	v_add_nc_u32_e32 v2, s4, v0
	v_add_nc_u32_e32 v5, s4, v45
	;; [unrolled: 1-line block ×16, first 2 shown]
	v_min_u32_e32 v2, 0x2000, v2
	v_min_u32_e32 v5, 0x2000, v5
	;; [unrolled: 1-line block ×16, first 2 shown]
	v_lshlrev_b32_e32 v2, 2, v2
	v_lshlrev_b32_e32 v5, 2, v5
	;; [unrolled: 1-line block ×16, first 2 shown]
	ds_store_b32 v2, v11 offset:1024
	ds_store_b32 v5, v12 offset:1024
	;; [unrolled: 1-line block ×16, first 2 shown]
	s_wait_storecnt 0x0
	s_wait_loadcnt_dscnt 0x0
	s_barrier_signal -1
	s_barrier_wait -1
	global_inv scope:SCOPE_SE
	ds_load_2addr_stride64_b32 v[31:32], v58 offset0:4 offset1:20
	ds_load_2addr_stride64_b32 v[33:34], v58 offset0:36 offset1:52
	;; [unrolled: 1-line block ×4, first 2 shown]
	s_addk_co_i32 s4, 0xe000
	s_and_b32 vcc_lo, exec_lo, s5
	s_mov_b32 s5, 0
	s_wait_dscnt 0x3
	v_lshrrev_b32_e32 v2, s44, v31
	v_lshrrev_b32_e32 v6, s44, v32
	s_wait_dscnt 0x2
	v_lshrrev_b32_e32 v7, s44, v33
	v_lshrrev_b32_e32 v8, s44, v34
	;; [unrolled: 3-line block ×4, first 2 shown]
	v_and_b32_e32 v5, s10, v2
	v_and_b32_e32 v6, s10, v6
	;; [unrolled: 1-line block ×8, first 2 shown]
	v_lshlrev_b32_e32 v2, 2, v5
	v_lshlrev_b32_e32 v9, 2, v6
	;; [unrolled: 1-line block ×5, first 2 shown]
	s_clause 0x1
	scratch_store_b128 off, v[5:8], s3
	scratch_store_b128 off, v[27:30], s3 offset:16
	v_lshlrev_b32_e32 v54, 2, v28
	v_lshlrev_b32_e32 v57, 2, v29
	;; [unrolled: 1-line block ×3, first 2 shown]
	ds_load_b32 v2, v2
	ds_load_b32 v7, v9
	;; [unrolled: 1-line block ×8, first 2 shown]
	s_mov_b32 s3, s2
	s_wait_dscnt 0x7
	v_add3_u32 v2, v4, v2, 0xffffe400
	s_delay_alu instid0(VALU_DEP_1) | instskip(SKIP_2) | instid1(VALU_DEP_1)
	v_lshlrev_b64_e32 v[5:6], 2, v[2:3]
	s_wait_dscnt 0x6
	v_add3_u32 v2, v4, v7, 0xffffe800
	v_lshlrev_b64_e32 v[7:8], 2, v[2:3]
	s_wait_dscnt 0x5
	v_add3_u32 v2, v4, v9, 0xffffec00
	v_add_co_u32 v5, s1, s38, v5
	s_wait_alu 0xf1ff
	v_add_co_ci_u32_e64 v6, null, s39, v6, s1
	s_delay_alu instid0(VALU_DEP_3)
	v_lshlrev_b64_e32 v[27:28], 2, v[2:3]
	s_wait_dscnt 0x4
	v_add3_u32 v2, v4, v29, 0xfffff000
	v_add_co_u32 v7, s1, s38, v7
	s_wait_alu 0xf1ff
	v_add_co_ci_u32_e64 v8, null, s39, v8, s1
	global_store_b32 v[5:6], v31, off
	v_lshlrev_b64_e32 v[5:6], 2, v[2:3]
	s_wait_dscnt 0x3
	v_add3_u32 v2, v4, v30, 0xfffff400
	global_store_b32 v[7:8], v32, off
	v_add_co_u32 v7, s1, s38, v27
	s_wait_alu 0xf1ff
	v_add_co_ci_u32_e64 v8, null, s39, v28, s1
	v_lshlrev_b64_e32 v[27:28], 2, v[2:3]
	s_wait_dscnt 0x2
	v_add3_u32 v2, v4, v35, 0xfffff800
	v_add_co_u32 v5, s1, s38, v5
	s_wait_alu 0xf1ff
	v_add_co_ci_u32_e64 v6, null, s39, v6, s1
	global_store_b32 v[7:8], v33, off
	v_lshlrev_b64_e32 v[7:8], 2, v[2:3]
	s_wait_dscnt 0x1
	v_add3_u32 v2, v4, v48, 0xfffffc00
	global_store_b32 v[5:6], v34, off
	v_add_co_u32 v5, s1, s38, v27
	s_wait_alu 0xf1ff
	v_add_co_ci_u32_e64 v6, null, s39, v28, s1
	v_lshlrev_b64_e32 v[27:28], 2, v[2:3]
	s_wait_dscnt 0x0
	v_add_nc_u32_e32 v2, v4, v51
	v_add_co_u32 v7, s1, s38, v7
	s_wait_alu 0xf1ff
	v_add_co_ci_u32_e64 v8, null, s39, v8, s1
	global_store_b32 v[5:6], v59, off
	v_lshlrev_b64_e32 v[5:6], 2, v[2:3]
	v_add_nc_u32_e32 v4, 0x2000, v4
	global_store_b32 v[7:8], v60, off
	v_add_co_u32 v7, s1, s38, v27
	s_wait_alu 0xf1ff
	v_add_co_ci_u32_e64 v8, null, s39, v28, s1
	v_add_co_u32 v5, s1, s38, v5
	s_wait_alu 0xf1ff
	v_add_co_ci_u32_e64 v6, null, s39, v6, s1
	s_clause 0x1
	global_store_b32 v[7:8], v61, off
	global_store_b32 v[5:6], v62, off
	s_wait_loadcnt 0x0
	s_wait_storecnt 0x0
	s_barrier_signal -1
	s_barrier_wait -1
	global_inv scope:SCOPE_SE
	s_wait_alu 0xfffe
	s_cbranch_vccnz .LBB181_206
; %bb.207:
	v_dual_mov_b32 v35, 0 :: v_dual_lshlrev_b32 v2, 3, v36
	s_lshl_b64 s[2:3], s[8:9], 3
	v_lshlrev_b32_e32 v3, 3, v10
	s_wait_alu 0xfffe
	s_add_nc_u64 s[2:3], s[40:41], s[2:3]
	v_lshlrev_b32_e32 v36, 3, v1
	s_wait_alu 0xfffe
	v_add_co_u32 v2, s1, s2, v2
	s_wait_alu 0xf1ff
	v_add_co_ci_u32_e64 v4, null, s3, 0, s1
	v_or_b32_e32 v1, 0xc00, v1
	s_delay_alu instid0(VALU_DEP_3) | instskip(SKIP_1) | instid1(VALU_DEP_3)
	v_add_co_u32 v32, vcc_lo, v2, v3
	s_wait_alu 0xfffd
	v_add_co_ci_u32_e64 v33, null, 0, v4, vcc_lo
	s_or_b32 s1, 0, 8
	s_mov_b32 s2, 0
	s_clause 0xf
	global_load_b64 v[2:3], v[32:33], off
	global_load_b64 v[4:5], v[32:33], off offset:256
	global_load_b64 v[6:7], v[32:33], off offset:512
	global_load_b64 v[8:9], v[32:33], off offset:768
	global_load_b64 v[10:11], v[32:33], off offset:1024
	global_load_b64 v[12:13], v[32:33], off offset:1280
	global_load_b64 v[14:15], v[32:33], off offset:1536
	global_load_b64 v[16:17], v[32:33], off offset:1792
	global_load_b64 v[18:19], v[32:33], off offset:2048
	global_load_b64 v[20:21], v[32:33], off offset:2304
	global_load_b64 v[22:23], v[32:33], off offset:2560
	global_load_b64 v[24:25], v[32:33], off offset:2816
	global_load_b64 v[26:27], v[32:33], off offset:3072
	global_load_b64 v[28:29], v[32:33], off offset:3328
	global_load_b64 v[30:31], v[32:33], off offset:3584
	global_load_b64 v[32:33], v[32:33], off offset:3840
.LBB181_208:                            ; =>This Inner Loop Header: Depth=1
	s_wait_alu 0xfffe
	v_add_nc_u32_e32 v34, s2, v0
	v_add_nc_u32_e32 v48, s2, v45
	;; [unrolled: 1-line block ×16, first 2 shown]
	v_min_u32_e32 v34, 0x1000, v34
	v_min_u32_e32 v48, 0x1000, v48
	;; [unrolled: 1-line block ×16, first 2 shown]
	v_lshlrev_b32_e32 v34, 3, v34
	v_lshlrev_b32_e32 v48, 3, v48
	;; [unrolled: 1-line block ×16, first 2 shown]
	s_wait_loadcnt 0xf
	ds_store_b64 v34, v[2:3] offset:1024
	s_wait_loadcnt 0xe
	ds_store_b64 v48, v[4:5] offset:1024
	;; [unrolled: 2-line block ×16, first 2 shown]
	s_wait_dscnt 0x0
	s_barrier_signal -1
	s_barrier_wait -1
	global_inv scope:SCOPE_SE
	scratch_load_b128 v[59:62], off, s1 offset:-8
	ds_load_2addr_stride64_b64 v[63:66], v36 offset0:2 offset1:18
	ds_load_2addr_stride64_b64 v[67:70], v36 offset0:34 offset1:50
	s_addk_co_i32 s2, 0xf000
	s_add_co_i32 s1, s1, 16
	s_wait_alu 0xfffe
	s_cmp_lg_u32 s2, 0xffffc000
	s_wait_loadcnt 0x0
	v_lshlrev_b32_e32 v34, 2, v59
	v_lshlrev_b32_e32 v48, 2, v60
	v_lshlrev_b32_e32 v51, 2, v61
	v_lshlrev_b32_e32 v54, 2, v62
	ds_load_b32 v34, v34
	ds_load_b32 v48, v48
	;; [unrolled: 1-line block ×4, first 2 shown]
	s_wait_dscnt 0x3
	v_add3_u32 v34, v1, v34, 0xfffff400
	s_delay_alu instid0(VALU_DEP_1) | instskip(SKIP_2) | instid1(VALU_DEP_1)
	v_lshlrev_b64_e32 v[59:60], 3, v[34:35]
	s_wait_dscnt 0x2
	v_add3_u32 v34, v1, v48, 0xfffff800
	v_lshlrev_b64_e32 v[61:62], 3, v[34:35]
	s_wait_dscnt 0x1
	v_add3_u32 v34, v1, v51, 0xfffffc00
	v_add_co_u32 v59, vcc_lo, s42, v59
	s_wait_alu 0xfffd
	v_add_co_ci_u32_e64 v60, null, s43, v60, vcc_lo
	s_delay_alu instid0(VALU_DEP_3)
	v_lshlrev_b64_e32 v[71:72], 3, v[34:35]
	s_wait_dscnt 0x0
	v_add_nc_u32_e32 v34, v1, v54
	v_add_co_u32 v61, vcc_lo, s42, v61
	s_wait_alu 0xfffd
	v_add_co_ci_u32_e64 v62, null, s43, v62, vcc_lo
	global_store_b64 v[59:60], v[63:64], off
	v_lshlrev_b64_e32 v[59:60], 3, v[34:35]
	v_add_nc_u32_e32 v1, 0x1000, v1
	global_store_b64 v[61:62], v[65:66], off
	v_add_co_u32 v61, vcc_lo, s42, v71
	s_wait_alu 0xfffd
	v_add_co_ci_u32_e64 v62, null, s43, v72, vcc_lo
	v_add_co_u32 v59, vcc_lo, s42, v59
	s_wait_alu 0xfffd
	v_add_co_ci_u32_e64 v60, null, s43, v60, vcc_lo
	s_clause 0x1
	global_store_b64 v[61:62], v[67:68], off
	global_store_b64 v[59:60], v[69:70], off
	s_wait_storecnt 0x0
	s_barrier_signal -1
	s_barrier_wait -1
	global_inv scope:SCOPE_SE
	s_cbranch_scc1 .LBB181_208
; %bb.209:
	s_add_co_i32 s7, s7, -1
	s_delay_alu instid0(SALU_CYCLE_1)
	s_cmp_eq_u32 s25, s7
	s_cselect_b32 s1, -1, 0
	s_xor_b32 s0, s0, -1
	s_wait_alu 0xfffe
	s_and_b32 s0, s0, s1
	s_wait_alu 0xfffe
	s_and_saveexec_b32 s1, s0
	s_cbranch_execz .LBB181_211
; %bb.210:
	ds_load_b32 v0, v58
	s_wait_dscnt 0x0
	v_add3_u32 v0, v37, v40, v0
	global_store_b32 v58, v0, s[30:31]
.LBB181_211:
	s_endpgm
	.section	.rodata,"a",@progbits
	.p2align	6, 0x0
	.amdhsa_kernel _ZN7rocprim17ROCPRIM_400000_NS6detail17trampoline_kernelINS0_14default_configENS1_35radix_sort_onesweep_config_selectorIjN6thrust23THRUST_200600_302600_NS5tupleIffNS6_9null_typeES8_S8_S8_S8_S8_S8_S8_EEEEZZNS1_29radix_sort_onesweep_iterationIS3_Lb0ENS6_6detail15normal_iteratorINS6_10device_ptrIjEEEESG_NSD_INSE_IS9_EEEESI_jNS0_19identity_decomposerENS1_16block_id_wrapperIjLb1EEEEE10hipError_tT1_PNSt15iterator_traitsISN_E10value_typeET2_T3_PNSO_IST_E10value_typeET4_T5_PSY_SZ_PNS1_23onesweep_lookback_stateEbbT6_jjT7_P12ihipStream_tbENKUlT_T0_SN_SS_E_clISG_SG_SI_SI_EEDaS16_S17_SN_SS_EUlS16_E_NS1_11comp_targetILNS1_3genE10ELNS1_11target_archE1201ELNS1_3gpuE5ELNS1_3repE0EEENS1_47radix_sort_onesweep_sort_config_static_selectorELNS0_4arch9wavefront6targetE0EEEvSN_
		.amdhsa_group_segment_fixed_size 37000
		.amdhsa_private_segment_fixed_size 80
		.amdhsa_kernarg_size 344
		.amdhsa_user_sgpr_count 2
		.amdhsa_user_sgpr_dispatch_ptr 0
		.amdhsa_user_sgpr_queue_ptr 0
		.amdhsa_user_sgpr_kernarg_segment_ptr 1
		.amdhsa_user_sgpr_dispatch_id 0
		.amdhsa_user_sgpr_private_segment_size 0
		.amdhsa_wavefront_size32 1
		.amdhsa_uses_dynamic_stack 0
		.amdhsa_enable_private_segment 1
		.amdhsa_system_sgpr_workgroup_id_x 1
		.amdhsa_system_sgpr_workgroup_id_y 0
		.amdhsa_system_sgpr_workgroup_id_z 0
		.amdhsa_system_sgpr_workgroup_info 0
		.amdhsa_system_vgpr_workitem_id 2
		.amdhsa_next_free_vgpr 82
		.amdhsa_next_free_sgpr 51
		.amdhsa_reserve_vcc 1
		.amdhsa_float_round_mode_32 0
		.amdhsa_float_round_mode_16_64 0
		.amdhsa_float_denorm_mode_32 3
		.amdhsa_float_denorm_mode_16_64 3
		.amdhsa_fp16_overflow 0
		.amdhsa_workgroup_processor_mode 1
		.amdhsa_memory_ordered 1
		.amdhsa_forward_progress 1
		.amdhsa_inst_pref_size 174
		.amdhsa_round_robin_scheduling 0
		.amdhsa_exception_fp_ieee_invalid_op 0
		.amdhsa_exception_fp_denorm_src 0
		.amdhsa_exception_fp_ieee_div_zero 0
		.amdhsa_exception_fp_ieee_overflow 0
		.amdhsa_exception_fp_ieee_underflow 0
		.amdhsa_exception_fp_ieee_inexact 0
		.amdhsa_exception_int_div_zero 0
	.end_amdhsa_kernel
	.section	.text._ZN7rocprim17ROCPRIM_400000_NS6detail17trampoline_kernelINS0_14default_configENS1_35radix_sort_onesweep_config_selectorIjN6thrust23THRUST_200600_302600_NS5tupleIffNS6_9null_typeES8_S8_S8_S8_S8_S8_S8_EEEEZZNS1_29radix_sort_onesweep_iterationIS3_Lb0ENS6_6detail15normal_iteratorINS6_10device_ptrIjEEEESG_NSD_INSE_IS9_EEEESI_jNS0_19identity_decomposerENS1_16block_id_wrapperIjLb1EEEEE10hipError_tT1_PNSt15iterator_traitsISN_E10value_typeET2_T3_PNSO_IST_E10value_typeET4_T5_PSY_SZ_PNS1_23onesweep_lookback_stateEbbT6_jjT7_P12ihipStream_tbENKUlT_T0_SN_SS_E_clISG_SG_SI_SI_EEDaS16_S17_SN_SS_EUlS16_E_NS1_11comp_targetILNS1_3genE10ELNS1_11target_archE1201ELNS1_3gpuE5ELNS1_3repE0EEENS1_47radix_sort_onesweep_sort_config_static_selectorELNS0_4arch9wavefront6targetE0EEEvSN_,"axG",@progbits,_ZN7rocprim17ROCPRIM_400000_NS6detail17trampoline_kernelINS0_14default_configENS1_35radix_sort_onesweep_config_selectorIjN6thrust23THRUST_200600_302600_NS5tupleIffNS6_9null_typeES8_S8_S8_S8_S8_S8_S8_EEEEZZNS1_29radix_sort_onesweep_iterationIS3_Lb0ENS6_6detail15normal_iteratorINS6_10device_ptrIjEEEESG_NSD_INSE_IS9_EEEESI_jNS0_19identity_decomposerENS1_16block_id_wrapperIjLb1EEEEE10hipError_tT1_PNSt15iterator_traitsISN_E10value_typeET2_T3_PNSO_IST_E10value_typeET4_T5_PSY_SZ_PNS1_23onesweep_lookback_stateEbbT6_jjT7_P12ihipStream_tbENKUlT_T0_SN_SS_E_clISG_SG_SI_SI_EEDaS16_S17_SN_SS_EUlS16_E_NS1_11comp_targetILNS1_3genE10ELNS1_11target_archE1201ELNS1_3gpuE5ELNS1_3repE0EEENS1_47radix_sort_onesweep_sort_config_static_selectorELNS0_4arch9wavefront6targetE0EEEvSN_,comdat
.Lfunc_end181:
	.size	_ZN7rocprim17ROCPRIM_400000_NS6detail17trampoline_kernelINS0_14default_configENS1_35radix_sort_onesweep_config_selectorIjN6thrust23THRUST_200600_302600_NS5tupleIffNS6_9null_typeES8_S8_S8_S8_S8_S8_S8_EEEEZZNS1_29radix_sort_onesweep_iterationIS3_Lb0ENS6_6detail15normal_iteratorINS6_10device_ptrIjEEEESG_NSD_INSE_IS9_EEEESI_jNS0_19identity_decomposerENS1_16block_id_wrapperIjLb1EEEEE10hipError_tT1_PNSt15iterator_traitsISN_E10value_typeET2_T3_PNSO_IST_E10value_typeET4_T5_PSY_SZ_PNS1_23onesweep_lookback_stateEbbT6_jjT7_P12ihipStream_tbENKUlT_T0_SN_SS_E_clISG_SG_SI_SI_EEDaS16_S17_SN_SS_EUlS16_E_NS1_11comp_targetILNS1_3genE10ELNS1_11target_archE1201ELNS1_3gpuE5ELNS1_3repE0EEENS1_47radix_sort_onesweep_sort_config_static_selectorELNS0_4arch9wavefront6targetE0EEEvSN_, .Lfunc_end181-_ZN7rocprim17ROCPRIM_400000_NS6detail17trampoline_kernelINS0_14default_configENS1_35radix_sort_onesweep_config_selectorIjN6thrust23THRUST_200600_302600_NS5tupleIffNS6_9null_typeES8_S8_S8_S8_S8_S8_S8_EEEEZZNS1_29radix_sort_onesweep_iterationIS3_Lb0ENS6_6detail15normal_iteratorINS6_10device_ptrIjEEEESG_NSD_INSE_IS9_EEEESI_jNS0_19identity_decomposerENS1_16block_id_wrapperIjLb1EEEEE10hipError_tT1_PNSt15iterator_traitsISN_E10value_typeET2_T3_PNSO_IST_E10value_typeET4_T5_PSY_SZ_PNS1_23onesweep_lookback_stateEbbT6_jjT7_P12ihipStream_tbENKUlT_T0_SN_SS_E_clISG_SG_SI_SI_EEDaS16_S17_SN_SS_EUlS16_E_NS1_11comp_targetILNS1_3genE10ELNS1_11target_archE1201ELNS1_3gpuE5ELNS1_3repE0EEENS1_47radix_sort_onesweep_sort_config_static_selectorELNS0_4arch9wavefront6targetE0EEEvSN_
                                        ; -- End function
	.set _ZN7rocprim17ROCPRIM_400000_NS6detail17trampoline_kernelINS0_14default_configENS1_35radix_sort_onesweep_config_selectorIjN6thrust23THRUST_200600_302600_NS5tupleIffNS6_9null_typeES8_S8_S8_S8_S8_S8_S8_EEEEZZNS1_29radix_sort_onesweep_iterationIS3_Lb0ENS6_6detail15normal_iteratorINS6_10device_ptrIjEEEESG_NSD_INSE_IS9_EEEESI_jNS0_19identity_decomposerENS1_16block_id_wrapperIjLb1EEEEE10hipError_tT1_PNSt15iterator_traitsISN_E10value_typeET2_T3_PNSO_IST_E10value_typeET4_T5_PSY_SZ_PNS1_23onesweep_lookback_stateEbbT6_jjT7_P12ihipStream_tbENKUlT_T0_SN_SS_E_clISG_SG_SI_SI_EEDaS16_S17_SN_SS_EUlS16_E_NS1_11comp_targetILNS1_3genE10ELNS1_11target_archE1201ELNS1_3gpuE5ELNS1_3repE0EEENS1_47radix_sort_onesweep_sort_config_static_selectorELNS0_4arch9wavefront6targetE0EEEvSN_.num_vgpr, 82
	.set _ZN7rocprim17ROCPRIM_400000_NS6detail17trampoline_kernelINS0_14default_configENS1_35radix_sort_onesweep_config_selectorIjN6thrust23THRUST_200600_302600_NS5tupleIffNS6_9null_typeES8_S8_S8_S8_S8_S8_S8_EEEEZZNS1_29radix_sort_onesweep_iterationIS3_Lb0ENS6_6detail15normal_iteratorINS6_10device_ptrIjEEEESG_NSD_INSE_IS9_EEEESI_jNS0_19identity_decomposerENS1_16block_id_wrapperIjLb1EEEEE10hipError_tT1_PNSt15iterator_traitsISN_E10value_typeET2_T3_PNSO_IST_E10value_typeET4_T5_PSY_SZ_PNS1_23onesweep_lookback_stateEbbT6_jjT7_P12ihipStream_tbENKUlT_T0_SN_SS_E_clISG_SG_SI_SI_EEDaS16_S17_SN_SS_EUlS16_E_NS1_11comp_targetILNS1_3genE10ELNS1_11target_archE1201ELNS1_3gpuE5ELNS1_3repE0EEENS1_47radix_sort_onesweep_sort_config_static_selectorELNS0_4arch9wavefront6targetE0EEEvSN_.num_agpr, 0
	.set _ZN7rocprim17ROCPRIM_400000_NS6detail17trampoline_kernelINS0_14default_configENS1_35radix_sort_onesweep_config_selectorIjN6thrust23THRUST_200600_302600_NS5tupleIffNS6_9null_typeES8_S8_S8_S8_S8_S8_S8_EEEEZZNS1_29radix_sort_onesweep_iterationIS3_Lb0ENS6_6detail15normal_iteratorINS6_10device_ptrIjEEEESG_NSD_INSE_IS9_EEEESI_jNS0_19identity_decomposerENS1_16block_id_wrapperIjLb1EEEEE10hipError_tT1_PNSt15iterator_traitsISN_E10value_typeET2_T3_PNSO_IST_E10value_typeET4_T5_PSY_SZ_PNS1_23onesweep_lookback_stateEbbT6_jjT7_P12ihipStream_tbENKUlT_T0_SN_SS_E_clISG_SG_SI_SI_EEDaS16_S17_SN_SS_EUlS16_E_NS1_11comp_targetILNS1_3genE10ELNS1_11target_archE1201ELNS1_3gpuE5ELNS1_3repE0EEENS1_47radix_sort_onesweep_sort_config_static_selectorELNS0_4arch9wavefront6targetE0EEEvSN_.numbered_sgpr, 51
	.set _ZN7rocprim17ROCPRIM_400000_NS6detail17trampoline_kernelINS0_14default_configENS1_35radix_sort_onesweep_config_selectorIjN6thrust23THRUST_200600_302600_NS5tupleIffNS6_9null_typeES8_S8_S8_S8_S8_S8_S8_EEEEZZNS1_29radix_sort_onesweep_iterationIS3_Lb0ENS6_6detail15normal_iteratorINS6_10device_ptrIjEEEESG_NSD_INSE_IS9_EEEESI_jNS0_19identity_decomposerENS1_16block_id_wrapperIjLb1EEEEE10hipError_tT1_PNSt15iterator_traitsISN_E10value_typeET2_T3_PNSO_IST_E10value_typeET4_T5_PSY_SZ_PNS1_23onesweep_lookback_stateEbbT6_jjT7_P12ihipStream_tbENKUlT_T0_SN_SS_E_clISG_SG_SI_SI_EEDaS16_S17_SN_SS_EUlS16_E_NS1_11comp_targetILNS1_3genE10ELNS1_11target_archE1201ELNS1_3gpuE5ELNS1_3repE0EEENS1_47radix_sort_onesweep_sort_config_static_selectorELNS0_4arch9wavefront6targetE0EEEvSN_.num_named_barrier, 0
	.set _ZN7rocprim17ROCPRIM_400000_NS6detail17trampoline_kernelINS0_14default_configENS1_35radix_sort_onesweep_config_selectorIjN6thrust23THRUST_200600_302600_NS5tupleIffNS6_9null_typeES8_S8_S8_S8_S8_S8_S8_EEEEZZNS1_29radix_sort_onesweep_iterationIS3_Lb0ENS6_6detail15normal_iteratorINS6_10device_ptrIjEEEESG_NSD_INSE_IS9_EEEESI_jNS0_19identity_decomposerENS1_16block_id_wrapperIjLb1EEEEE10hipError_tT1_PNSt15iterator_traitsISN_E10value_typeET2_T3_PNSO_IST_E10value_typeET4_T5_PSY_SZ_PNS1_23onesweep_lookback_stateEbbT6_jjT7_P12ihipStream_tbENKUlT_T0_SN_SS_E_clISG_SG_SI_SI_EEDaS16_S17_SN_SS_EUlS16_E_NS1_11comp_targetILNS1_3genE10ELNS1_11target_archE1201ELNS1_3gpuE5ELNS1_3repE0EEENS1_47radix_sort_onesweep_sort_config_static_selectorELNS0_4arch9wavefront6targetE0EEEvSN_.private_seg_size, 80
	.set _ZN7rocprim17ROCPRIM_400000_NS6detail17trampoline_kernelINS0_14default_configENS1_35radix_sort_onesweep_config_selectorIjN6thrust23THRUST_200600_302600_NS5tupleIffNS6_9null_typeES8_S8_S8_S8_S8_S8_S8_EEEEZZNS1_29radix_sort_onesweep_iterationIS3_Lb0ENS6_6detail15normal_iteratorINS6_10device_ptrIjEEEESG_NSD_INSE_IS9_EEEESI_jNS0_19identity_decomposerENS1_16block_id_wrapperIjLb1EEEEE10hipError_tT1_PNSt15iterator_traitsISN_E10value_typeET2_T3_PNSO_IST_E10value_typeET4_T5_PSY_SZ_PNS1_23onesweep_lookback_stateEbbT6_jjT7_P12ihipStream_tbENKUlT_T0_SN_SS_E_clISG_SG_SI_SI_EEDaS16_S17_SN_SS_EUlS16_E_NS1_11comp_targetILNS1_3genE10ELNS1_11target_archE1201ELNS1_3gpuE5ELNS1_3repE0EEENS1_47radix_sort_onesweep_sort_config_static_selectorELNS0_4arch9wavefront6targetE0EEEvSN_.uses_vcc, 1
	.set _ZN7rocprim17ROCPRIM_400000_NS6detail17trampoline_kernelINS0_14default_configENS1_35radix_sort_onesweep_config_selectorIjN6thrust23THRUST_200600_302600_NS5tupleIffNS6_9null_typeES8_S8_S8_S8_S8_S8_S8_EEEEZZNS1_29radix_sort_onesweep_iterationIS3_Lb0ENS6_6detail15normal_iteratorINS6_10device_ptrIjEEEESG_NSD_INSE_IS9_EEEESI_jNS0_19identity_decomposerENS1_16block_id_wrapperIjLb1EEEEE10hipError_tT1_PNSt15iterator_traitsISN_E10value_typeET2_T3_PNSO_IST_E10value_typeET4_T5_PSY_SZ_PNS1_23onesweep_lookback_stateEbbT6_jjT7_P12ihipStream_tbENKUlT_T0_SN_SS_E_clISG_SG_SI_SI_EEDaS16_S17_SN_SS_EUlS16_E_NS1_11comp_targetILNS1_3genE10ELNS1_11target_archE1201ELNS1_3gpuE5ELNS1_3repE0EEENS1_47radix_sort_onesweep_sort_config_static_selectorELNS0_4arch9wavefront6targetE0EEEvSN_.uses_flat_scratch, 1
	.set _ZN7rocprim17ROCPRIM_400000_NS6detail17trampoline_kernelINS0_14default_configENS1_35radix_sort_onesweep_config_selectorIjN6thrust23THRUST_200600_302600_NS5tupleIffNS6_9null_typeES8_S8_S8_S8_S8_S8_S8_EEEEZZNS1_29radix_sort_onesweep_iterationIS3_Lb0ENS6_6detail15normal_iteratorINS6_10device_ptrIjEEEESG_NSD_INSE_IS9_EEEESI_jNS0_19identity_decomposerENS1_16block_id_wrapperIjLb1EEEEE10hipError_tT1_PNSt15iterator_traitsISN_E10value_typeET2_T3_PNSO_IST_E10value_typeET4_T5_PSY_SZ_PNS1_23onesweep_lookback_stateEbbT6_jjT7_P12ihipStream_tbENKUlT_T0_SN_SS_E_clISG_SG_SI_SI_EEDaS16_S17_SN_SS_EUlS16_E_NS1_11comp_targetILNS1_3genE10ELNS1_11target_archE1201ELNS1_3gpuE5ELNS1_3repE0EEENS1_47radix_sort_onesweep_sort_config_static_selectorELNS0_4arch9wavefront6targetE0EEEvSN_.has_dyn_sized_stack, 0
	.set _ZN7rocprim17ROCPRIM_400000_NS6detail17trampoline_kernelINS0_14default_configENS1_35radix_sort_onesweep_config_selectorIjN6thrust23THRUST_200600_302600_NS5tupleIffNS6_9null_typeES8_S8_S8_S8_S8_S8_S8_EEEEZZNS1_29radix_sort_onesweep_iterationIS3_Lb0ENS6_6detail15normal_iteratorINS6_10device_ptrIjEEEESG_NSD_INSE_IS9_EEEESI_jNS0_19identity_decomposerENS1_16block_id_wrapperIjLb1EEEEE10hipError_tT1_PNSt15iterator_traitsISN_E10value_typeET2_T3_PNSO_IST_E10value_typeET4_T5_PSY_SZ_PNS1_23onesweep_lookback_stateEbbT6_jjT7_P12ihipStream_tbENKUlT_T0_SN_SS_E_clISG_SG_SI_SI_EEDaS16_S17_SN_SS_EUlS16_E_NS1_11comp_targetILNS1_3genE10ELNS1_11target_archE1201ELNS1_3gpuE5ELNS1_3repE0EEENS1_47radix_sort_onesweep_sort_config_static_selectorELNS0_4arch9wavefront6targetE0EEEvSN_.has_recursion, 0
	.set _ZN7rocprim17ROCPRIM_400000_NS6detail17trampoline_kernelINS0_14default_configENS1_35radix_sort_onesweep_config_selectorIjN6thrust23THRUST_200600_302600_NS5tupleIffNS6_9null_typeES8_S8_S8_S8_S8_S8_S8_EEEEZZNS1_29radix_sort_onesweep_iterationIS3_Lb0ENS6_6detail15normal_iteratorINS6_10device_ptrIjEEEESG_NSD_INSE_IS9_EEEESI_jNS0_19identity_decomposerENS1_16block_id_wrapperIjLb1EEEEE10hipError_tT1_PNSt15iterator_traitsISN_E10value_typeET2_T3_PNSO_IST_E10value_typeET4_T5_PSY_SZ_PNS1_23onesweep_lookback_stateEbbT6_jjT7_P12ihipStream_tbENKUlT_T0_SN_SS_E_clISG_SG_SI_SI_EEDaS16_S17_SN_SS_EUlS16_E_NS1_11comp_targetILNS1_3genE10ELNS1_11target_archE1201ELNS1_3gpuE5ELNS1_3repE0EEENS1_47radix_sort_onesweep_sort_config_static_selectorELNS0_4arch9wavefront6targetE0EEEvSN_.has_indirect_call, 0
	.section	.AMDGPU.csdata,"",@progbits
; Kernel info:
; codeLenInByte = 22180
; TotalNumSgprs: 53
; NumVgprs: 82
; ScratchSize: 80
; MemoryBound: 0
; FloatMode: 240
; IeeeMode: 1
; LDSByteSize: 37000 bytes/workgroup (compile time only)
; SGPRBlocks: 0
; VGPRBlocks: 10
; NumSGPRsForWavesPerEU: 53
; NumVGPRsForWavesPerEU: 82
; Occupancy: 16
; WaveLimiterHint : 1
; COMPUTE_PGM_RSRC2:SCRATCH_EN: 1
; COMPUTE_PGM_RSRC2:USER_SGPR: 2
; COMPUTE_PGM_RSRC2:TRAP_HANDLER: 0
; COMPUTE_PGM_RSRC2:TGID_X_EN: 1
; COMPUTE_PGM_RSRC2:TGID_Y_EN: 0
; COMPUTE_PGM_RSRC2:TGID_Z_EN: 0
; COMPUTE_PGM_RSRC2:TIDIG_COMP_CNT: 2
	.section	.text._ZN7rocprim17ROCPRIM_400000_NS6detail17trampoline_kernelINS0_14default_configENS1_35radix_sort_onesweep_config_selectorIjN6thrust23THRUST_200600_302600_NS5tupleIffNS6_9null_typeES8_S8_S8_S8_S8_S8_S8_EEEEZZNS1_29radix_sort_onesweep_iterationIS3_Lb0ENS6_6detail15normal_iteratorINS6_10device_ptrIjEEEESG_NSD_INSE_IS9_EEEESI_jNS0_19identity_decomposerENS1_16block_id_wrapperIjLb1EEEEE10hipError_tT1_PNSt15iterator_traitsISN_E10value_typeET2_T3_PNSO_IST_E10value_typeET4_T5_PSY_SZ_PNS1_23onesweep_lookback_stateEbbT6_jjT7_P12ihipStream_tbENKUlT_T0_SN_SS_E_clISG_SG_SI_SI_EEDaS16_S17_SN_SS_EUlS16_E_NS1_11comp_targetILNS1_3genE9ELNS1_11target_archE1100ELNS1_3gpuE3ELNS1_3repE0EEENS1_47radix_sort_onesweep_sort_config_static_selectorELNS0_4arch9wavefront6targetE0EEEvSN_,"axG",@progbits,_ZN7rocprim17ROCPRIM_400000_NS6detail17trampoline_kernelINS0_14default_configENS1_35radix_sort_onesweep_config_selectorIjN6thrust23THRUST_200600_302600_NS5tupleIffNS6_9null_typeES8_S8_S8_S8_S8_S8_S8_EEEEZZNS1_29radix_sort_onesweep_iterationIS3_Lb0ENS6_6detail15normal_iteratorINS6_10device_ptrIjEEEESG_NSD_INSE_IS9_EEEESI_jNS0_19identity_decomposerENS1_16block_id_wrapperIjLb1EEEEE10hipError_tT1_PNSt15iterator_traitsISN_E10value_typeET2_T3_PNSO_IST_E10value_typeET4_T5_PSY_SZ_PNS1_23onesweep_lookback_stateEbbT6_jjT7_P12ihipStream_tbENKUlT_T0_SN_SS_E_clISG_SG_SI_SI_EEDaS16_S17_SN_SS_EUlS16_E_NS1_11comp_targetILNS1_3genE9ELNS1_11target_archE1100ELNS1_3gpuE3ELNS1_3repE0EEENS1_47radix_sort_onesweep_sort_config_static_selectorELNS0_4arch9wavefront6targetE0EEEvSN_,comdat
	.protected	_ZN7rocprim17ROCPRIM_400000_NS6detail17trampoline_kernelINS0_14default_configENS1_35radix_sort_onesweep_config_selectorIjN6thrust23THRUST_200600_302600_NS5tupleIffNS6_9null_typeES8_S8_S8_S8_S8_S8_S8_EEEEZZNS1_29radix_sort_onesweep_iterationIS3_Lb0ENS6_6detail15normal_iteratorINS6_10device_ptrIjEEEESG_NSD_INSE_IS9_EEEESI_jNS0_19identity_decomposerENS1_16block_id_wrapperIjLb1EEEEE10hipError_tT1_PNSt15iterator_traitsISN_E10value_typeET2_T3_PNSO_IST_E10value_typeET4_T5_PSY_SZ_PNS1_23onesweep_lookback_stateEbbT6_jjT7_P12ihipStream_tbENKUlT_T0_SN_SS_E_clISG_SG_SI_SI_EEDaS16_S17_SN_SS_EUlS16_E_NS1_11comp_targetILNS1_3genE9ELNS1_11target_archE1100ELNS1_3gpuE3ELNS1_3repE0EEENS1_47radix_sort_onesweep_sort_config_static_selectorELNS0_4arch9wavefront6targetE0EEEvSN_ ; -- Begin function _ZN7rocprim17ROCPRIM_400000_NS6detail17trampoline_kernelINS0_14default_configENS1_35radix_sort_onesweep_config_selectorIjN6thrust23THRUST_200600_302600_NS5tupleIffNS6_9null_typeES8_S8_S8_S8_S8_S8_S8_EEEEZZNS1_29radix_sort_onesweep_iterationIS3_Lb0ENS6_6detail15normal_iteratorINS6_10device_ptrIjEEEESG_NSD_INSE_IS9_EEEESI_jNS0_19identity_decomposerENS1_16block_id_wrapperIjLb1EEEEE10hipError_tT1_PNSt15iterator_traitsISN_E10value_typeET2_T3_PNSO_IST_E10value_typeET4_T5_PSY_SZ_PNS1_23onesweep_lookback_stateEbbT6_jjT7_P12ihipStream_tbENKUlT_T0_SN_SS_E_clISG_SG_SI_SI_EEDaS16_S17_SN_SS_EUlS16_E_NS1_11comp_targetILNS1_3genE9ELNS1_11target_archE1100ELNS1_3gpuE3ELNS1_3repE0EEENS1_47radix_sort_onesweep_sort_config_static_selectorELNS0_4arch9wavefront6targetE0EEEvSN_
	.globl	_ZN7rocprim17ROCPRIM_400000_NS6detail17trampoline_kernelINS0_14default_configENS1_35radix_sort_onesweep_config_selectorIjN6thrust23THRUST_200600_302600_NS5tupleIffNS6_9null_typeES8_S8_S8_S8_S8_S8_S8_EEEEZZNS1_29radix_sort_onesweep_iterationIS3_Lb0ENS6_6detail15normal_iteratorINS6_10device_ptrIjEEEESG_NSD_INSE_IS9_EEEESI_jNS0_19identity_decomposerENS1_16block_id_wrapperIjLb1EEEEE10hipError_tT1_PNSt15iterator_traitsISN_E10value_typeET2_T3_PNSO_IST_E10value_typeET4_T5_PSY_SZ_PNS1_23onesweep_lookback_stateEbbT6_jjT7_P12ihipStream_tbENKUlT_T0_SN_SS_E_clISG_SG_SI_SI_EEDaS16_S17_SN_SS_EUlS16_E_NS1_11comp_targetILNS1_3genE9ELNS1_11target_archE1100ELNS1_3gpuE3ELNS1_3repE0EEENS1_47radix_sort_onesweep_sort_config_static_selectorELNS0_4arch9wavefront6targetE0EEEvSN_
	.p2align	8
	.type	_ZN7rocprim17ROCPRIM_400000_NS6detail17trampoline_kernelINS0_14default_configENS1_35radix_sort_onesweep_config_selectorIjN6thrust23THRUST_200600_302600_NS5tupleIffNS6_9null_typeES8_S8_S8_S8_S8_S8_S8_EEEEZZNS1_29radix_sort_onesweep_iterationIS3_Lb0ENS6_6detail15normal_iteratorINS6_10device_ptrIjEEEESG_NSD_INSE_IS9_EEEESI_jNS0_19identity_decomposerENS1_16block_id_wrapperIjLb1EEEEE10hipError_tT1_PNSt15iterator_traitsISN_E10value_typeET2_T3_PNSO_IST_E10value_typeET4_T5_PSY_SZ_PNS1_23onesweep_lookback_stateEbbT6_jjT7_P12ihipStream_tbENKUlT_T0_SN_SS_E_clISG_SG_SI_SI_EEDaS16_S17_SN_SS_EUlS16_E_NS1_11comp_targetILNS1_3genE9ELNS1_11target_archE1100ELNS1_3gpuE3ELNS1_3repE0EEENS1_47radix_sort_onesweep_sort_config_static_selectorELNS0_4arch9wavefront6targetE0EEEvSN_,@function
_ZN7rocprim17ROCPRIM_400000_NS6detail17trampoline_kernelINS0_14default_configENS1_35radix_sort_onesweep_config_selectorIjN6thrust23THRUST_200600_302600_NS5tupleIffNS6_9null_typeES8_S8_S8_S8_S8_S8_S8_EEEEZZNS1_29radix_sort_onesweep_iterationIS3_Lb0ENS6_6detail15normal_iteratorINS6_10device_ptrIjEEEESG_NSD_INSE_IS9_EEEESI_jNS0_19identity_decomposerENS1_16block_id_wrapperIjLb1EEEEE10hipError_tT1_PNSt15iterator_traitsISN_E10value_typeET2_T3_PNSO_IST_E10value_typeET4_T5_PSY_SZ_PNS1_23onesweep_lookback_stateEbbT6_jjT7_P12ihipStream_tbENKUlT_T0_SN_SS_E_clISG_SG_SI_SI_EEDaS16_S17_SN_SS_EUlS16_E_NS1_11comp_targetILNS1_3genE9ELNS1_11target_archE1100ELNS1_3gpuE3ELNS1_3repE0EEENS1_47radix_sort_onesweep_sort_config_static_selectorELNS0_4arch9wavefront6targetE0EEEvSN_: ; @_ZN7rocprim17ROCPRIM_400000_NS6detail17trampoline_kernelINS0_14default_configENS1_35radix_sort_onesweep_config_selectorIjN6thrust23THRUST_200600_302600_NS5tupleIffNS6_9null_typeES8_S8_S8_S8_S8_S8_S8_EEEEZZNS1_29radix_sort_onesweep_iterationIS3_Lb0ENS6_6detail15normal_iteratorINS6_10device_ptrIjEEEESG_NSD_INSE_IS9_EEEESI_jNS0_19identity_decomposerENS1_16block_id_wrapperIjLb1EEEEE10hipError_tT1_PNSt15iterator_traitsISN_E10value_typeET2_T3_PNSO_IST_E10value_typeET4_T5_PSY_SZ_PNS1_23onesweep_lookback_stateEbbT6_jjT7_P12ihipStream_tbENKUlT_T0_SN_SS_E_clISG_SG_SI_SI_EEDaS16_S17_SN_SS_EUlS16_E_NS1_11comp_targetILNS1_3genE9ELNS1_11target_archE1100ELNS1_3gpuE3ELNS1_3repE0EEENS1_47radix_sort_onesweep_sort_config_static_selectorELNS0_4arch9wavefront6targetE0EEEvSN_
; %bb.0:
	.section	.rodata,"a",@progbits
	.p2align	6, 0x0
	.amdhsa_kernel _ZN7rocprim17ROCPRIM_400000_NS6detail17trampoline_kernelINS0_14default_configENS1_35radix_sort_onesweep_config_selectorIjN6thrust23THRUST_200600_302600_NS5tupleIffNS6_9null_typeES8_S8_S8_S8_S8_S8_S8_EEEEZZNS1_29radix_sort_onesweep_iterationIS3_Lb0ENS6_6detail15normal_iteratorINS6_10device_ptrIjEEEESG_NSD_INSE_IS9_EEEESI_jNS0_19identity_decomposerENS1_16block_id_wrapperIjLb1EEEEE10hipError_tT1_PNSt15iterator_traitsISN_E10value_typeET2_T3_PNSO_IST_E10value_typeET4_T5_PSY_SZ_PNS1_23onesweep_lookback_stateEbbT6_jjT7_P12ihipStream_tbENKUlT_T0_SN_SS_E_clISG_SG_SI_SI_EEDaS16_S17_SN_SS_EUlS16_E_NS1_11comp_targetILNS1_3genE9ELNS1_11target_archE1100ELNS1_3gpuE3ELNS1_3repE0EEENS1_47radix_sort_onesweep_sort_config_static_selectorELNS0_4arch9wavefront6targetE0EEEvSN_
		.amdhsa_group_segment_fixed_size 0
		.amdhsa_private_segment_fixed_size 0
		.amdhsa_kernarg_size 88
		.amdhsa_user_sgpr_count 2
		.amdhsa_user_sgpr_dispatch_ptr 0
		.amdhsa_user_sgpr_queue_ptr 0
		.amdhsa_user_sgpr_kernarg_segment_ptr 1
		.amdhsa_user_sgpr_dispatch_id 0
		.amdhsa_user_sgpr_private_segment_size 0
		.amdhsa_wavefront_size32 1
		.amdhsa_uses_dynamic_stack 0
		.amdhsa_enable_private_segment 0
		.amdhsa_system_sgpr_workgroup_id_x 1
		.amdhsa_system_sgpr_workgroup_id_y 0
		.amdhsa_system_sgpr_workgroup_id_z 0
		.amdhsa_system_sgpr_workgroup_info 0
		.amdhsa_system_vgpr_workitem_id 0
		.amdhsa_next_free_vgpr 1
		.amdhsa_next_free_sgpr 1
		.amdhsa_reserve_vcc 0
		.amdhsa_float_round_mode_32 0
		.amdhsa_float_round_mode_16_64 0
		.amdhsa_float_denorm_mode_32 3
		.amdhsa_float_denorm_mode_16_64 3
		.amdhsa_fp16_overflow 0
		.amdhsa_workgroup_processor_mode 1
		.amdhsa_memory_ordered 1
		.amdhsa_forward_progress 1
		.amdhsa_inst_pref_size 0
		.amdhsa_round_robin_scheduling 0
		.amdhsa_exception_fp_ieee_invalid_op 0
		.amdhsa_exception_fp_denorm_src 0
		.amdhsa_exception_fp_ieee_div_zero 0
		.amdhsa_exception_fp_ieee_overflow 0
		.amdhsa_exception_fp_ieee_underflow 0
		.amdhsa_exception_fp_ieee_inexact 0
		.amdhsa_exception_int_div_zero 0
	.end_amdhsa_kernel
	.section	.text._ZN7rocprim17ROCPRIM_400000_NS6detail17trampoline_kernelINS0_14default_configENS1_35radix_sort_onesweep_config_selectorIjN6thrust23THRUST_200600_302600_NS5tupleIffNS6_9null_typeES8_S8_S8_S8_S8_S8_S8_EEEEZZNS1_29radix_sort_onesweep_iterationIS3_Lb0ENS6_6detail15normal_iteratorINS6_10device_ptrIjEEEESG_NSD_INSE_IS9_EEEESI_jNS0_19identity_decomposerENS1_16block_id_wrapperIjLb1EEEEE10hipError_tT1_PNSt15iterator_traitsISN_E10value_typeET2_T3_PNSO_IST_E10value_typeET4_T5_PSY_SZ_PNS1_23onesweep_lookback_stateEbbT6_jjT7_P12ihipStream_tbENKUlT_T0_SN_SS_E_clISG_SG_SI_SI_EEDaS16_S17_SN_SS_EUlS16_E_NS1_11comp_targetILNS1_3genE9ELNS1_11target_archE1100ELNS1_3gpuE3ELNS1_3repE0EEENS1_47radix_sort_onesweep_sort_config_static_selectorELNS0_4arch9wavefront6targetE0EEEvSN_,"axG",@progbits,_ZN7rocprim17ROCPRIM_400000_NS6detail17trampoline_kernelINS0_14default_configENS1_35radix_sort_onesweep_config_selectorIjN6thrust23THRUST_200600_302600_NS5tupleIffNS6_9null_typeES8_S8_S8_S8_S8_S8_S8_EEEEZZNS1_29radix_sort_onesweep_iterationIS3_Lb0ENS6_6detail15normal_iteratorINS6_10device_ptrIjEEEESG_NSD_INSE_IS9_EEEESI_jNS0_19identity_decomposerENS1_16block_id_wrapperIjLb1EEEEE10hipError_tT1_PNSt15iterator_traitsISN_E10value_typeET2_T3_PNSO_IST_E10value_typeET4_T5_PSY_SZ_PNS1_23onesweep_lookback_stateEbbT6_jjT7_P12ihipStream_tbENKUlT_T0_SN_SS_E_clISG_SG_SI_SI_EEDaS16_S17_SN_SS_EUlS16_E_NS1_11comp_targetILNS1_3genE9ELNS1_11target_archE1100ELNS1_3gpuE3ELNS1_3repE0EEENS1_47radix_sort_onesweep_sort_config_static_selectorELNS0_4arch9wavefront6targetE0EEEvSN_,comdat
.Lfunc_end182:
	.size	_ZN7rocprim17ROCPRIM_400000_NS6detail17trampoline_kernelINS0_14default_configENS1_35radix_sort_onesweep_config_selectorIjN6thrust23THRUST_200600_302600_NS5tupleIffNS6_9null_typeES8_S8_S8_S8_S8_S8_S8_EEEEZZNS1_29radix_sort_onesweep_iterationIS3_Lb0ENS6_6detail15normal_iteratorINS6_10device_ptrIjEEEESG_NSD_INSE_IS9_EEEESI_jNS0_19identity_decomposerENS1_16block_id_wrapperIjLb1EEEEE10hipError_tT1_PNSt15iterator_traitsISN_E10value_typeET2_T3_PNSO_IST_E10value_typeET4_T5_PSY_SZ_PNS1_23onesweep_lookback_stateEbbT6_jjT7_P12ihipStream_tbENKUlT_T0_SN_SS_E_clISG_SG_SI_SI_EEDaS16_S17_SN_SS_EUlS16_E_NS1_11comp_targetILNS1_3genE9ELNS1_11target_archE1100ELNS1_3gpuE3ELNS1_3repE0EEENS1_47radix_sort_onesweep_sort_config_static_selectorELNS0_4arch9wavefront6targetE0EEEvSN_, .Lfunc_end182-_ZN7rocprim17ROCPRIM_400000_NS6detail17trampoline_kernelINS0_14default_configENS1_35radix_sort_onesweep_config_selectorIjN6thrust23THRUST_200600_302600_NS5tupleIffNS6_9null_typeES8_S8_S8_S8_S8_S8_S8_EEEEZZNS1_29radix_sort_onesweep_iterationIS3_Lb0ENS6_6detail15normal_iteratorINS6_10device_ptrIjEEEESG_NSD_INSE_IS9_EEEESI_jNS0_19identity_decomposerENS1_16block_id_wrapperIjLb1EEEEE10hipError_tT1_PNSt15iterator_traitsISN_E10value_typeET2_T3_PNSO_IST_E10value_typeET4_T5_PSY_SZ_PNS1_23onesweep_lookback_stateEbbT6_jjT7_P12ihipStream_tbENKUlT_T0_SN_SS_E_clISG_SG_SI_SI_EEDaS16_S17_SN_SS_EUlS16_E_NS1_11comp_targetILNS1_3genE9ELNS1_11target_archE1100ELNS1_3gpuE3ELNS1_3repE0EEENS1_47radix_sort_onesweep_sort_config_static_selectorELNS0_4arch9wavefront6targetE0EEEvSN_
                                        ; -- End function
	.set _ZN7rocprim17ROCPRIM_400000_NS6detail17trampoline_kernelINS0_14default_configENS1_35radix_sort_onesweep_config_selectorIjN6thrust23THRUST_200600_302600_NS5tupleIffNS6_9null_typeES8_S8_S8_S8_S8_S8_S8_EEEEZZNS1_29radix_sort_onesweep_iterationIS3_Lb0ENS6_6detail15normal_iteratorINS6_10device_ptrIjEEEESG_NSD_INSE_IS9_EEEESI_jNS0_19identity_decomposerENS1_16block_id_wrapperIjLb1EEEEE10hipError_tT1_PNSt15iterator_traitsISN_E10value_typeET2_T3_PNSO_IST_E10value_typeET4_T5_PSY_SZ_PNS1_23onesweep_lookback_stateEbbT6_jjT7_P12ihipStream_tbENKUlT_T0_SN_SS_E_clISG_SG_SI_SI_EEDaS16_S17_SN_SS_EUlS16_E_NS1_11comp_targetILNS1_3genE9ELNS1_11target_archE1100ELNS1_3gpuE3ELNS1_3repE0EEENS1_47radix_sort_onesweep_sort_config_static_selectorELNS0_4arch9wavefront6targetE0EEEvSN_.num_vgpr, 0
	.set _ZN7rocprim17ROCPRIM_400000_NS6detail17trampoline_kernelINS0_14default_configENS1_35radix_sort_onesweep_config_selectorIjN6thrust23THRUST_200600_302600_NS5tupleIffNS6_9null_typeES8_S8_S8_S8_S8_S8_S8_EEEEZZNS1_29radix_sort_onesweep_iterationIS3_Lb0ENS6_6detail15normal_iteratorINS6_10device_ptrIjEEEESG_NSD_INSE_IS9_EEEESI_jNS0_19identity_decomposerENS1_16block_id_wrapperIjLb1EEEEE10hipError_tT1_PNSt15iterator_traitsISN_E10value_typeET2_T3_PNSO_IST_E10value_typeET4_T5_PSY_SZ_PNS1_23onesweep_lookback_stateEbbT6_jjT7_P12ihipStream_tbENKUlT_T0_SN_SS_E_clISG_SG_SI_SI_EEDaS16_S17_SN_SS_EUlS16_E_NS1_11comp_targetILNS1_3genE9ELNS1_11target_archE1100ELNS1_3gpuE3ELNS1_3repE0EEENS1_47radix_sort_onesweep_sort_config_static_selectorELNS0_4arch9wavefront6targetE0EEEvSN_.num_agpr, 0
	.set _ZN7rocprim17ROCPRIM_400000_NS6detail17trampoline_kernelINS0_14default_configENS1_35radix_sort_onesweep_config_selectorIjN6thrust23THRUST_200600_302600_NS5tupleIffNS6_9null_typeES8_S8_S8_S8_S8_S8_S8_EEEEZZNS1_29radix_sort_onesweep_iterationIS3_Lb0ENS6_6detail15normal_iteratorINS6_10device_ptrIjEEEESG_NSD_INSE_IS9_EEEESI_jNS0_19identity_decomposerENS1_16block_id_wrapperIjLb1EEEEE10hipError_tT1_PNSt15iterator_traitsISN_E10value_typeET2_T3_PNSO_IST_E10value_typeET4_T5_PSY_SZ_PNS1_23onesweep_lookback_stateEbbT6_jjT7_P12ihipStream_tbENKUlT_T0_SN_SS_E_clISG_SG_SI_SI_EEDaS16_S17_SN_SS_EUlS16_E_NS1_11comp_targetILNS1_3genE9ELNS1_11target_archE1100ELNS1_3gpuE3ELNS1_3repE0EEENS1_47radix_sort_onesweep_sort_config_static_selectorELNS0_4arch9wavefront6targetE0EEEvSN_.numbered_sgpr, 0
	.set _ZN7rocprim17ROCPRIM_400000_NS6detail17trampoline_kernelINS0_14default_configENS1_35radix_sort_onesweep_config_selectorIjN6thrust23THRUST_200600_302600_NS5tupleIffNS6_9null_typeES8_S8_S8_S8_S8_S8_S8_EEEEZZNS1_29radix_sort_onesweep_iterationIS3_Lb0ENS6_6detail15normal_iteratorINS6_10device_ptrIjEEEESG_NSD_INSE_IS9_EEEESI_jNS0_19identity_decomposerENS1_16block_id_wrapperIjLb1EEEEE10hipError_tT1_PNSt15iterator_traitsISN_E10value_typeET2_T3_PNSO_IST_E10value_typeET4_T5_PSY_SZ_PNS1_23onesweep_lookback_stateEbbT6_jjT7_P12ihipStream_tbENKUlT_T0_SN_SS_E_clISG_SG_SI_SI_EEDaS16_S17_SN_SS_EUlS16_E_NS1_11comp_targetILNS1_3genE9ELNS1_11target_archE1100ELNS1_3gpuE3ELNS1_3repE0EEENS1_47radix_sort_onesweep_sort_config_static_selectorELNS0_4arch9wavefront6targetE0EEEvSN_.num_named_barrier, 0
	.set _ZN7rocprim17ROCPRIM_400000_NS6detail17trampoline_kernelINS0_14default_configENS1_35radix_sort_onesweep_config_selectorIjN6thrust23THRUST_200600_302600_NS5tupleIffNS6_9null_typeES8_S8_S8_S8_S8_S8_S8_EEEEZZNS1_29radix_sort_onesweep_iterationIS3_Lb0ENS6_6detail15normal_iteratorINS6_10device_ptrIjEEEESG_NSD_INSE_IS9_EEEESI_jNS0_19identity_decomposerENS1_16block_id_wrapperIjLb1EEEEE10hipError_tT1_PNSt15iterator_traitsISN_E10value_typeET2_T3_PNSO_IST_E10value_typeET4_T5_PSY_SZ_PNS1_23onesweep_lookback_stateEbbT6_jjT7_P12ihipStream_tbENKUlT_T0_SN_SS_E_clISG_SG_SI_SI_EEDaS16_S17_SN_SS_EUlS16_E_NS1_11comp_targetILNS1_3genE9ELNS1_11target_archE1100ELNS1_3gpuE3ELNS1_3repE0EEENS1_47radix_sort_onesweep_sort_config_static_selectorELNS0_4arch9wavefront6targetE0EEEvSN_.private_seg_size, 0
	.set _ZN7rocprim17ROCPRIM_400000_NS6detail17trampoline_kernelINS0_14default_configENS1_35radix_sort_onesweep_config_selectorIjN6thrust23THRUST_200600_302600_NS5tupleIffNS6_9null_typeES8_S8_S8_S8_S8_S8_S8_EEEEZZNS1_29radix_sort_onesweep_iterationIS3_Lb0ENS6_6detail15normal_iteratorINS6_10device_ptrIjEEEESG_NSD_INSE_IS9_EEEESI_jNS0_19identity_decomposerENS1_16block_id_wrapperIjLb1EEEEE10hipError_tT1_PNSt15iterator_traitsISN_E10value_typeET2_T3_PNSO_IST_E10value_typeET4_T5_PSY_SZ_PNS1_23onesweep_lookback_stateEbbT6_jjT7_P12ihipStream_tbENKUlT_T0_SN_SS_E_clISG_SG_SI_SI_EEDaS16_S17_SN_SS_EUlS16_E_NS1_11comp_targetILNS1_3genE9ELNS1_11target_archE1100ELNS1_3gpuE3ELNS1_3repE0EEENS1_47radix_sort_onesweep_sort_config_static_selectorELNS0_4arch9wavefront6targetE0EEEvSN_.uses_vcc, 0
	.set _ZN7rocprim17ROCPRIM_400000_NS6detail17trampoline_kernelINS0_14default_configENS1_35radix_sort_onesweep_config_selectorIjN6thrust23THRUST_200600_302600_NS5tupleIffNS6_9null_typeES8_S8_S8_S8_S8_S8_S8_EEEEZZNS1_29radix_sort_onesweep_iterationIS3_Lb0ENS6_6detail15normal_iteratorINS6_10device_ptrIjEEEESG_NSD_INSE_IS9_EEEESI_jNS0_19identity_decomposerENS1_16block_id_wrapperIjLb1EEEEE10hipError_tT1_PNSt15iterator_traitsISN_E10value_typeET2_T3_PNSO_IST_E10value_typeET4_T5_PSY_SZ_PNS1_23onesweep_lookback_stateEbbT6_jjT7_P12ihipStream_tbENKUlT_T0_SN_SS_E_clISG_SG_SI_SI_EEDaS16_S17_SN_SS_EUlS16_E_NS1_11comp_targetILNS1_3genE9ELNS1_11target_archE1100ELNS1_3gpuE3ELNS1_3repE0EEENS1_47radix_sort_onesweep_sort_config_static_selectorELNS0_4arch9wavefront6targetE0EEEvSN_.uses_flat_scratch, 0
	.set _ZN7rocprim17ROCPRIM_400000_NS6detail17trampoline_kernelINS0_14default_configENS1_35radix_sort_onesweep_config_selectorIjN6thrust23THRUST_200600_302600_NS5tupleIffNS6_9null_typeES8_S8_S8_S8_S8_S8_S8_EEEEZZNS1_29radix_sort_onesweep_iterationIS3_Lb0ENS6_6detail15normal_iteratorINS6_10device_ptrIjEEEESG_NSD_INSE_IS9_EEEESI_jNS0_19identity_decomposerENS1_16block_id_wrapperIjLb1EEEEE10hipError_tT1_PNSt15iterator_traitsISN_E10value_typeET2_T3_PNSO_IST_E10value_typeET4_T5_PSY_SZ_PNS1_23onesweep_lookback_stateEbbT6_jjT7_P12ihipStream_tbENKUlT_T0_SN_SS_E_clISG_SG_SI_SI_EEDaS16_S17_SN_SS_EUlS16_E_NS1_11comp_targetILNS1_3genE9ELNS1_11target_archE1100ELNS1_3gpuE3ELNS1_3repE0EEENS1_47radix_sort_onesweep_sort_config_static_selectorELNS0_4arch9wavefront6targetE0EEEvSN_.has_dyn_sized_stack, 0
	.set _ZN7rocprim17ROCPRIM_400000_NS6detail17trampoline_kernelINS0_14default_configENS1_35radix_sort_onesweep_config_selectorIjN6thrust23THRUST_200600_302600_NS5tupleIffNS6_9null_typeES8_S8_S8_S8_S8_S8_S8_EEEEZZNS1_29radix_sort_onesweep_iterationIS3_Lb0ENS6_6detail15normal_iteratorINS6_10device_ptrIjEEEESG_NSD_INSE_IS9_EEEESI_jNS0_19identity_decomposerENS1_16block_id_wrapperIjLb1EEEEE10hipError_tT1_PNSt15iterator_traitsISN_E10value_typeET2_T3_PNSO_IST_E10value_typeET4_T5_PSY_SZ_PNS1_23onesweep_lookback_stateEbbT6_jjT7_P12ihipStream_tbENKUlT_T0_SN_SS_E_clISG_SG_SI_SI_EEDaS16_S17_SN_SS_EUlS16_E_NS1_11comp_targetILNS1_3genE9ELNS1_11target_archE1100ELNS1_3gpuE3ELNS1_3repE0EEENS1_47radix_sort_onesweep_sort_config_static_selectorELNS0_4arch9wavefront6targetE0EEEvSN_.has_recursion, 0
	.set _ZN7rocprim17ROCPRIM_400000_NS6detail17trampoline_kernelINS0_14default_configENS1_35radix_sort_onesweep_config_selectorIjN6thrust23THRUST_200600_302600_NS5tupleIffNS6_9null_typeES8_S8_S8_S8_S8_S8_S8_EEEEZZNS1_29radix_sort_onesweep_iterationIS3_Lb0ENS6_6detail15normal_iteratorINS6_10device_ptrIjEEEESG_NSD_INSE_IS9_EEEESI_jNS0_19identity_decomposerENS1_16block_id_wrapperIjLb1EEEEE10hipError_tT1_PNSt15iterator_traitsISN_E10value_typeET2_T3_PNSO_IST_E10value_typeET4_T5_PSY_SZ_PNS1_23onesweep_lookback_stateEbbT6_jjT7_P12ihipStream_tbENKUlT_T0_SN_SS_E_clISG_SG_SI_SI_EEDaS16_S17_SN_SS_EUlS16_E_NS1_11comp_targetILNS1_3genE9ELNS1_11target_archE1100ELNS1_3gpuE3ELNS1_3repE0EEENS1_47radix_sort_onesweep_sort_config_static_selectorELNS0_4arch9wavefront6targetE0EEEvSN_.has_indirect_call, 0
	.section	.AMDGPU.csdata,"",@progbits
; Kernel info:
; codeLenInByte = 0
; TotalNumSgprs: 0
; NumVgprs: 0
; ScratchSize: 0
; MemoryBound: 0
; FloatMode: 240
; IeeeMode: 1
; LDSByteSize: 0 bytes/workgroup (compile time only)
; SGPRBlocks: 0
; VGPRBlocks: 0
; NumSGPRsForWavesPerEU: 1
; NumVGPRsForWavesPerEU: 1
; Occupancy: 16
; WaveLimiterHint : 0
; COMPUTE_PGM_RSRC2:SCRATCH_EN: 0
; COMPUTE_PGM_RSRC2:USER_SGPR: 2
; COMPUTE_PGM_RSRC2:TRAP_HANDLER: 0
; COMPUTE_PGM_RSRC2:TGID_X_EN: 1
; COMPUTE_PGM_RSRC2:TGID_Y_EN: 0
; COMPUTE_PGM_RSRC2:TGID_Z_EN: 0
; COMPUTE_PGM_RSRC2:TIDIG_COMP_CNT: 0
	.section	.text._ZN7rocprim17ROCPRIM_400000_NS6detail17trampoline_kernelINS0_14default_configENS1_35radix_sort_onesweep_config_selectorIjN6thrust23THRUST_200600_302600_NS5tupleIffNS6_9null_typeES8_S8_S8_S8_S8_S8_S8_EEEEZZNS1_29radix_sort_onesweep_iterationIS3_Lb0ENS6_6detail15normal_iteratorINS6_10device_ptrIjEEEESG_NSD_INSE_IS9_EEEESI_jNS0_19identity_decomposerENS1_16block_id_wrapperIjLb1EEEEE10hipError_tT1_PNSt15iterator_traitsISN_E10value_typeET2_T3_PNSO_IST_E10value_typeET4_T5_PSY_SZ_PNS1_23onesweep_lookback_stateEbbT6_jjT7_P12ihipStream_tbENKUlT_T0_SN_SS_E_clISG_SG_SI_SI_EEDaS16_S17_SN_SS_EUlS16_E_NS1_11comp_targetILNS1_3genE8ELNS1_11target_archE1030ELNS1_3gpuE2ELNS1_3repE0EEENS1_47radix_sort_onesweep_sort_config_static_selectorELNS0_4arch9wavefront6targetE0EEEvSN_,"axG",@progbits,_ZN7rocprim17ROCPRIM_400000_NS6detail17trampoline_kernelINS0_14default_configENS1_35radix_sort_onesweep_config_selectorIjN6thrust23THRUST_200600_302600_NS5tupleIffNS6_9null_typeES8_S8_S8_S8_S8_S8_S8_EEEEZZNS1_29radix_sort_onesweep_iterationIS3_Lb0ENS6_6detail15normal_iteratorINS6_10device_ptrIjEEEESG_NSD_INSE_IS9_EEEESI_jNS0_19identity_decomposerENS1_16block_id_wrapperIjLb1EEEEE10hipError_tT1_PNSt15iterator_traitsISN_E10value_typeET2_T3_PNSO_IST_E10value_typeET4_T5_PSY_SZ_PNS1_23onesweep_lookback_stateEbbT6_jjT7_P12ihipStream_tbENKUlT_T0_SN_SS_E_clISG_SG_SI_SI_EEDaS16_S17_SN_SS_EUlS16_E_NS1_11comp_targetILNS1_3genE8ELNS1_11target_archE1030ELNS1_3gpuE2ELNS1_3repE0EEENS1_47radix_sort_onesweep_sort_config_static_selectorELNS0_4arch9wavefront6targetE0EEEvSN_,comdat
	.protected	_ZN7rocprim17ROCPRIM_400000_NS6detail17trampoline_kernelINS0_14default_configENS1_35radix_sort_onesweep_config_selectorIjN6thrust23THRUST_200600_302600_NS5tupleIffNS6_9null_typeES8_S8_S8_S8_S8_S8_S8_EEEEZZNS1_29radix_sort_onesweep_iterationIS3_Lb0ENS6_6detail15normal_iteratorINS6_10device_ptrIjEEEESG_NSD_INSE_IS9_EEEESI_jNS0_19identity_decomposerENS1_16block_id_wrapperIjLb1EEEEE10hipError_tT1_PNSt15iterator_traitsISN_E10value_typeET2_T3_PNSO_IST_E10value_typeET4_T5_PSY_SZ_PNS1_23onesweep_lookback_stateEbbT6_jjT7_P12ihipStream_tbENKUlT_T0_SN_SS_E_clISG_SG_SI_SI_EEDaS16_S17_SN_SS_EUlS16_E_NS1_11comp_targetILNS1_3genE8ELNS1_11target_archE1030ELNS1_3gpuE2ELNS1_3repE0EEENS1_47radix_sort_onesweep_sort_config_static_selectorELNS0_4arch9wavefront6targetE0EEEvSN_ ; -- Begin function _ZN7rocprim17ROCPRIM_400000_NS6detail17trampoline_kernelINS0_14default_configENS1_35radix_sort_onesweep_config_selectorIjN6thrust23THRUST_200600_302600_NS5tupleIffNS6_9null_typeES8_S8_S8_S8_S8_S8_S8_EEEEZZNS1_29radix_sort_onesweep_iterationIS3_Lb0ENS6_6detail15normal_iteratorINS6_10device_ptrIjEEEESG_NSD_INSE_IS9_EEEESI_jNS0_19identity_decomposerENS1_16block_id_wrapperIjLb1EEEEE10hipError_tT1_PNSt15iterator_traitsISN_E10value_typeET2_T3_PNSO_IST_E10value_typeET4_T5_PSY_SZ_PNS1_23onesweep_lookback_stateEbbT6_jjT7_P12ihipStream_tbENKUlT_T0_SN_SS_E_clISG_SG_SI_SI_EEDaS16_S17_SN_SS_EUlS16_E_NS1_11comp_targetILNS1_3genE8ELNS1_11target_archE1030ELNS1_3gpuE2ELNS1_3repE0EEENS1_47radix_sort_onesweep_sort_config_static_selectorELNS0_4arch9wavefront6targetE0EEEvSN_
	.globl	_ZN7rocprim17ROCPRIM_400000_NS6detail17trampoline_kernelINS0_14default_configENS1_35radix_sort_onesweep_config_selectorIjN6thrust23THRUST_200600_302600_NS5tupleIffNS6_9null_typeES8_S8_S8_S8_S8_S8_S8_EEEEZZNS1_29radix_sort_onesweep_iterationIS3_Lb0ENS6_6detail15normal_iteratorINS6_10device_ptrIjEEEESG_NSD_INSE_IS9_EEEESI_jNS0_19identity_decomposerENS1_16block_id_wrapperIjLb1EEEEE10hipError_tT1_PNSt15iterator_traitsISN_E10value_typeET2_T3_PNSO_IST_E10value_typeET4_T5_PSY_SZ_PNS1_23onesweep_lookback_stateEbbT6_jjT7_P12ihipStream_tbENKUlT_T0_SN_SS_E_clISG_SG_SI_SI_EEDaS16_S17_SN_SS_EUlS16_E_NS1_11comp_targetILNS1_3genE8ELNS1_11target_archE1030ELNS1_3gpuE2ELNS1_3repE0EEENS1_47radix_sort_onesweep_sort_config_static_selectorELNS0_4arch9wavefront6targetE0EEEvSN_
	.p2align	8
	.type	_ZN7rocprim17ROCPRIM_400000_NS6detail17trampoline_kernelINS0_14default_configENS1_35radix_sort_onesweep_config_selectorIjN6thrust23THRUST_200600_302600_NS5tupleIffNS6_9null_typeES8_S8_S8_S8_S8_S8_S8_EEEEZZNS1_29radix_sort_onesweep_iterationIS3_Lb0ENS6_6detail15normal_iteratorINS6_10device_ptrIjEEEESG_NSD_INSE_IS9_EEEESI_jNS0_19identity_decomposerENS1_16block_id_wrapperIjLb1EEEEE10hipError_tT1_PNSt15iterator_traitsISN_E10value_typeET2_T3_PNSO_IST_E10value_typeET4_T5_PSY_SZ_PNS1_23onesweep_lookback_stateEbbT6_jjT7_P12ihipStream_tbENKUlT_T0_SN_SS_E_clISG_SG_SI_SI_EEDaS16_S17_SN_SS_EUlS16_E_NS1_11comp_targetILNS1_3genE8ELNS1_11target_archE1030ELNS1_3gpuE2ELNS1_3repE0EEENS1_47radix_sort_onesweep_sort_config_static_selectorELNS0_4arch9wavefront6targetE0EEEvSN_,@function
_ZN7rocprim17ROCPRIM_400000_NS6detail17trampoline_kernelINS0_14default_configENS1_35radix_sort_onesweep_config_selectorIjN6thrust23THRUST_200600_302600_NS5tupleIffNS6_9null_typeES8_S8_S8_S8_S8_S8_S8_EEEEZZNS1_29radix_sort_onesweep_iterationIS3_Lb0ENS6_6detail15normal_iteratorINS6_10device_ptrIjEEEESG_NSD_INSE_IS9_EEEESI_jNS0_19identity_decomposerENS1_16block_id_wrapperIjLb1EEEEE10hipError_tT1_PNSt15iterator_traitsISN_E10value_typeET2_T3_PNSO_IST_E10value_typeET4_T5_PSY_SZ_PNS1_23onesweep_lookback_stateEbbT6_jjT7_P12ihipStream_tbENKUlT_T0_SN_SS_E_clISG_SG_SI_SI_EEDaS16_S17_SN_SS_EUlS16_E_NS1_11comp_targetILNS1_3genE8ELNS1_11target_archE1030ELNS1_3gpuE2ELNS1_3repE0EEENS1_47radix_sort_onesweep_sort_config_static_selectorELNS0_4arch9wavefront6targetE0EEEvSN_: ; @_ZN7rocprim17ROCPRIM_400000_NS6detail17trampoline_kernelINS0_14default_configENS1_35radix_sort_onesweep_config_selectorIjN6thrust23THRUST_200600_302600_NS5tupleIffNS6_9null_typeES8_S8_S8_S8_S8_S8_S8_EEEEZZNS1_29radix_sort_onesweep_iterationIS3_Lb0ENS6_6detail15normal_iteratorINS6_10device_ptrIjEEEESG_NSD_INSE_IS9_EEEESI_jNS0_19identity_decomposerENS1_16block_id_wrapperIjLb1EEEEE10hipError_tT1_PNSt15iterator_traitsISN_E10value_typeET2_T3_PNSO_IST_E10value_typeET4_T5_PSY_SZ_PNS1_23onesweep_lookback_stateEbbT6_jjT7_P12ihipStream_tbENKUlT_T0_SN_SS_E_clISG_SG_SI_SI_EEDaS16_S17_SN_SS_EUlS16_E_NS1_11comp_targetILNS1_3genE8ELNS1_11target_archE1030ELNS1_3gpuE2ELNS1_3repE0EEENS1_47radix_sort_onesweep_sort_config_static_selectorELNS0_4arch9wavefront6targetE0EEEvSN_
; %bb.0:
	.section	.rodata,"a",@progbits
	.p2align	6, 0x0
	.amdhsa_kernel _ZN7rocprim17ROCPRIM_400000_NS6detail17trampoline_kernelINS0_14default_configENS1_35radix_sort_onesweep_config_selectorIjN6thrust23THRUST_200600_302600_NS5tupleIffNS6_9null_typeES8_S8_S8_S8_S8_S8_S8_EEEEZZNS1_29radix_sort_onesweep_iterationIS3_Lb0ENS6_6detail15normal_iteratorINS6_10device_ptrIjEEEESG_NSD_INSE_IS9_EEEESI_jNS0_19identity_decomposerENS1_16block_id_wrapperIjLb1EEEEE10hipError_tT1_PNSt15iterator_traitsISN_E10value_typeET2_T3_PNSO_IST_E10value_typeET4_T5_PSY_SZ_PNS1_23onesweep_lookback_stateEbbT6_jjT7_P12ihipStream_tbENKUlT_T0_SN_SS_E_clISG_SG_SI_SI_EEDaS16_S17_SN_SS_EUlS16_E_NS1_11comp_targetILNS1_3genE8ELNS1_11target_archE1030ELNS1_3gpuE2ELNS1_3repE0EEENS1_47radix_sort_onesweep_sort_config_static_selectorELNS0_4arch9wavefront6targetE0EEEvSN_
		.amdhsa_group_segment_fixed_size 0
		.amdhsa_private_segment_fixed_size 0
		.amdhsa_kernarg_size 88
		.amdhsa_user_sgpr_count 2
		.amdhsa_user_sgpr_dispatch_ptr 0
		.amdhsa_user_sgpr_queue_ptr 0
		.amdhsa_user_sgpr_kernarg_segment_ptr 1
		.amdhsa_user_sgpr_dispatch_id 0
		.amdhsa_user_sgpr_private_segment_size 0
		.amdhsa_wavefront_size32 1
		.amdhsa_uses_dynamic_stack 0
		.amdhsa_enable_private_segment 0
		.amdhsa_system_sgpr_workgroup_id_x 1
		.amdhsa_system_sgpr_workgroup_id_y 0
		.amdhsa_system_sgpr_workgroup_id_z 0
		.amdhsa_system_sgpr_workgroup_info 0
		.amdhsa_system_vgpr_workitem_id 0
		.amdhsa_next_free_vgpr 1
		.amdhsa_next_free_sgpr 1
		.amdhsa_reserve_vcc 0
		.amdhsa_float_round_mode_32 0
		.amdhsa_float_round_mode_16_64 0
		.amdhsa_float_denorm_mode_32 3
		.amdhsa_float_denorm_mode_16_64 3
		.amdhsa_fp16_overflow 0
		.amdhsa_workgroup_processor_mode 1
		.amdhsa_memory_ordered 1
		.amdhsa_forward_progress 1
		.amdhsa_inst_pref_size 0
		.amdhsa_round_robin_scheduling 0
		.amdhsa_exception_fp_ieee_invalid_op 0
		.amdhsa_exception_fp_denorm_src 0
		.amdhsa_exception_fp_ieee_div_zero 0
		.amdhsa_exception_fp_ieee_overflow 0
		.amdhsa_exception_fp_ieee_underflow 0
		.amdhsa_exception_fp_ieee_inexact 0
		.amdhsa_exception_int_div_zero 0
	.end_amdhsa_kernel
	.section	.text._ZN7rocprim17ROCPRIM_400000_NS6detail17trampoline_kernelINS0_14default_configENS1_35radix_sort_onesweep_config_selectorIjN6thrust23THRUST_200600_302600_NS5tupleIffNS6_9null_typeES8_S8_S8_S8_S8_S8_S8_EEEEZZNS1_29radix_sort_onesweep_iterationIS3_Lb0ENS6_6detail15normal_iteratorINS6_10device_ptrIjEEEESG_NSD_INSE_IS9_EEEESI_jNS0_19identity_decomposerENS1_16block_id_wrapperIjLb1EEEEE10hipError_tT1_PNSt15iterator_traitsISN_E10value_typeET2_T3_PNSO_IST_E10value_typeET4_T5_PSY_SZ_PNS1_23onesweep_lookback_stateEbbT6_jjT7_P12ihipStream_tbENKUlT_T0_SN_SS_E_clISG_SG_SI_SI_EEDaS16_S17_SN_SS_EUlS16_E_NS1_11comp_targetILNS1_3genE8ELNS1_11target_archE1030ELNS1_3gpuE2ELNS1_3repE0EEENS1_47radix_sort_onesweep_sort_config_static_selectorELNS0_4arch9wavefront6targetE0EEEvSN_,"axG",@progbits,_ZN7rocprim17ROCPRIM_400000_NS6detail17trampoline_kernelINS0_14default_configENS1_35radix_sort_onesweep_config_selectorIjN6thrust23THRUST_200600_302600_NS5tupleIffNS6_9null_typeES8_S8_S8_S8_S8_S8_S8_EEEEZZNS1_29radix_sort_onesweep_iterationIS3_Lb0ENS6_6detail15normal_iteratorINS6_10device_ptrIjEEEESG_NSD_INSE_IS9_EEEESI_jNS0_19identity_decomposerENS1_16block_id_wrapperIjLb1EEEEE10hipError_tT1_PNSt15iterator_traitsISN_E10value_typeET2_T3_PNSO_IST_E10value_typeET4_T5_PSY_SZ_PNS1_23onesweep_lookback_stateEbbT6_jjT7_P12ihipStream_tbENKUlT_T0_SN_SS_E_clISG_SG_SI_SI_EEDaS16_S17_SN_SS_EUlS16_E_NS1_11comp_targetILNS1_3genE8ELNS1_11target_archE1030ELNS1_3gpuE2ELNS1_3repE0EEENS1_47radix_sort_onesweep_sort_config_static_selectorELNS0_4arch9wavefront6targetE0EEEvSN_,comdat
.Lfunc_end183:
	.size	_ZN7rocprim17ROCPRIM_400000_NS6detail17trampoline_kernelINS0_14default_configENS1_35radix_sort_onesweep_config_selectorIjN6thrust23THRUST_200600_302600_NS5tupleIffNS6_9null_typeES8_S8_S8_S8_S8_S8_S8_EEEEZZNS1_29radix_sort_onesweep_iterationIS3_Lb0ENS6_6detail15normal_iteratorINS6_10device_ptrIjEEEESG_NSD_INSE_IS9_EEEESI_jNS0_19identity_decomposerENS1_16block_id_wrapperIjLb1EEEEE10hipError_tT1_PNSt15iterator_traitsISN_E10value_typeET2_T3_PNSO_IST_E10value_typeET4_T5_PSY_SZ_PNS1_23onesweep_lookback_stateEbbT6_jjT7_P12ihipStream_tbENKUlT_T0_SN_SS_E_clISG_SG_SI_SI_EEDaS16_S17_SN_SS_EUlS16_E_NS1_11comp_targetILNS1_3genE8ELNS1_11target_archE1030ELNS1_3gpuE2ELNS1_3repE0EEENS1_47radix_sort_onesweep_sort_config_static_selectorELNS0_4arch9wavefront6targetE0EEEvSN_, .Lfunc_end183-_ZN7rocprim17ROCPRIM_400000_NS6detail17trampoline_kernelINS0_14default_configENS1_35radix_sort_onesweep_config_selectorIjN6thrust23THRUST_200600_302600_NS5tupleIffNS6_9null_typeES8_S8_S8_S8_S8_S8_S8_EEEEZZNS1_29radix_sort_onesweep_iterationIS3_Lb0ENS6_6detail15normal_iteratorINS6_10device_ptrIjEEEESG_NSD_INSE_IS9_EEEESI_jNS0_19identity_decomposerENS1_16block_id_wrapperIjLb1EEEEE10hipError_tT1_PNSt15iterator_traitsISN_E10value_typeET2_T3_PNSO_IST_E10value_typeET4_T5_PSY_SZ_PNS1_23onesweep_lookback_stateEbbT6_jjT7_P12ihipStream_tbENKUlT_T0_SN_SS_E_clISG_SG_SI_SI_EEDaS16_S17_SN_SS_EUlS16_E_NS1_11comp_targetILNS1_3genE8ELNS1_11target_archE1030ELNS1_3gpuE2ELNS1_3repE0EEENS1_47radix_sort_onesweep_sort_config_static_selectorELNS0_4arch9wavefront6targetE0EEEvSN_
                                        ; -- End function
	.set _ZN7rocprim17ROCPRIM_400000_NS6detail17trampoline_kernelINS0_14default_configENS1_35radix_sort_onesweep_config_selectorIjN6thrust23THRUST_200600_302600_NS5tupleIffNS6_9null_typeES8_S8_S8_S8_S8_S8_S8_EEEEZZNS1_29radix_sort_onesweep_iterationIS3_Lb0ENS6_6detail15normal_iteratorINS6_10device_ptrIjEEEESG_NSD_INSE_IS9_EEEESI_jNS0_19identity_decomposerENS1_16block_id_wrapperIjLb1EEEEE10hipError_tT1_PNSt15iterator_traitsISN_E10value_typeET2_T3_PNSO_IST_E10value_typeET4_T5_PSY_SZ_PNS1_23onesweep_lookback_stateEbbT6_jjT7_P12ihipStream_tbENKUlT_T0_SN_SS_E_clISG_SG_SI_SI_EEDaS16_S17_SN_SS_EUlS16_E_NS1_11comp_targetILNS1_3genE8ELNS1_11target_archE1030ELNS1_3gpuE2ELNS1_3repE0EEENS1_47radix_sort_onesweep_sort_config_static_selectorELNS0_4arch9wavefront6targetE0EEEvSN_.num_vgpr, 0
	.set _ZN7rocprim17ROCPRIM_400000_NS6detail17trampoline_kernelINS0_14default_configENS1_35radix_sort_onesweep_config_selectorIjN6thrust23THRUST_200600_302600_NS5tupleIffNS6_9null_typeES8_S8_S8_S8_S8_S8_S8_EEEEZZNS1_29radix_sort_onesweep_iterationIS3_Lb0ENS6_6detail15normal_iteratorINS6_10device_ptrIjEEEESG_NSD_INSE_IS9_EEEESI_jNS0_19identity_decomposerENS1_16block_id_wrapperIjLb1EEEEE10hipError_tT1_PNSt15iterator_traitsISN_E10value_typeET2_T3_PNSO_IST_E10value_typeET4_T5_PSY_SZ_PNS1_23onesweep_lookback_stateEbbT6_jjT7_P12ihipStream_tbENKUlT_T0_SN_SS_E_clISG_SG_SI_SI_EEDaS16_S17_SN_SS_EUlS16_E_NS1_11comp_targetILNS1_3genE8ELNS1_11target_archE1030ELNS1_3gpuE2ELNS1_3repE0EEENS1_47radix_sort_onesweep_sort_config_static_selectorELNS0_4arch9wavefront6targetE0EEEvSN_.num_agpr, 0
	.set _ZN7rocprim17ROCPRIM_400000_NS6detail17trampoline_kernelINS0_14default_configENS1_35radix_sort_onesweep_config_selectorIjN6thrust23THRUST_200600_302600_NS5tupleIffNS6_9null_typeES8_S8_S8_S8_S8_S8_S8_EEEEZZNS1_29radix_sort_onesweep_iterationIS3_Lb0ENS6_6detail15normal_iteratorINS6_10device_ptrIjEEEESG_NSD_INSE_IS9_EEEESI_jNS0_19identity_decomposerENS1_16block_id_wrapperIjLb1EEEEE10hipError_tT1_PNSt15iterator_traitsISN_E10value_typeET2_T3_PNSO_IST_E10value_typeET4_T5_PSY_SZ_PNS1_23onesweep_lookback_stateEbbT6_jjT7_P12ihipStream_tbENKUlT_T0_SN_SS_E_clISG_SG_SI_SI_EEDaS16_S17_SN_SS_EUlS16_E_NS1_11comp_targetILNS1_3genE8ELNS1_11target_archE1030ELNS1_3gpuE2ELNS1_3repE0EEENS1_47radix_sort_onesweep_sort_config_static_selectorELNS0_4arch9wavefront6targetE0EEEvSN_.numbered_sgpr, 0
	.set _ZN7rocprim17ROCPRIM_400000_NS6detail17trampoline_kernelINS0_14default_configENS1_35radix_sort_onesweep_config_selectorIjN6thrust23THRUST_200600_302600_NS5tupleIffNS6_9null_typeES8_S8_S8_S8_S8_S8_S8_EEEEZZNS1_29radix_sort_onesweep_iterationIS3_Lb0ENS6_6detail15normal_iteratorINS6_10device_ptrIjEEEESG_NSD_INSE_IS9_EEEESI_jNS0_19identity_decomposerENS1_16block_id_wrapperIjLb1EEEEE10hipError_tT1_PNSt15iterator_traitsISN_E10value_typeET2_T3_PNSO_IST_E10value_typeET4_T5_PSY_SZ_PNS1_23onesweep_lookback_stateEbbT6_jjT7_P12ihipStream_tbENKUlT_T0_SN_SS_E_clISG_SG_SI_SI_EEDaS16_S17_SN_SS_EUlS16_E_NS1_11comp_targetILNS1_3genE8ELNS1_11target_archE1030ELNS1_3gpuE2ELNS1_3repE0EEENS1_47radix_sort_onesweep_sort_config_static_selectorELNS0_4arch9wavefront6targetE0EEEvSN_.num_named_barrier, 0
	.set _ZN7rocprim17ROCPRIM_400000_NS6detail17trampoline_kernelINS0_14default_configENS1_35radix_sort_onesweep_config_selectorIjN6thrust23THRUST_200600_302600_NS5tupleIffNS6_9null_typeES8_S8_S8_S8_S8_S8_S8_EEEEZZNS1_29radix_sort_onesweep_iterationIS3_Lb0ENS6_6detail15normal_iteratorINS6_10device_ptrIjEEEESG_NSD_INSE_IS9_EEEESI_jNS0_19identity_decomposerENS1_16block_id_wrapperIjLb1EEEEE10hipError_tT1_PNSt15iterator_traitsISN_E10value_typeET2_T3_PNSO_IST_E10value_typeET4_T5_PSY_SZ_PNS1_23onesweep_lookback_stateEbbT6_jjT7_P12ihipStream_tbENKUlT_T0_SN_SS_E_clISG_SG_SI_SI_EEDaS16_S17_SN_SS_EUlS16_E_NS1_11comp_targetILNS1_3genE8ELNS1_11target_archE1030ELNS1_3gpuE2ELNS1_3repE0EEENS1_47radix_sort_onesweep_sort_config_static_selectorELNS0_4arch9wavefront6targetE0EEEvSN_.private_seg_size, 0
	.set _ZN7rocprim17ROCPRIM_400000_NS6detail17trampoline_kernelINS0_14default_configENS1_35radix_sort_onesweep_config_selectorIjN6thrust23THRUST_200600_302600_NS5tupleIffNS6_9null_typeES8_S8_S8_S8_S8_S8_S8_EEEEZZNS1_29radix_sort_onesweep_iterationIS3_Lb0ENS6_6detail15normal_iteratorINS6_10device_ptrIjEEEESG_NSD_INSE_IS9_EEEESI_jNS0_19identity_decomposerENS1_16block_id_wrapperIjLb1EEEEE10hipError_tT1_PNSt15iterator_traitsISN_E10value_typeET2_T3_PNSO_IST_E10value_typeET4_T5_PSY_SZ_PNS1_23onesweep_lookback_stateEbbT6_jjT7_P12ihipStream_tbENKUlT_T0_SN_SS_E_clISG_SG_SI_SI_EEDaS16_S17_SN_SS_EUlS16_E_NS1_11comp_targetILNS1_3genE8ELNS1_11target_archE1030ELNS1_3gpuE2ELNS1_3repE0EEENS1_47radix_sort_onesweep_sort_config_static_selectorELNS0_4arch9wavefront6targetE0EEEvSN_.uses_vcc, 0
	.set _ZN7rocprim17ROCPRIM_400000_NS6detail17trampoline_kernelINS0_14default_configENS1_35radix_sort_onesweep_config_selectorIjN6thrust23THRUST_200600_302600_NS5tupleIffNS6_9null_typeES8_S8_S8_S8_S8_S8_S8_EEEEZZNS1_29radix_sort_onesweep_iterationIS3_Lb0ENS6_6detail15normal_iteratorINS6_10device_ptrIjEEEESG_NSD_INSE_IS9_EEEESI_jNS0_19identity_decomposerENS1_16block_id_wrapperIjLb1EEEEE10hipError_tT1_PNSt15iterator_traitsISN_E10value_typeET2_T3_PNSO_IST_E10value_typeET4_T5_PSY_SZ_PNS1_23onesweep_lookback_stateEbbT6_jjT7_P12ihipStream_tbENKUlT_T0_SN_SS_E_clISG_SG_SI_SI_EEDaS16_S17_SN_SS_EUlS16_E_NS1_11comp_targetILNS1_3genE8ELNS1_11target_archE1030ELNS1_3gpuE2ELNS1_3repE0EEENS1_47radix_sort_onesweep_sort_config_static_selectorELNS0_4arch9wavefront6targetE0EEEvSN_.uses_flat_scratch, 0
	.set _ZN7rocprim17ROCPRIM_400000_NS6detail17trampoline_kernelINS0_14default_configENS1_35radix_sort_onesweep_config_selectorIjN6thrust23THRUST_200600_302600_NS5tupleIffNS6_9null_typeES8_S8_S8_S8_S8_S8_S8_EEEEZZNS1_29radix_sort_onesweep_iterationIS3_Lb0ENS6_6detail15normal_iteratorINS6_10device_ptrIjEEEESG_NSD_INSE_IS9_EEEESI_jNS0_19identity_decomposerENS1_16block_id_wrapperIjLb1EEEEE10hipError_tT1_PNSt15iterator_traitsISN_E10value_typeET2_T3_PNSO_IST_E10value_typeET4_T5_PSY_SZ_PNS1_23onesweep_lookback_stateEbbT6_jjT7_P12ihipStream_tbENKUlT_T0_SN_SS_E_clISG_SG_SI_SI_EEDaS16_S17_SN_SS_EUlS16_E_NS1_11comp_targetILNS1_3genE8ELNS1_11target_archE1030ELNS1_3gpuE2ELNS1_3repE0EEENS1_47radix_sort_onesweep_sort_config_static_selectorELNS0_4arch9wavefront6targetE0EEEvSN_.has_dyn_sized_stack, 0
	.set _ZN7rocprim17ROCPRIM_400000_NS6detail17trampoline_kernelINS0_14default_configENS1_35radix_sort_onesweep_config_selectorIjN6thrust23THRUST_200600_302600_NS5tupleIffNS6_9null_typeES8_S8_S8_S8_S8_S8_S8_EEEEZZNS1_29radix_sort_onesweep_iterationIS3_Lb0ENS6_6detail15normal_iteratorINS6_10device_ptrIjEEEESG_NSD_INSE_IS9_EEEESI_jNS0_19identity_decomposerENS1_16block_id_wrapperIjLb1EEEEE10hipError_tT1_PNSt15iterator_traitsISN_E10value_typeET2_T3_PNSO_IST_E10value_typeET4_T5_PSY_SZ_PNS1_23onesweep_lookback_stateEbbT6_jjT7_P12ihipStream_tbENKUlT_T0_SN_SS_E_clISG_SG_SI_SI_EEDaS16_S17_SN_SS_EUlS16_E_NS1_11comp_targetILNS1_3genE8ELNS1_11target_archE1030ELNS1_3gpuE2ELNS1_3repE0EEENS1_47radix_sort_onesweep_sort_config_static_selectorELNS0_4arch9wavefront6targetE0EEEvSN_.has_recursion, 0
	.set _ZN7rocprim17ROCPRIM_400000_NS6detail17trampoline_kernelINS0_14default_configENS1_35radix_sort_onesweep_config_selectorIjN6thrust23THRUST_200600_302600_NS5tupleIffNS6_9null_typeES8_S8_S8_S8_S8_S8_S8_EEEEZZNS1_29radix_sort_onesweep_iterationIS3_Lb0ENS6_6detail15normal_iteratorINS6_10device_ptrIjEEEESG_NSD_INSE_IS9_EEEESI_jNS0_19identity_decomposerENS1_16block_id_wrapperIjLb1EEEEE10hipError_tT1_PNSt15iterator_traitsISN_E10value_typeET2_T3_PNSO_IST_E10value_typeET4_T5_PSY_SZ_PNS1_23onesweep_lookback_stateEbbT6_jjT7_P12ihipStream_tbENKUlT_T0_SN_SS_E_clISG_SG_SI_SI_EEDaS16_S17_SN_SS_EUlS16_E_NS1_11comp_targetILNS1_3genE8ELNS1_11target_archE1030ELNS1_3gpuE2ELNS1_3repE0EEENS1_47radix_sort_onesweep_sort_config_static_selectorELNS0_4arch9wavefront6targetE0EEEvSN_.has_indirect_call, 0
	.section	.AMDGPU.csdata,"",@progbits
; Kernel info:
; codeLenInByte = 0
; TotalNumSgprs: 0
; NumVgprs: 0
; ScratchSize: 0
; MemoryBound: 0
; FloatMode: 240
; IeeeMode: 1
; LDSByteSize: 0 bytes/workgroup (compile time only)
; SGPRBlocks: 0
; VGPRBlocks: 0
; NumSGPRsForWavesPerEU: 1
; NumVGPRsForWavesPerEU: 1
; Occupancy: 16
; WaveLimiterHint : 0
; COMPUTE_PGM_RSRC2:SCRATCH_EN: 0
; COMPUTE_PGM_RSRC2:USER_SGPR: 2
; COMPUTE_PGM_RSRC2:TRAP_HANDLER: 0
; COMPUTE_PGM_RSRC2:TGID_X_EN: 1
; COMPUTE_PGM_RSRC2:TGID_Y_EN: 0
; COMPUTE_PGM_RSRC2:TGID_Z_EN: 0
; COMPUTE_PGM_RSRC2:TIDIG_COMP_CNT: 0
	.section	.text._ZN7rocprim17ROCPRIM_400000_NS6detail17trampoline_kernelINS0_14default_configENS1_35radix_sort_onesweep_config_selectorIjN6thrust23THRUST_200600_302600_NS5tupleIffNS6_9null_typeES8_S8_S8_S8_S8_S8_S8_EEEEZZNS1_29radix_sort_onesweep_iterationIS3_Lb0ENS6_6detail15normal_iteratorINS6_10device_ptrIjEEEESG_NSD_INSE_IS9_EEEESI_jNS0_19identity_decomposerENS1_16block_id_wrapperIjLb1EEEEE10hipError_tT1_PNSt15iterator_traitsISN_E10value_typeET2_T3_PNSO_IST_E10value_typeET4_T5_PSY_SZ_PNS1_23onesweep_lookback_stateEbbT6_jjT7_P12ihipStream_tbENKUlT_T0_SN_SS_E_clISG_PjSI_PS9_EEDaS16_S17_SN_SS_EUlS16_E_NS1_11comp_targetILNS1_3genE0ELNS1_11target_archE4294967295ELNS1_3gpuE0ELNS1_3repE0EEENS1_47radix_sort_onesweep_sort_config_static_selectorELNS0_4arch9wavefront6targetE0EEEvSN_,"axG",@progbits,_ZN7rocprim17ROCPRIM_400000_NS6detail17trampoline_kernelINS0_14default_configENS1_35radix_sort_onesweep_config_selectorIjN6thrust23THRUST_200600_302600_NS5tupleIffNS6_9null_typeES8_S8_S8_S8_S8_S8_S8_EEEEZZNS1_29radix_sort_onesweep_iterationIS3_Lb0ENS6_6detail15normal_iteratorINS6_10device_ptrIjEEEESG_NSD_INSE_IS9_EEEESI_jNS0_19identity_decomposerENS1_16block_id_wrapperIjLb1EEEEE10hipError_tT1_PNSt15iterator_traitsISN_E10value_typeET2_T3_PNSO_IST_E10value_typeET4_T5_PSY_SZ_PNS1_23onesweep_lookback_stateEbbT6_jjT7_P12ihipStream_tbENKUlT_T0_SN_SS_E_clISG_PjSI_PS9_EEDaS16_S17_SN_SS_EUlS16_E_NS1_11comp_targetILNS1_3genE0ELNS1_11target_archE4294967295ELNS1_3gpuE0ELNS1_3repE0EEENS1_47radix_sort_onesweep_sort_config_static_selectorELNS0_4arch9wavefront6targetE0EEEvSN_,comdat
	.protected	_ZN7rocprim17ROCPRIM_400000_NS6detail17trampoline_kernelINS0_14default_configENS1_35radix_sort_onesweep_config_selectorIjN6thrust23THRUST_200600_302600_NS5tupleIffNS6_9null_typeES8_S8_S8_S8_S8_S8_S8_EEEEZZNS1_29radix_sort_onesweep_iterationIS3_Lb0ENS6_6detail15normal_iteratorINS6_10device_ptrIjEEEESG_NSD_INSE_IS9_EEEESI_jNS0_19identity_decomposerENS1_16block_id_wrapperIjLb1EEEEE10hipError_tT1_PNSt15iterator_traitsISN_E10value_typeET2_T3_PNSO_IST_E10value_typeET4_T5_PSY_SZ_PNS1_23onesweep_lookback_stateEbbT6_jjT7_P12ihipStream_tbENKUlT_T0_SN_SS_E_clISG_PjSI_PS9_EEDaS16_S17_SN_SS_EUlS16_E_NS1_11comp_targetILNS1_3genE0ELNS1_11target_archE4294967295ELNS1_3gpuE0ELNS1_3repE0EEENS1_47radix_sort_onesweep_sort_config_static_selectorELNS0_4arch9wavefront6targetE0EEEvSN_ ; -- Begin function _ZN7rocprim17ROCPRIM_400000_NS6detail17trampoline_kernelINS0_14default_configENS1_35radix_sort_onesweep_config_selectorIjN6thrust23THRUST_200600_302600_NS5tupleIffNS6_9null_typeES8_S8_S8_S8_S8_S8_S8_EEEEZZNS1_29radix_sort_onesweep_iterationIS3_Lb0ENS6_6detail15normal_iteratorINS6_10device_ptrIjEEEESG_NSD_INSE_IS9_EEEESI_jNS0_19identity_decomposerENS1_16block_id_wrapperIjLb1EEEEE10hipError_tT1_PNSt15iterator_traitsISN_E10value_typeET2_T3_PNSO_IST_E10value_typeET4_T5_PSY_SZ_PNS1_23onesweep_lookback_stateEbbT6_jjT7_P12ihipStream_tbENKUlT_T0_SN_SS_E_clISG_PjSI_PS9_EEDaS16_S17_SN_SS_EUlS16_E_NS1_11comp_targetILNS1_3genE0ELNS1_11target_archE4294967295ELNS1_3gpuE0ELNS1_3repE0EEENS1_47radix_sort_onesweep_sort_config_static_selectorELNS0_4arch9wavefront6targetE0EEEvSN_
	.globl	_ZN7rocprim17ROCPRIM_400000_NS6detail17trampoline_kernelINS0_14default_configENS1_35radix_sort_onesweep_config_selectorIjN6thrust23THRUST_200600_302600_NS5tupleIffNS6_9null_typeES8_S8_S8_S8_S8_S8_S8_EEEEZZNS1_29radix_sort_onesweep_iterationIS3_Lb0ENS6_6detail15normal_iteratorINS6_10device_ptrIjEEEESG_NSD_INSE_IS9_EEEESI_jNS0_19identity_decomposerENS1_16block_id_wrapperIjLb1EEEEE10hipError_tT1_PNSt15iterator_traitsISN_E10value_typeET2_T3_PNSO_IST_E10value_typeET4_T5_PSY_SZ_PNS1_23onesweep_lookback_stateEbbT6_jjT7_P12ihipStream_tbENKUlT_T0_SN_SS_E_clISG_PjSI_PS9_EEDaS16_S17_SN_SS_EUlS16_E_NS1_11comp_targetILNS1_3genE0ELNS1_11target_archE4294967295ELNS1_3gpuE0ELNS1_3repE0EEENS1_47radix_sort_onesweep_sort_config_static_selectorELNS0_4arch9wavefront6targetE0EEEvSN_
	.p2align	8
	.type	_ZN7rocprim17ROCPRIM_400000_NS6detail17trampoline_kernelINS0_14default_configENS1_35radix_sort_onesweep_config_selectorIjN6thrust23THRUST_200600_302600_NS5tupleIffNS6_9null_typeES8_S8_S8_S8_S8_S8_S8_EEEEZZNS1_29radix_sort_onesweep_iterationIS3_Lb0ENS6_6detail15normal_iteratorINS6_10device_ptrIjEEEESG_NSD_INSE_IS9_EEEESI_jNS0_19identity_decomposerENS1_16block_id_wrapperIjLb1EEEEE10hipError_tT1_PNSt15iterator_traitsISN_E10value_typeET2_T3_PNSO_IST_E10value_typeET4_T5_PSY_SZ_PNS1_23onesweep_lookback_stateEbbT6_jjT7_P12ihipStream_tbENKUlT_T0_SN_SS_E_clISG_PjSI_PS9_EEDaS16_S17_SN_SS_EUlS16_E_NS1_11comp_targetILNS1_3genE0ELNS1_11target_archE4294967295ELNS1_3gpuE0ELNS1_3repE0EEENS1_47radix_sort_onesweep_sort_config_static_selectorELNS0_4arch9wavefront6targetE0EEEvSN_,@function
_ZN7rocprim17ROCPRIM_400000_NS6detail17trampoline_kernelINS0_14default_configENS1_35radix_sort_onesweep_config_selectorIjN6thrust23THRUST_200600_302600_NS5tupleIffNS6_9null_typeES8_S8_S8_S8_S8_S8_S8_EEEEZZNS1_29radix_sort_onesweep_iterationIS3_Lb0ENS6_6detail15normal_iteratorINS6_10device_ptrIjEEEESG_NSD_INSE_IS9_EEEESI_jNS0_19identity_decomposerENS1_16block_id_wrapperIjLb1EEEEE10hipError_tT1_PNSt15iterator_traitsISN_E10value_typeET2_T3_PNSO_IST_E10value_typeET4_T5_PSY_SZ_PNS1_23onesweep_lookback_stateEbbT6_jjT7_P12ihipStream_tbENKUlT_T0_SN_SS_E_clISG_PjSI_PS9_EEDaS16_S17_SN_SS_EUlS16_E_NS1_11comp_targetILNS1_3genE0ELNS1_11target_archE4294967295ELNS1_3gpuE0ELNS1_3repE0EEENS1_47radix_sort_onesweep_sort_config_static_selectorELNS0_4arch9wavefront6targetE0EEEvSN_: ; @_ZN7rocprim17ROCPRIM_400000_NS6detail17trampoline_kernelINS0_14default_configENS1_35radix_sort_onesweep_config_selectorIjN6thrust23THRUST_200600_302600_NS5tupleIffNS6_9null_typeES8_S8_S8_S8_S8_S8_S8_EEEEZZNS1_29radix_sort_onesweep_iterationIS3_Lb0ENS6_6detail15normal_iteratorINS6_10device_ptrIjEEEESG_NSD_INSE_IS9_EEEESI_jNS0_19identity_decomposerENS1_16block_id_wrapperIjLb1EEEEE10hipError_tT1_PNSt15iterator_traitsISN_E10value_typeET2_T3_PNSO_IST_E10value_typeET4_T5_PSY_SZ_PNS1_23onesweep_lookback_stateEbbT6_jjT7_P12ihipStream_tbENKUlT_T0_SN_SS_E_clISG_PjSI_PS9_EEDaS16_S17_SN_SS_EUlS16_E_NS1_11comp_targetILNS1_3genE0ELNS1_11target_archE4294967295ELNS1_3gpuE0ELNS1_3repE0EEENS1_47radix_sort_onesweep_sort_config_static_selectorELNS0_4arch9wavefront6targetE0EEEvSN_
; %bb.0:
	.section	.rodata,"a",@progbits
	.p2align	6, 0x0
	.amdhsa_kernel _ZN7rocprim17ROCPRIM_400000_NS6detail17trampoline_kernelINS0_14default_configENS1_35radix_sort_onesweep_config_selectorIjN6thrust23THRUST_200600_302600_NS5tupleIffNS6_9null_typeES8_S8_S8_S8_S8_S8_S8_EEEEZZNS1_29radix_sort_onesweep_iterationIS3_Lb0ENS6_6detail15normal_iteratorINS6_10device_ptrIjEEEESG_NSD_INSE_IS9_EEEESI_jNS0_19identity_decomposerENS1_16block_id_wrapperIjLb1EEEEE10hipError_tT1_PNSt15iterator_traitsISN_E10value_typeET2_T3_PNSO_IST_E10value_typeET4_T5_PSY_SZ_PNS1_23onesweep_lookback_stateEbbT6_jjT7_P12ihipStream_tbENKUlT_T0_SN_SS_E_clISG_PjSI_PS9_EEDaS16_S17_SN_SS_EUlS16_E_NS1_11comp_targetILNS1_3genE0ELNS1_11target_archE4294967295ELNS1_3gpuE0ELNS1_3repE0EEENS1_47radix_sort_onesweep_sort_config_static_selectorELNS0_4arch9wavefront6targetE0EEEvSN_
		.amdhsa_group_segment_fixed_size 0
		.amdhsa_private_segment_fixed_size 0
		.amdhsa_kernarg_size 88
		.amdhsa_user_sgpr_count 2
		.amdhsa_user_sgpr_dispatch_ptr 0
		.amdhsa_user_sgpr_queue_ptr 0
		.amdhsa_user_sgpr_kernarg_segment_ptr 1
		.amdhsa_user_sgpr_dispatch_id 0
		.amdhsa_user_sgpr_private_segment_size 0
		.amdhsa_wavefront_size32 1
		.amdhsa_uses_dynamic_stack 0
		.amdhsa_enable_private_segment 0
		.amdhsa_system_sgpr_workgroup_id_x 1
		.amdhsa_system_sgpr_workgroup_id_y 0
		.amdhsa_system_sgpr_workgroup_id_z 0
		.amdhsa_system_sgpr_workgroup_info 0
		.amdhsa_system_vgpr_workitem_id 0
		.amdhsa_next_free_vgpr 1
		.amdhsa_next_free_sgpr 1
		.amdhsa_reserve_vcc 0
		.amdhsa_float_round_mode_32 0
		.amdhsa_float_round_mode_16_64 0
		.amdhsa_float_denorm_mode_32 3
		.amdhsa_float_denorm_mode_16_64 3
		.amdhsa_fp16_overflow 0
		.amdhsa_workgroup_processor_mode 1
		.amdhsa_memory_ordered 1
		.amdhsa_forward_progress 1
		.amdhsa_inst_pref_size 0
		.amdhsa_round_robin_scheduling 0
		.amdhsa_exception_fp_ieee_invalid_op 0
		.amdhsa_exception_fp_denorm_src 0
		.amdhsa_exception_fp_ieee_div_zero 0
		.amdhsa_exception_fp_ieee_overflow 0
		.amdhsa_exception_fp_ieee_underflow 0
		.amdhsa_exception_fp_ieee_inexact 0
		.amdhsa_exception_int_div_zero 0
	.end_amdhsa_kernel
	.section	.text._ZN7rocprim17ROCPRIM_400000_NS6detail17trampoline_kernelINS0_14default_configENS1_35radix_sort_onesweep_config_selectorIjN6thrust23THRUST_200600_302600_NS5tupleIffNS6_9null_typeES8_S8_S8_S8_S8_S8_S8_EEEEZZNS1_29radix_sort_onesweep_iterationIS3_Lb0ENS6_6detail15normal_iteratorINS6_10device_ptrIjEEEESG_NSD_INSE_IS9_EEEESI_jNS0_19identity_decomposerENS1_16block_id_wrapperIjLb1EEEEE10hipError_tT1_PNSt15iterator_traitsISN_E10value_typeET2_T3_PNSO_IST_E10value_typeET4_T5_PSY_SZ_PNS1_23onesweep_lookback_stateEbbT6_jjT7_P12ihipStream_tbENKUlT_T0_SN_SS_E_clISG_PjSI_PS9_EEDaS16_S17_SN_SS_EUlS16_E_NS1_11comp_targetILNS1_3genE0ELNS1_11target_archE4294967295ELNS1_3gpuE0ELNS1_3repE0EEENS1_47radix_sort_onesweep_sort_config_static_selectorELNS0_4arch9wavefront6targetE0EEEvSN_,"axG",@progbits,_ZN7rocprim17ROCPRIM_400000_NS6detail17trampoline_kernelINS0_14default_configENS1_35radix_sort_onesweep_config_selectorIjN6thrust23THRUST_200600_302600_NS5tupleIffNS6_9null_typeES8_S8_S8_S8_S8_S8_S8_EEEEZZNS1_29radix_sort_onesweep_iterationIS3_Lb0ENS6_6detail15normal_iteratorINS6_10device_ptrIjEEEESG_NSD_INSE_IS9_EEEESI_jNS0_19identity_decomposerENS1_16block_id_wrapperIjLb1EEEEE10hipError_tT1_PNSt15iterator_traitsISN_E10value_typeET2_T3_PNSO_IST_E10value_typeET4_T5_PSY_SZ_PNS1_23onesweep_lookback_stateEbbT6_jjT7_P12ihipStream_tbENKUlT_T0_SN_SS_E_clISG_PjSI_PS9_EEDaS16_S17_SN_SS_EUlS16_E_NS1_11comp_targetILNS1_3genE0ELNS1_11target_archE4294967295ELNS1_3gpuE0ELNS1_3repE0EEENS1_47radix_sort_onesweep_sort_config_static_selectorELNS0_4arch9wavefront6targetE0EEEvSN_,comdat
.Lfunc_end184:
	.size	_ZN7rocprim17ROCPRIM_400000_NS6detail17trampoline_kernelINS0_14default_configENS1_35radix_sort_onesweep_config_selectorIjN6thrust23THRUST_200600_302600_NS5tupleIffNS6_9null_typeES8_S8_S8_S8_S8_S8_S8_EEEEZZNS1_29radix_sort_onesweep_iterationIS3_Lb0ENS6_6detail15normal_iteratorINS6_10device_ptrIjEEEESG_NSD_INSE_IS9_EEEESI_jNS0_19identity_decomposerENS1_16block_id_wrapperIjLb1EEEEE10hipError_tT1_PNSt15iterator_traitsISN_E10value_typeET2_T3_PNSO_IST_E10value_typeET4_T5_PSY_SZ_PNS1_23onesweep_lookback_stateEbbT6_jjT7_P12ihipStream_tbENKUlT_T0_SN_SS_E_clISG_PjSI_PS9_EEDaS16_S17_SN_SS_EUlS16_E_NS1_11comp_targetILNS1_3genE0ELNS1_11target_archE4294967295ELNS1_3gpuE0ELNS1_3repE0EEENS1_47radix_sort_onesweep_sort_config_static_selectorELNS0_4arch9wavefront6targetE0EEEvSN_, .Lfunc_end184-_ZN7rocprim17ROCPRIM_400000_NS6detail17trampoline_kernelINS0_14default_configENS1_35radix_sort_onesweep_config_selectorIjN6thrust23THRUST_200600_302600_NS5tupleIffNS6_9null_typeES8_S8_S8_S8_S8_S8_S8_EEEEZZNS1_29radix_sort_onesweep_iterationIS3_Lb0ENS6_6detail15normal_iteratorINS6_10device_ptrIjEEEESG_NSD_INSE_IS9_EEEESI_jNS0_19identity_decomposerENS1_16block_id_wrapperIjLb1EEEEE10hipError_tT1_PNSt15iterator_traitsISN_E10value_typeET2_T3_PNSO_IST_E10value_typeET4_T5_PSY_SZ_PNS1_23onesweep_lookback_stateEbbT6_jjT7_P12ihipStream_tbENKUlT_T0_SN_SS_E_clISG_PjSI_PS9_EEDaS16_S17_SN_SS_EUlS16_E_NS1_11comp_targetILNS1_3genE0ELNS1_11target_archE4294967295ELNS1_3gpuE0ELNS1_3repE0EEENS1_47radix_sort_onesweep_sort_config_static_selectorELNS0_4arch9wavefront6targetE0EEEvSN_
                                        ; -- End function
	.set _ZN7rocprim17ROCPRIM_400000_NS6detail17trampoline_kernelINS0_14default_configENS1_35radix_sort_onesweep_config_selectorIjN6thrust23THRUST_200600_302600_NS5tupleIffNS6_9null_typeES8_S8_S8_S8_S8_S8_S8_EEEEZZNS1_29radix_sort_onesweep_iterationIS3_Lb0ENS6_6detail15normal_iteratorINS6_10device_ptrIjEEEESG_NSD_INSE_IS9_EEEESI_jNS0_19identity_decomposerENS1_16block_id_wrapperIjLb1EEEEE10hipError_tT1_PNSt15iterator_traitsISN_E10value_typeET2_T3_PNSO_IST_E10value_typeET4_T5_PSY_SZ_PNS1_23onesweep_lookback_stateEbbT6_jjT7_P12ihipStream_tbENKUlT_T0_SN_SS_E_clISG_PjSI_PS9_EEDaS16_S17_SN_SS_EUlS16_E_NS1_11comp_targetILNS1_3genE0ELNS1_11target_archE4294967295ELNS1_3gpuE0ELNS1_3repE0EEENS1_47radix_sort_onesweep_sort_config_static_selectorELNS0_4arch9wavefront6targetE0EEEvSN_.num_vgpr, 0
	.set _ZN7rocprim17ROCPRIM_400000_NS6detail17trampoline_kernelINS0_14default_configENS1_35radix_sort_onesweep_config_selectorIjN6thrust23THRUST_200600_302600_NS5tupleIffNS6_9null_typeES8_S8_S8_S8_S8_S8_S8_EEEEZZNS1_29radix_sort_onesweep_iterationIS3_Lb0ENS6_6detail15normal_iteratorINS6_10device_ptrIjEEEESG_NSD_INSE_IS9_EEEESI_jNS0_19identity_decomposerENS1_16block_id_wrapperIjLb1EEEEE10hipError_tT1_PNSt15iterator_traitsISN_E10value_typeET2_T3_PNSO_IST_E10value_typeET4_T5_PSY_SZ_PNS1_23onesweep_lookback_stateEbbT6_jjT7_P12ihipStream_tbENKUlT_T0_SN_SS_E_clISG_PjSI_PS9_EEDaS16_S17_SN_SS_EUlS16_E_NS1_11comp_targetILNS1_3genE0ELNS1_11target_archE4294967295ELNS1_3gpuE0ELNS1_3repE0EEENS1_47radix_sort_onesweep_sort_config_static_selectorELNS0_4arch9wavefront6targetE0EEEvSN_.num_agpr, 0
	.set _ZN7rocprim17ROCPRIM_400000_NS6detail17trampoline_kernelINS0_14default_configENS1_35radix_sort_onesweep_config_selectorIjN6thrust23THRUST_200600_302600_NS5tupleIffNS6_9null_typeES8_S8_S8_S8_S8_S8_S8_EEEEZZNS1_29radix_sort_onesweep_iterationIS3_Lb0ENS6_6detail15normal_iteratorINS6_10device_ptrIjEEEESG_NSD_INSE_IS9_EEEESI_jNS0_19identity_decomposerENS1_16block_id_wrapperIjLb1EEEEE10hipError_tT1_PNSt15iterator_traitsISN_E10value_typeET2_T3_PNSO_IST_E10value_typeET4_T5_PSY_SZ_PNS1_23onesweep_lookback_stateEbbT6_jjT7_P12ihipStream_tbENKUlT_T0_SN_SS_E_clISG_PjSI_PS9_EEDaS16_S17_SN_SS_EUlS16_E_NS1_11comp_targetILNS1_3genE0ELNS1_11target_archE4294967295ELNS1_3gpuE0ELNS1_3repE0EEENS1_47radix_sort_onesweep_sort_config_static_selectorELNS0_4arch9wavefront6targetE0EEEvSN_.numbered_sgpr, 0
	.set _ZN7rocprim17ROCPRIM_400000_NS6detail17trampoline_kernelINS0_14default_configENS1_35radix_sort_onesweep_config_selectorIjN6thrust23THRUST_200600_302600_NS5tupleIffNS6_9null_typeES8_S8_S8_S8_S8_S8_S8_EEEEZZNS1_29radix_sort_onesweep_iterationIS3_Lb0ENS6_6detail15normal_iteratorINS6_10device_ptrIjEEEESG_NSD_INSE_IS9_EEEESI_jNS0_19identity_decomposerENS1_16block_id_wrapperIjLb1EEEEE10hipError_tT1_PNSt15iterator_traitsISN_E10value_typeET2_T3_PNSO_IST_E10value_typeET4_T5_PSY_SZ_PNS1_23onesweep_lookback_stateEbbT6_jjT7_P12ihipStream_tbENKUlT_T0_SN_SS_E_clISG_PjSI_PS9_EEDaS16_S17_SN_SS_EUlS16_E_NS1_11comp_targetILNS1_3genE0ELNS1_11target_archE4294967295ELNS1_3gpuE0ELNS1_3repE0EEENS1_47radix_sort_onesweep_sort_config_static_selectorELNS0_4arch9wavefront6targetE0EEEvSN_.num_named_barrier, 0
	.set _ZN7rocprim17ROCPRIM_400000_NS6detail17trampoline_kernelINS0_14default_configENS1_35radix_sort_onesweep_config_selectorIjN6thrust23THRUST_200600_302600_NS5tupleIffNS6_9null_typeES8_S8_S8_S8_S8_S8_S8_EEEEZZNS1_29radix_sort_onesweep_iterationIS3_Lb0ENS6_6detail15normal_iteratorINS6_10device_ptrIjEEEESG_NSD_INSE_IS9_EEEESI_jNS0_19identity_decomposerENS1_16block_id_wrapperIjLb1EEEEE10hipError_tT1_PNSt15iterator_traitsISN_E10value_typeET2_T3_PNSO_IST_E10value_typeET4_T5_PSY_SZ_PNS1_23onesweep_lookback_stateEbbT6_jjT7_P12ihipStream_tbENKUlT_T0_SN_SS_E_clISG_PjSI_PS9_EEDaS16_S17_SN_SS_EUlS16_E_NS1_11comp_targetILNS1_3genE0ELNS1_11target_archE4294967295ELNS1_3gpuE0ELNS1_3repE0EEENS1_47radix_sort_onesweep_sort_config_static_selectorELNS0_4arch9wavefront6targetE0EEEvSN_.private_seg_size, 0
	.set _ZN7rocprim17ROCPRIM_400000_NS6detail17trampoline_kernelINS0_14default_configENS1_35radix_sort_onesweep_config_selectorIjN6thrust23THRUST_200600_302600_NS5tupleIffNS6_9null_typeES8_S8_S8_S8_S8_S8_S8_EEEEZZNS1_29radix_sort_onesweep_iterationIS3_Lb0ENS6_6detail15normal_iteratorINS6_10device_ptrIjEEEESG_NSD_INSE_IS9_EEEESI_jNS0_19identity_decomposerENS1_16block_id_wrapperIjLb1EEEEE10hipError_tT1_PNSt15iterator_traitsISN_E10value_typeET2_T3_PNSO_IST_E10value_typeET4_T5_PSY_SZ_PNS1_23onesweep_lookback_stateEbbT6_jjT7_P12ihipStream_tbENKUlT_T0_SN_SS_E_clISG_PjSI_PS9_EEDaS16_S17_SN_SS_EUlS16_E_NS1_11comp_targetILNS1_3genE0ELNS1_11target_archE4294967295ELNS1_3gpuE0ELNS1_3repE0EEENS1_47radix_sort_onesweep_sort_config_static_selectorELNS0_4arch9wavefront6targetE0EEEvSN_.uses_vcc, 0
	.set _ZN7rocprim17ROCPRIM_400000_NS6detail17trampoline_kernelINS0_14default_configENS1_35radix_sort_onesweep_config_selectorIjN6thrust23THRUST_200600_302600_NS5tupleIffNS6_9null_typeES8_S8_S8_S8_S8_S8_S8_EEEEZZNS1_29radix_sort_onesweep_iterationIS3_Lb0ENS6_6detail15normal_iteratorINS6_10device_ptrIjEEEESG_NSD_INSE_IS9_EEEESI_jNS0_19identity_decomposerENS1_16block_id_wrapperIjLb1EEEEE10hipError_tT1_PNSt15iterator_traitsISN_E10value_typeET2_T3_PNSO_IST_E10value_typeET4_T5_PSY_SZ_PNS1_23onesweep_lookback_stateEbbT6_jjT7_P12ihipStream_tbENKUlT_T0_SN_SS_E_clISG_PjSI_PS9_EEDaS16_S17_SN_SS_EUlS16_E_NS1_11comp_targetILNS1_3genE0ELNS1_11target_archE4294967295ELNS1_3gpuE0ELNS1_3repE0EEENS1_47radix_sort_onesweep_sort_config_static_selectorELNS0_4arch9wavefront6targetE0EEEvSN_.uses_flat_scratch, 0
	.set _ZN7rocprim17ROCPRIM_400000_NS6detail17trampoline_kernelINS0_14default_configENS1_35radix_sort_onesweep_config_selectorIjN6thrust23THRUST_200600_302600_NS5tupleIffNS6_9null_typeES8_S8_S8_S8_S8_S8_S8_EEEEZZNS1_29radix_sort_onesweep_iterationIS3_Lb0ENS6_6detail15normal_iteratorINS6_10device_ptrIjEEEESG_NSD_INSE_IS9_EEEESI_jNS0_19identity_decomposerENS1_16block_id_wrapperIjLb1EEEEE10hipError_tT1_PNSt15iterator_traitsISN_E10value_typeET2_T3_PNSO_IST_E10value_typeET4_T5_PSY_SZ_PNS1_23onesweep_lookback_stateEbbT6_jjT7_P12ihipStream_tbENKUlT_T0_SN_SS_E_clISG_PjSI_PS9_EEDaS16_S17_SN_SS_EUlS16_E_NS1_11comp_targetILNS1_3genE0ELNS1_11target_archE4294967295ELNS1_3gpuE0ELNS1_3repE0EEENS1_47radix_sort_onesweep_sort_config_static_selectorELNS0_4arch9wavefront6targetE0EEEvSN_.has_dyn_sized_stack, 0
	.set _ZN7rocprim17ROCPRIM_400000_NS6detail17trampoline_kernelINS0_14default_configENS1_35radix_sort_onesweep_config_selectorIjN6thrust23THRUST_200600_302600_NS5tupleIffNS6_9null_typeES8_S8_S8_S8_S8_S8_S8_EEEEZZNS1_29radix_sort_onesweep_iterationIS3_Lb0ENS6_6detail15normal_iteratorINS6_10device_ptrIjEEEESG_NSD_INSE_IS9_EEEESI_jNS0_19identity_decomposerENS1_16block_id_wrapperIjLb1EEEEE10hipError_tT1_PNSt15iterator_traitsISN_E10value_typeET2_T3_PNSO_IST_E10value_typeET4_T5_PSY_SZ_PNS1_23onesweep_lookback_stateEbbT6_jjT7_P12ihipStream_tbENKUlT_T0_SN_SS_E_clISG_PjSI_PS9_EEDaS16_S17_SN_SS_EUlS16_E_NS1_11comp_targetILNS1_3genE0ELNS1_11target_archE4294967295ELNS1_3gpuE0ELNS1_3repE0EEENS1_47radix_sort_onesweep_sort_config_static_selectorELNS0_4arch9wavefront6targetE0EEEvSN_.has_recursion, 0
	.set _ZN7rocprim17ROCPRIM_400000_NS6detail17trampoline_kernelINS0_14default_configENS1_35radix_sort_onesweep_config_selectorIjN6thrust23THRUST_200600_302600_NS5tupleIffNS6_9null_typeES8_S8_S8_S8_S8_S8_S8_EEEEZZNS1_29radix_sort_onesweep_iterationIS3_Lb0ENS6_6detail15normal_iteratorINS6_10device_ptrIjEEEESG_NSD_INSE_IS9_EEEESI_jNS0_19identity_decomposerENS1_16block_id_wrapperIjLb1EEEEE10hipError_tT1_PNSt15iterator_traitsISN_E10value_typeET2_T3_PNSO_IST_E10value_typeET4_T5_PSY_SZ_PNS1_23onesweep_lookback_stateEbbT6_jjT7_P12ihipStream_tbENKUlT_T0_SN_SS_E_clISG_PjSI_PS9_EEDaS16_S17_SN_SS_EUlS16_E_NS1_11comp_targetILNS1_3genE0ELNS1_11target_archE4294967295ELNS1_3gpuE0ELNS1_3repE0EEENS1_47radix_sort_onesweep_sort_config_static_selectorELNS0_4arch9wavefront6targetE0EEEvSN_.has_indirect_call, 0
	.section	.AMDGPU.csdata,"",@progbits
; Kernel info:
; codeLenInByte = 0
; TotalNumSgprs: 0
; NumVgprs: 0
; ScratchSize: 0
; MemoryBound: 0
; FloatMode: 240
; IeeeMode: 1
; LDSByteSize: 0 bytes/workgroup (compile time only)
; SGPRBlocks: 0
; VGPRBlocks: 0
; NumSGPRsForWavesPerEU: 1
; NumVGPRsForWavesPerEU: 1
; Occupancy: 16
; WaveLimiterHint : 0
; COMPUTE_PGM_RSRC2:SCRATCH_EN: 0
; COMPUTE_PGM_RSRC2:USER_SGPR: 2
; COMPUTE_PGM_RSRC2:TRAP_HANDLER: 0
; COMPUTE_PGM_RSRC2:TGID_X_EN: 1
; COMPUTE_PGM_RSRC2:TGID_Y_EN: 0
; COMPUTE_PGM_RSRC2:TGID_Z_EN: 0
; COMPUTE_PGM_RSRC2:TIDIG_COMP_CNT: 0
	.section	.text._ZN7rocprim17ROCPRIM_400000_NS6detail17trampoline_kernelINS0_14default_configENS1_35radix_sort_onesweep_config_selectorIjN6thrust23THRUST_200600_302600_NS5tupleIffNS6_9null_typeES8_S8_S8_S8_S8_S8_S8_EEEEZZNS1_29radix_sort_onesweep_iterationIS3_Lb0ENS6_6detail15normal_iteratorINS6_10device_ptrIjEEEESG_NSD_INSE_IS9_EEEESI_jNS0_19identity_decomposerENS1_16block_id_wrapperIjLb1EEEEE10hipError_tT1_PNSt15iterator_traitsISN_E10value_typeET2_T3_PNSO_IST_E10value_typeET4_T5_PSY_SZ_PNS1_23onesweep_lookback_stateEbbT6_jjT7_P12ihipStream_tbENKUlT_T0_SN_SS_E_clISG_PjSI_PS9_EEDaS16_S17_SN_SS_EUlS16_E_NS1_11comp_targetILNS1_3genE6ELNS1_11target_archE950ELNS1_3gpuE13ELNS1_3repE0EEENS1_47radix_sort_onesweep_sort_config_static_selectorELNS0_4arch9wavefront6targetE0EEEvSN_,"axG",@progbits,_ZN7rocprim17ROCPRIM_400000_NS6detail17trampoline_kernelINS0_14default_configENS1_35radix_sort_onesweep_config_selectorIjN6thrust23THRUST_200600_302600_NS5tupleIffNS6_9null_typeES8_S8_S8_S8_S8_S8_S8_EEEEZZNS1_29radix_sort_onesweep_iterationIS3_Lb0ENS6_6detail15normal_iteratorINS6_10device_ptrIjEEEESG_NSD_INSE_IS9_EEEESI_jNS0_19identity_decomposerENS1_16block_id_wrapperIjLb1EEEEE10hipError_tT1_PNSt15iterator_traitsISN_E10value_typeET2_T3_PNSO_IST_E10value_typeET4_T5_PSY_SZ_PNS1_23onesweep_lookback_stateEbbT6_jjT7_P12ihipStream_tbENKUlT_T0_SN_SS_E_clISG_PjSI_PS9_EEDaS16_S17_SN_SS_EUlS16_E_NS1_11comp_targetILNS1_3genE6ELNS1_11target_archE950ELNS1_3gpuE13ELNS1_3repE0EEENS1_47radix_sort_onesweep_sort_config_static_selectorELNS0_4arch9wavefront6targetE0EEEvSN_,comdat
	.protected	_ZN7rocprim17ROCPRIM_400000_NS6detail17trampoline_kernelINS0_14default_configENS1_35radix_sort_onesweep_config_selectorIjN6thrust23THRUST_200600_302600_NS5tupleIffNS6_9null_typeES8_S8_S8_S8_S8_S8_S8_EEEEZZNS1_29radix_sort_onesweep_iterationIS3_Lb0ENS6_6detail15normal_iteratorINS6_10device_ptrIjEEEESG_NSD_INSE_IS9_EEEESI_jNS0_19identity_decomposerENS1_16block_id_wrapperIjLb1EEEEE10hipError_tT1_PNSt15iterator_traitsISN_E10value_typeET2_T3_PNSO_IST_E10value_typeET4_T5_PSY_SZ_PNS1_23onesweep_lookback_stateEbbT6_jjT7_P12ihipStream_tbENKUlT_T0_SN_SS_E_clISG_PjSI_PS9_EEDaS16_S17_SN_SS_EUlS16_E_NS1_11comp_targetILNS1_3genE6ELNS1_11target_archE950ELNS1_3gpuE13ELNS1_3repE0EEENS1_47radix_sort_onesweep_sort_config_static_selectorELNS0_4arch9wavefront6targetE0EEEvSN_ ; -- Begin function _ZN7rocprim17ROCPRIM_400000_NS6detail17trampoline_kernelINS0_14default_configENS1_35radix_sort_onesweep_config_selectorIjN6thrust23THRUST_200600_302600_NS5tupleIffNS6_9null_typeES8_S8_S8_S8_S8_S8_S8_EEEEZZNS1_29radix_sort_onesweep_iterationIS3_Lb0ENS6_6detail15normal_iteratorINS6_10device_ptrIjEEEESG_NSD_INSE_IS9_EEEESI_jNS0_19identity_decomposerENS1_16block_id_wrapperIjLb1EEEEE10hipError_tT1_PNSt15iterator_traitsISN_E10value_typeET2_T3_PNSO_IST_E10value_typeET4_T5_PSY_SZ_PNS1_23onesweep_lookback_stateEbbT6_jjT7_P12ihipStream_tbENKUlT_T0_SN_SS_E_clISG_PjSI_PS9_EEDaS16_S17_SN_SS_EUlS16_E_NS1_11comp_targetILNS1_3genE6ELNS1_11target_archE950ELNS1_3gpuE13ELNS1_3repE0EEENS1_47radix_sort_onesweep_sort_config_static_selectorELNS0_4arch9wavefront6targetE0EEEvSN_
	.globl	_ZN7rocprim17ROCPRIM_400000_NS6detail17trampoline_kernelINS0_14default_configENS1_35radix_sort_onesweep_config_selectorIjN6thrust23THRUST_200600_302600_NS5tupleIffNS6_9null_typeES8_S8_S8_S8_S8_S8_S8_EEEEZZNS1_29radix_sort_onesweep_iterationIS3_Lb0ENS6_6detail15normal_iteratorINS6_10device_ptrIjEEEESG_NSD_INSE_IS9_EEEESI_jNS0_19identity_decomposerENS1_16block_id_wrapperIjLb1EEEEE10hipError_tT1_PNSt15iterator_traitsISN_E10value_typeET2_T3_PNSO_IST_E10value_typeET4_T5_PSY_SZ_PNS1_23onesweep_lookback_stateEbbT6_jjT7_P12ihipStream_tbENKUlT_T0_SN_SS_E_clISG_PjSI_PS9_EEDaS16_S17_SN_SS_EUlS16_E_NS1_11comp_targetILNS1_3genE6ELNS1_11target_archE950ELNS1_3gpuE13ELNS1_3repE0EEENS1_47radix_sort_onesweep_sort_config_static_selectorELNS0_4arch9wavefront6targetE0EEEvSN_
	.p2align	8
	.type	_ZN7rocprim17ROCPRIM_400000_NS6detail17trampoline_kernelINS0_14default_configENS1_35radix_sort_onesweep_config_selectorIjN6thrust23THRUST_200600_302600_NS5tupleIffNS6_9null_typeES8_S8_S8_S8_S8_S8_S8_EEEEZZNS1_29radix_sort_onesweep_iterationIS3_Lb0ENS6_6detail15normal_iteratorINS6_10device_ptrIjEEEESG_NSD_INSE_IS9_EEEESI_jNS0_19identity_decomposerENS1_16block_id_wrapperIjLb1EEEEE10hipError_tT1_PNSt15iterator_traitsISN_E10value_typeET2_T3_PNSO_IST_E10value_typeET4_T5_PSY_SZ_PNS1_23onesweep_lookback_stateEbbT6_jjT7_P12ihipStream_tbENKUlT_T0_SN_SS_E_clISG_PjSI_PS9_EEDaS16_S17_SN_SS_EUlS16_E_NS1_11comp_targetILNS1_3genE6ELNS1_11target_archE950ELNS1_3gpuE13ELNS1_3repE0EEENS1_47radix_sort_onesweep_sort_config_static_selectorELNS0_4arch9wavefront6targetE0EEEvSN_,@function
_ZN7rocprim17ROCPRIM_400000_NS6detail17trampoline_kernelINS0_14default_configENS1_35radix_sort_onesweep_config_selectorIjN6thrust23THRUST_200600_302600_NS5tupleIffNS6_9null_typeES8_S8_S8_S8_S8_S8_S8_EEEEZZNS1_29radix_sort_onesweep_iterationIS3_Lb0ENS6_6detail15normal_iteratorINS6_10device_ptrIjEEEESG_NSD_INSE_IS9_EEEESI_jNS0_19identity_decomposerENS1_16block_id_wrapperIjLb1EEEEE10hipError_tT1_PNSt15iterator_traitsISN_E10value_typeET2_T3_PNSO_IST_E10value_typeET4_T5_PSY_SZ_PNS1_23onesweep_lookback_stateEbbT6_jjT7_P12ihipStream_tbENKUlT_T0_SN_SS_E_clISG_PjSI_PS9_EEDaS16_S17_SN_SS_EUlS16_E_NS1_11comp_targetILNS1_3genE6ELNS1_11target_archE950ELNS1_3gpuE13ELNS1_3repE0EEENS1_47radix_sort_onesweep_sort_config_static_selectorELNS0_4arch9wavefront6targetE0EEEvSN_: ; @_ZN7rocprim17ROCPRIM_400000_NS6detail17trampoline_kernelINS0_14default_configENS1_35radix_sort_onesweep_config_selectorIjN6thrust23THRUST_200600_302600_NS5tupleIffNS6_9null_typeES8_S8_S8_S8_S8_S8_S8_EEEEZZNS1_29radix_sort_onesweep_iterationIS3_Lb0ENS6_6detail15normal_iteratorINS6_10device_ptrIjEEEESG_NSD_INSE_IS9_EEEESI_jNS0_19identity_decomposerENS1_16block_id_wrapperIjLb1EEEEE10hipError_tT1_PNSt15iterator_traitsISN_E10value_typeET2_T3_PNSO_IST_E10value_typeET4_T5_PSY_SZ_PNS1_23onesweep_lookback_stateEbbT6_jjT7_P12ihipStream_tbENKUlT_T0_SN_SS_E_clISG_PjSI_PS9_EEDaS16_S17_SN_SS_EUlS16_E_NS1_11comp_targetILNS1_3genE6ELNS1_11target_archE950ELNS1_3gpuE13ELNS1_3repE0EEENS1_47radix_sort_onesweep_sort_config_static_selectorELNS0_4arch9wavefront6targetE0EEEvSN_
; %bb.0:
	.section	.rodata,"a",@progbits
	.p2align	6, 0x0
	.amdhsa_kernel _ZN7rocprim17ROCPRIM_400000_NS6detail17trampoline_kernelINS0_14default_configENS1_35radix_sort_onesweep_config_selectorIjN6thrust23THRUST_200600_302600_NS5tupleIffNS6_9null_typeES8_S8_S8_S8_S8_S8_S8_EEEEZZNS1_29radix_sort_onesweep_iterationIS3_Lb0ENS6_6detail15normal_iteratorINS6_10device_ptrIjEEEESG_NSD_INSE_IS9_EEEESI_jNS0_19identity_decomposerENS1_16block_id_wrapperIjLb1EEEEE10hipError_tT1_PNSt15iterator_traitsISN_E10value_typeET2_T3_PNSO_IST_E10value_typeET4_T5_PSY_SZ_PNS1_23onesweep_lookback_stateEbbT6_jjT7_P12ihipStream_tbENKUlT_T0_SN_SS_E_clISG_PjSI_PS9_EEDaS16_S17_SN_SS_EUlS16_E_NS1_11comp_targetILNS1_3genE6ELNS1_11target_archE950ELNS1_3gpuE13ELNS1_3repE0EEENS1_47radix_sort_onesweep_sort_config_static_selectorELNS0_4arch9wavefront6targetE0EEEvSN_
		.amdhsa_group_segment_fixed_size 0
		.amdhsa_private_segment_fixed_size 0
		.amdhsa_kernarg_size 88
		.amdhsa_user_sgpr_count 2
		.amdhsa_user_sgpr_dispatch_ptr 0
		.amdhsa_user_sgpr_queue_ptr 0
		.amdhsa_user_sgpr_kernarg_segment_ptr 1
		.amdhsa_user_sgpr_dispatch_id 0
		.amdhsa_user_sgpr_private_segment_size 0
		.amdhsa_wavefront_size32 1
		.amdhsa_uses_dynamic_stack 0
		.amdhsa_enable_private_segment 0
		.amdhsa_system_sgpr_workgroup_id_x 1
		.amdhsa_system_sgpr_workgroup_id_y 0
		.amdhsa_system_sgpr_workgroup_id_z 0
		.amdhsa_system_sgpr_workgroup_info 0
		.amdhsa_system_vgpr_workitem_id 0
		.amdhsa_next_free_vgpr 1
		.amdhsa_next_free_sgpr 1
		.amdhsa_reserve_vcc 0
		.amdhsa_float_round_mode_32 0
		.amdhsa_float_round_mode_16_64 0
		.amdhsa_float_denorm_mode_32 3
		.amdhsa_float_denorm_mode_16_64 3
		.amdhsa_fp16_overflow 0
		.amdhsa_workgroup_processor_mode 1
		.amdhsa_memory_ordered 1
		.amdhsa_forward_progress 1
		.amdhsa_inst_pref_size 0
		.amdhsa_round_robin_scheduling 0
		.amdhsa_exception_fp_ieee_invalid_op 0
		.amdhsa_exception_fp_denorm_src 0
		.amdhsa_exception_fp_ieee_div_zero 0
		.amdhsa_exception_fp_ieee_overflow 0
		.amdhsa_exception_fp_ieee_underflow 0
		.amdhsa_exception_fp_ieee_inexact 0
		.amdhsa_exception_int_div_zero 0
	.end_amdhsa_kernel
	.section	.text._ZN7rocprim17ROCPRIM_400000_NS6detail17trampoline_kernelINS0_14default_configENS1_35radix_sort_onesweep_config_selectorIjN6thrust23THRUST_200600_302600_NS5tupleIffNS6_9null_typeES8_S8_S8_S8_S8_S8_S8_EEEEZZNS1_29radix_sort_onesweep_iterationIS3_Lb0ENS6_6detail15normal_iteratorINS6_10device_ptrIjEEEESG_NSD_INSE_IS9_EEEESI_jNS0_19identity_decomposerENS1_16block_id_wrapperIjLb1EEEEE10hipError_tT1_PNSt15iterator_traitsISN_E10value_typeET2_T3_PNSO_IST_E10value_typeET4_T5_PSY_SZ_PNS1_23onesweep_lookback_stateEbbT6_jjT7_P12ihipStream_tbENKUlT_T0_SN_SS_E_clISG_PjSI_PS9_EEDaS16_S17_SN_SS_EUlS16_E_NS1_11comp_targetILNS1_3genE6ELNS1_11target_archE950ELNS1_3gpuE13ELNS1_3repE0EEENS1_47radix_sort_onesweep_sort_config_static_selectorELNS0_4arch9wavefront6targetE0EEEvSN_,"axG",@progbits,_ZN7rocprim17ROCPRIM_400000_NS6detail17trampoline_kernelINS0_14default_configENS1_35radix_sort_onesweep_config_selectorIjN6thrust23THRUST_200600_302600_NS5tupleIffNS6_9null_typeES8_S8_S8_S8_S8_S8_S8_EEEEZZNS1_29radix_sort_onesweep_iterationIS3_Lb0ENS6_6detail15normal_iteratorINS6_10device_ptrIjEEEESG_NSD_INSE_IS9_EEEESI_jNS0_19identity_decomposerENS1_16block_id_wrapperIjLb1EEEEE10hipError_tT1_PNSt15iterator_traitsISN_E10value_typeET2_T3_PNSO_IST_E10value_typeET4_T5_PSY_SZ_PNS1_23onesweep_lookback_stateEbbT6_jjT7_P12ihipStream_tbENKUlT_T0_SN_SS_E_clISG_PjSI_PS9_EEDaS16_S17_SN_SS_EUlS16_E_NS1_11comp_targetILNS1_3genE6ELNS1_11target_archE950ELNS1_3gpuE13ELNS1_3repE0EEENS1_47radix_sort_onesweep_sort_config_static_selectorELNS0_4arch9wavefront6targetE0EEEvSN_,comdat
.Lfunc_end185:
	.size	_ZN7rocprim17ROCPRIM_400000_NS6detail17trampoline_kernelINS0_14default_configENS1_35radix_sort_onesweep_config_selectorIjN6thrust23THRUST_200600_302600_NS5tupleIffNS6_9null_typeES8_S8_S8_S8_S8_S8_S8_EEEEZZNS1_29radix_sort_onesweep_iterationIS3_Lb0ENS6_6detail15normal_iteratorINS6_10device_ptrIjEEEESG_NSD_INSE_IS9_EEEESI_jNS0_19identity_decomposerENS1_16block_id_wrapperIjLb1EEEEE10hipError_tT1_PNSt15iterator_traitsISN_E10value_typeET2_T3_PNSO_IST_E10value_typeET4_T5_PSY_SZ_PNS1_23onesweep_lookback_stateEbbT6_jjT7_P12ihipStream_tbENKUlT_T0_SN_SS_E_clISG_PjSI_PS9_EEDaS16_S17_SN_SS_EUlS16_E_NS1_11comp_targetILNS1_3genE6ELNS1_11target_archE950ELNS1_3gpuE13ELNS1_3repE0EEENS1_47radix_sort_onesweep_sort_config_static_selectorELNS0_4arch9wavefront6targetE0EEEvSN_, .Lfunc_end185-_ZN7rocprim17ROCPRIM_400000_NS6detail17trampoline_kernelINS0_14default_configENS1_35radix_sort_onesweep_config_selectorIjN6thrust23THRUST_200600_302600_NS5tupleIffNS6_9null_typeES8_S8_S8_S8_S8_S8_S8_EEEEZZNS1_29radix_sort_onesweep_iterationIS3_Lb0ENS6_6detail15normal_iteratorINS6_10device_ptrIjEEEESG_NSD_INSE_IS9_EEEESI_jNS0_19identity_decomposerENS1_16block_id_wrapperIjLb1EEEEE10hipError_tT1_PNSt15iterator_traitsISN_E10value_typeET2_T3_PNSO_IST_E10value_typeET4_T5_PSY_SZ_PNS1_23onesweep_lookback_stateEbbT6_jjT7_P12ihipStream_tbENKUlT_T0_SN_SS_E_clISG_PjSI_PS9_EEDaS16_S17_SN_SS_EUlS16_E_NS1_11comp_targetILNS1_3genE6ELNS1_11target_archE950ELNS1_3gpuE13ELNS1_3repE0EEENS1_47radix_sort_onesweep_sort_config_static_selectorELNS0_4arch9wavefront6targetE0EEEvSN_
                                        ; -- End function
	.set _ZN7rocprim17ROCPRIM_400000_NS6detail17trampoline_kernelINS0_14default_configENS1_35radix_sort_onesweep_config_selectorIjN6thrust23THRUST_200600_302600_NS5tupleIffNS6_9null_typeES8_S8_S8_S8_S8_S8_S8_EEEEZZNS1_29radix_sort_onesweep_iterationIS3_Lb0ENS6_6detail15normal_iteratorINS6_10device_ptrIjEEEESG_NSD_INSE_IS9_EEEESI_jNS0_19identity_decomposerENS1_16block_id_wrapperIjLb1EEEEE10hipError_tT1_PNSt15iterator_traitsISN_E10value_typeET2_T3_PNSO_IST_E10value_typeET4_T5_PSY_SZ_PNS1_23onesweep_lookback_stateEbbT6_jjT7_P12ihipStream_tbENKUlT_T0_SN_SS_E_clISG_PjSI_PS9_EEDaS16_S17_SN_SS_EUlS16_E_NS1_11comp_targetILNS1_3genE6ELNS1_11target_archE950ELNS1_3gpuE13ELNS1_3repE0EEENS1_47radix_sort_onesweep_sort_config_static_selectorELNS0_4arch9wavefront6targetE0EEEvSN_.num_vgpr, 0
	.set _ZN7rocprim17ROCPRIM_400000_NS6detail17trampoline_kernelINS0_14default_configENS1_35radix_sort_onesweep_config_selectorIjN6thrust23THRUST_200600_302600_NS5tupleIffNS6_9null_typeES8_S8_S8_S8_S8_S8_S8_EEEEZZNS1_29radix_sort_onesweep_iterationIS3_Lb0ENS6_6detail15normal_iteratorINS6_10device_ptrIjEEEESG_NSD_INSE_IS9_EEEESI_jNS0_19identity_decomposerENS1_16block_id_wrapperIjLb1EEEEE10hipError_tT1_PNSt15iterator_traitsISN_E10value_typeET2_T3_PNSO_IST_E10value_typeET4_T5_PSY_SZ_PNS1_23onesweep_lookback_stateEbbT6_jjT7_P12ihipStream_tbENKUlT_T0_SN_SS_E_clISG_PjSI_PS9_EEDaS16_S17_SN_SS_EUlS16_E_NS1_11comp_targetILNS1_3genE6ELNS1_11target_archE950ELNS1_3gpuE13ELNS1_3repE0EEENS1_47radix_sort_onesweep_sort_config_static_selectorELNS0_4arch9wavefront6targetE0EEEvSN_.num_agpr, 0
	.set _ZN7rocprim17ROCPRIM_400000_NS6detail17trampoline_kernelINS0_14default_configENS1_35radix_sort_onesweep_config_selectorIjN6thrust23THRUST_200600_302600_NS5tupleIffNS6_9null_typeES8_S8_S8_S8_S8_S8_S8_EEEEZZNS1_29radix_sort_onesweep_iterationIS3_Lb0ENS6_6detail15normal_iteratorINS6_10device_ptrIjEEEESG_NSD_INSE_IS9_EEEESI_jNS0_19identity_decomposerENS1_16block_id_wrapperIjLb1EEEEE10hipError_tT1_PNSt15iterator_traitsISN_E10value_typeET2_T3_PNSO_IST_E10value_typeET4_T5_PSY_SZ_PNS1_23onesweep_lookback_stateEbbT6_jjT7_P12ihipStream_tbENKUlT_T0_SN_SS_E_clISG_PjSI_PS9_EEDaS16_S17_SN_SS_EUlS16_E_NS1_11comp_targetILNS1_3genE6ELNS1_11target_archE950ELNS1_3gpuE13ELNS1_3repE0EEENS1_47radix_sort_onesweep_sort_config_static_selectorELNS0_4arch9wavefront6targetE0EEEvSN_.numbered_sgpr, 0
	.set _ZN7rocprim17ROCPRIM_400000_NS6detail17trampoline_kernelINS0_14default_configENS1_35radix_sort_onesweep_config_selectorIjN6thrust23THRUST_200600_302600_NS5tupleIffNS6_9null_typeES8_S8_S8_S8_S8_S8_S8_EEEEZZNS1_29radix_sort_onesweep_iterationIS3_Lb0ENS6_6detail15normal_iteratorINS6_10device_ptrIjEEEESG_NSD_INSE_IS9_EEEESI_jNS0_19identity_decomposerENS1_16block_id_wrapperIjLb1EEEEE10hipError_tT1_PNSt15iterator_traitsISN_E10value_typeET2_T3_PNSO_IST_E10value_typeET4_T5_PSY_SZ_PNS1_23onesweep_lookback_stateEbbT6_jjT7_P12ihipStream_tbENKUlT_T0_SN_SS_E_clISG_PjSI_PS9_EEDaS16_S17_SN_SS_EUlS16_E_NS1_11comp_targetILNS1_3genE6ELNS1_11target_archE950ELNS1_3gpuE13ELNS1_3repE0EEENS1_47radix_sort_onesweep_sort_config_static_selectorELNS0_4arch9wavefront6targetE0EEEvSN_.num_named_barrier, 0
	.set _ZN7rocprim17ROCPRIM_400000_NS6detail17trampoline_kernelINS0_14default_configENS1_35radix_sort_onesweep_config_selectorIjN6thrust23THRUST_200600_302600_NS5tupleIffNS6_9null_typeES8_S8_S8_S8_S8_S8_S8_EEEEZZNS1_29radix_sort_onesweep_iterationIS3_Lb0ENS6_6detail15normal_iteratorINS6_10device_ptrIjEEEESG_NSD_INSE_IS9_EEEESI_jNS0_19identity_decomposerENS1_16block_id_wrapperIjLb1EEEEE10hipError_tT1_PNSt15iterator_traitsISN_E10value_typeET2_T3_PNSO_IST_E10value_typeET4_T5_PSY_SZ_PNS1_23onesweep_lookback_stateEbbT6_jjT7_P12ihipStream_tbENKUlT_T0_SN_SS_E_clISG_PjSI_PS9_EEDaS16_S17_SN_SS_EUlS16_E_NS1_11comp_targetILNS1_3genE6ELNS1_11target_archE950ELNS1_3gpuE13ELNS1_3repE0EEENS1_47radix_sort_onesweep_sort_config_static_selectorELNS0_4arch9wavefront6targetE0EEEvSN_.private_seg_size, 0
	.set _ZN7rocprim17ROCPRIM_400000_NS6detail17trampoline_kernelINS0_14default_configENS1_35radix_sort_onesweep_config_selectorIjN6thrust23THRUST_200600_302600_NS5tupleIffNS6_9null_typeES8_S8_S8_S8_S8_S8_S8_EEEEZZNS1_29radix_sort_onesweep_iterationIS3_Lb0ENS6_6detail15normal_iteratorINS6_10device_ptrIjEEEESG_NSD_INSE_IS9_EEEESI_jNS0_19identity_decomposerENS1_16block_id_wrapperIjLb1EEEEE10hipError_tT1_PNSt15iterator_traitsISN_E10value_typeET2_T3_PNSO_IST_E10value_typeET4_T5_PSY_SZ_PNS1_23onesweep_lookback_stateEbbT6_jjT7_P12ihipStream_tbENKUlT_T0_SN_SS_E_clISG_PjSI_PS9_EEDaS16_S17_SN_SS_EUlS16_E_NS1_11comp_targetILNS1_3genE6ELNS1_11target_archE950ELNS1_3gpuE13ELNS1_3repE0EEENS1_47radix_sort_onesweep_sort_config_static_selectorELNS0_4arch9wavefront6targetE0EEEvSN_.uses_vcc, 0
	.set _ZN7rocprim17ROCPRIM_400000_NS6detail17trampoline_kernelINS0_14default_configENS1_35radix_sort_onesweep_config_selectorIjN6thrust23THRUST_200600_302600_NS5tupleIffNS6_9null_typeES8_S8_S8_S8_S8_S8_S8_EEEEZZNS1_29radix_sort_onesweep_iterationIS3_Lb0ENS6_6detail15normal_iteratorINS6_10device_ptrIjEEEESG_NSD_INSE_IS9_EEEESI_jNS0_19identity_decomposerENS1_16block_id_wrapperIjLb1EEEEE10hipError_tT1_PNSt15iterator_traitsISN_E10value_typeET2_T3_PNSO_IST_E10value_typeET4_T5_PSY_SZ_PNS1_23onesweep_lookback_stateEbbT6_jjT7_P12ihipStream_tbENKUlT_T0_SN_SS_E_clISG_PjSI_PS9_EEDaS16_S17_SN_SS_EUlS16_E_NS1_11comp_targetILNS1_3genE6ELNS1_11target_archE950ELNS1_3gpuE13ELNS1_3repE0EEENS1_47radix_sort_onesweep_sort_config_static_selectorELNS0_4arch9wavefront6targetE0EEEvSN_.uses_flat_scratch, 0
	.set _ZN7rocprim17ROCPRIM_400000_NS6detail17trampoline_kernelINS0_14default_configENS1_35radix_sort_onesweep_config_selectorIjN6thrust23THRUST_200600_302600_NS5tupleIffNS6_9null_typeES8_S8_S8_S8_S8_S8_S8_EEEEZZNS1_29radix_sort_onesweep_iterationIS3_Lb0ENS6_6detail15normal_iteratorINS6_10device_ptrIjEEEESG_NSD_INSE_IS9_EEEESI_jNS0_19identity_decomposerENS1_16block_id_wrapperIjLb1EEEEE10hipError_tT1_PNSt15iterator_traitsISN_E10value_typeET2_T3_PNSO_IST_E10value_typeET4_T5_PSY_SZ_PNS1_23onesweep_lookback_stateEbbT6_jjT7_P12ihipStream_tbENKUlT_T0_SN_SS_E_clISG_PjSI_PS9_EEDaS16_S17_SN_SS_EUlS16_E_NS1_11comp_targetILNS1_3genE6ELNS1_11target_archE950ELNS1_3gpuE13ELNS1_3repE0EEENS1_47radix_sort_onesweep_sort_config_static_selectorELNS0_4arch9wavefront6targetE0EEEvSN_.has_dyn_sized_stack, 0
	.set _ZN7rocprim17ROCPRIM_400000_NS6detail17trampoline_kernelINS0_14default_configENS1_35radix_sort_onesweep_config_selectorIjN6thrust23THRUST_200600_302600_NS5tupleIffNS6_9null_typeES8_S8_S8_S8_S8_S8_S8_EEEEZZNS1_29radix_sort_onesweep_iterationIS3_Lb0ENS6_6detail15normal_iteratorINS6_10device_ptrIjEEEESG_NSD_INSE_IS9_EEEESI_jNS0_19identity_decomposerENS1_16block_id_wrapperIjLb1EEEEE10hipError_tT1_PNSt15iterator_traitsISN_E10value_typeET2_T3_PNSO_IST_E10value_typeET4_T5_PSY_SZ_PNS1_23onesweep_lookback_stateEbbT6_jjT7_P12ihipStream_tbENKUlT_T0_SN_SS_E_clISG_PjSI_PS9_EEDaS16_S17_SN_SS_EUlS16_E_NS1_11comp_targetILNS1_3genE6ELNS1_11target_archE950ELNS1_3gpuE13ELNS1_3repE0EEENS1_47radix_sort_onesweep_sort_config_static_selectorELNS0_4arch9wavefront6targetE0EEEvSN_.has_recursion, 0
	.set _ZN7rocprim17ROCPRIM_400000_NS6detail17trampoline_kernelINS0_14default_configENS1_35radix_sort_onesweep_config_selectorIjN6thrust23THRUST_200600_302600_NS5tupleIffNS6_9null_typeES8_S8_S8_S8_S8_S8_S8_EEEEZZNS1_29radix_sort_onesweep_iterationIS3_Lb0ENS6_6detail15normal_iteratorINS6_10device_ptrIjEEEESG_NSD_INSE_IS9_EEEESI_jNS0_19identity_decomposerENS1_16block_id_wrapperIjLb1EEEEE10hipError_tT1_PNSt15iterator_traitsISN_E10value_typeET2_T3_PNSO_IST_E10value_typeET4_T5_PSY_SZ_PNS1_23onesweep_lookback_stateEbbT6_jjT7_P12ihipStream_tbENKUlT_T0_SN_SS_E_clISG_PjSI_PS9_EEDaS16_S17_SN_SS_EUlS16_E_NS1_11comp_targetILNS1_3genE6ELNS1_11target_archE950ELNS1_3gpuE13ELNS1_3repE0EEENS1_47radix_sort_onesweep_sort_config_static_selectorELNS0_4arch9wavefront6targetE0EEEvSN_.has_indirect_call, 0
	.section	.AMDGPU.csdata,"",@progbits
; Kernel info:
; codeLenInByte = 0
; TotalNumSgprs: 0
; NumVgprs: 0
; ScratchSize: 0
; MemoryBound: 0
; FloatMode: 240
; IeeeMode: 1
; LDSByteSize: 0 bytes/workgroup (compile time only)
; SGPRBlocks: 0
; VGPRBlocks: 0
; NumSGPRsForWavesPerEU: 1
; NumVGPRsForWavesPerEU: 1
; Occupancy: 16
; WaveLimiterHint : 0
; COMPUTE_PGM_RSRC2:SCRATCH_EN: 0
; COMPUTE_PGM_RSRC2:USER_SGPR: 2
; COMPUTE_PGM_RSRC2:TRAP_HANDLER: 0
; COMPUTE_PGM_RSRC2:TGID_X_EN: 1
; COMPUTE_PGM_RSRC2:TGID_Y_EN: 0
; COMPUTE_PGM_RSRC2:TGID_Z_EN: 0
; COMPUTE_PGM_RSRC2:TIDIG_COMP_CNT: 0
	.section	.text._ZN7rocprim17ROCPRIM_400000_NS6detail17trampoline_kernelINS0_14default_configENS1_35radix_sort_onesweep_config_selectorIjN6thrust23THRUST_200600_302600_NS5tupleIffNS6_9null_typeES8_S8_S8_S8_S8_S8_S8_EEEEZZNS1_29radix_sort_onesweep_iterationIS3_Lb0ENS6_6detail15normal_iteratorINS6_10device_ptrIjEEEESG_NSD_INSE_IS9_EEEESI_jNS0_19identity_decomposerENS1_16block_id_wrapperIjLb1EEEEE10hipError_tT1_PNSt15iterator_traitsISN_E10value_typeET2_T3_PNSO_IST_E10value_typeET4_T5_PSY_SZ_PNS1_23onesweep_lookback_stateEbbT6_jjT7_P12ihipStream_tbENKUlT_T0_SN_SS_E_clISG_PjSI_PS9_EEDaS16_S17_SN_SS_EUlS16_E_NS1_11comp_targetILNS1_3genE5ELNS1_11target_archE942ELNS1_3gpuE9ELNS1_3repE0EEENS1_47radix_sort_onesweep_sort_config_static_selectorELNS0_4arch9wavefront6targetE0EEEvSN_,"axG",@progbits,_ZN7rocprim17ROCPRIM_400000_NS6detail17trampoline_kernelINS0_14default_configENS1_35radix_sort_onesweep_config_selectorIjN6thrust23THRUST_200600_302600_NS5tupleIffNS6_9null_typeES8_S8_S8_S8_S8_S8_S8_EEEEZZNS1_29radix_sort_onesweep_iterationIS3_Lb0ENS6_6detail15normal_iteratorINS6_10device_ptrIjEEEESG_NSD_INSE_IS9_EEEESI_jNS0_19identity_decomposerENS1_16block_id_wrapperIjLb1EEEEE10hipError_tT1_PNSt15iterator_traitsISN_E10value_typeET2_T3_PNSO_IST_E10value_typeET4_T5_PSY_SZ_PNS1_23onesweep_lookback_stateEbbT6_jjT7_P12ihipStream_tbENKUlT_T0_SN_SS_E_clISG_PjSI_PS9_EEDaS16_S17_SN_SS_EUlS16_E_NS1_11comp_targetILNS1_3genE5ELNS1_11target_archE942ELNS1_3gpuE9ELNS1_3repE0EEENS1_47radix_sort_onesweep_sort_config_static_selectorELNS0_4arch9wavefront6targetE0EEEvSN_,comdat
	.protected	_ZN7rocprim17ROCPRIM_400000_NS6detail17trampoline_kernelINS0_14default_configENS1_35radix_sort_onesweep_config_selectorIjN6thrust23THRUST_200600_302600_NS5tupleIffNS6_9null_typeES8_S8_S8_S8_S8_S8_S8_EEEEZZNS1_29radix_sort_onesweep_iterationIS3_Lb0ENS6_6detail15normal_iteratorINS6_10device_ptrIjEEEESG_NSD_INSE_IS9_EEEESI_jNS0_19identity_decomposerENS1_16block_id_wrapperIjLb1EEEEE10hipError_tT1_PNSt15iterator_traitsISN_E10value_typeET2_T3_PNSO_IST_E10value_typeET4_T5_PSY_SZ_PNS1_23onesweep_lookback_stateEbbT6_jjT7_P12ihipStream_tbENKUlT_T0_SN_SS_E_clISG_PjSI_PS9_EEDaS16_S17_SN_SS_EUlS16_E_NS1_11comp_targetILNS1_3genE5ELNS1_11target_archE942ELNS1_3gpuE9ELNS1_3repE0EEENS1_47radix_sort_onesweep_sort_config_static_selectorELNS0_4arch9wavefront6targetE0EEEvSN_ ; -- Begin function _ZN7rocprim17ROCPRIM_400000_NS6detail17trampoline_kernelINS0_14default_configENS1_35radix_sort_onesweep_config_selectorIjN6thrust23THRUST_200600_302600_NS5tupleIffNS6_9null_typeES8_S8_S8_S8_S8_S8_S8_EEEEZZNS1_29radix_sort_onesweep_iterationIS3_Lb0ENS6_6detail15normal_iteratorINS6_10device_ptrIjEEEESG_NSD_INSE_IS9_EEEESI_jNS0_19identity_decomposerENS1_16block_id_wrapperIjLb1EEEEE10hipError_tT1_PNSt15iterator_traitsISN_E10value_typeET2_T3_PNSO_IST_E10value_typeET4_T5_PSY_SZ_PNS1_23onesweep_lookback_stateEbbT6_jjT7_P12ihipStream_tbENKUlT_T0_SN_SS_E_clISG_PjSI_PS9_EEDaS16_S17_SN_SS_EUlS16_E_NS1_11comp_targetILNS1_3genE5ELNS1_11target_archE942ELNS1_3gpuE9ELNS1_3repE0EEENS1_47radix_sort_onesweep_sort_config_static_selectorELNS0_4arch9wavefront6targetE0EEEvSN_
	.globl	_ZN7rocprim17ROCPRIM_400000_NS6detail17trampoline_kernelINS0_14default_configENS1_35radix_sort_onesweep_config_selectorIjN6thrust23THRUST_200600_302600_NS5tupleIffNS6_9null_typeES8_S8_S8_S8_S8_S8_S8_EEEEZZNS1_29radix_sort_onesweep_iterationIS3_Lb0ENS6_6detail15normal_iteratorINS6_10device_ptrIjEEEESG_NSD_INSE_IS9_EEEESI_jNS0_19identity_decomposerENS1_16block_id_wrapperIjLb1EEEEE10hipError_tT1_PNSt15iterator_traitsISN_E10value_typeET2_T3_PNSO_IST_E10value_typeET4_T5_PSY_SZ_PNS1_23onesweep_lookback_stateEbbT6_jjT7_P12ihipStream_tbENKUlT_T0_SN_SS_E_clISG_PjSI_PS9_EEDaS16_S17_SN_SS_EUlS16_E_NS1_11comp_targetILNS1_3genE5ELNS1_11target_archE942ELNS1_3gpuE9ELNS1_3repE0EEENS1_47radix_sort_onesweep_sort_config_static_selectorELNS0_4arch9wavefront6targetE0EEEvSN_
	.p2align	8
	.type	_ZN7rocprim17ROCPRIM_400000_NS6detail17trampoline_kernelINS0_14default_configENS1_35radix_sort_onesweep_config_selectorIjN6thrust23THRUST_200600_302600_NS5tupleIffNS6_9null_typeES8_S8_S8_S8_S8_S8_S8_EEEEZZNS1_29radix_sort_onesweep_iterationIS3_Lb0ENS6_6detail15normal_iteratorINS6_10device_ptrIjEEEESG_NSD_INSE_IS9_EEEESI_jNS0_19identity_decomposerENS1_16block_id_wrapperIjLb1EEEEE10hipError_tT1_PNSt15iterator_traitsISN_E10value_typeET2_T3_PNSO_IST_E10value_typeET4_T5_PSY_SZ_PNS1_23onesweep_lookback_stateEbbT6_jjT7_P12ihipStream_tbENKUlT_T0_SN_SS_E_clISG_PjSI_PS9_EEDaS16_S17_SN_SS_EUlS16_E_NS1_11comp_targetILNS1_3genE5ELNS1_11target_archE942ELNS1_3gpuE9ELNS1_3repE0EEENS1_47radix_sort_onesweep_sort_config_static_selectorELNS0_4arch9wavefront6targetE0EEEvSN_,@function
_ZN7rocprim17ROCPRIM_400000_NS6detail17trampoline_kernelINS0_14default_configENS1_35radix_sort_onesweep_config_selectorIjN6thrust23THRUST_200600_302600_NS5tupleIffNS6_9null_typeES8_S8_S8_S8_S8_S8_S8_EEEEZZNS1_29radix_sort_onesweep_iterationIS3_Lb0ENS6_6detail15normal_iteratorINS6_10device_ptrIjEEEESG_NSD_INSE_IS9_EEEESI_jNS0_19identity_decomposerENS1_16block_id_wrapperIjLb1EEEEE10hipError_tT1_PNSt15iterator_traitsISN_E10value_typeET2_T3_PNSO_IST_E10value_typeET4_T5_PSY_SZ_PNS1_23onesweep_lookback_stateEbbT6_jjT7_P12ihipStream_tbENKUlT_T0_SN_SS_E_clISG_PjSI_PS9_EEDaS16_S17_SN_SS_EUlS16_E_NS1_11comp_targetILNS1_3genE5ELNS1_11target_archE942ELNS1_3gpuE9ELNS1_3repE0EEENS1_47radix_sort_onesweep_sort_config_static_selectorELNS0_4arch9wavefront6targetE0EEEvSN_: ; @_ZN7rocprim17ROCPRIM_400000_NS6detail17trampoline_kernelINS0_14default_configENS1_35radix_sort_onesweep_config_selectorIjN6thrust23THRUST_200600_302600_NS5tupleIffNS6_9null_typeES8_S8_S8_S8_S8_S8_S8_EEEEZZNS1_29radix_sort_onesweep_iterationIS3_Lb0ENS6_6detail15normal_iteratorINS6_10device_ptrIjEEEESG_NSD_INSE_IS9_EEEESI_jNS0_19identity_decomposerENS1_16block_id_wrapperIjLb1EEEEE10hipError_tT1_PNSt15iterator_traitsISN_E10value_typeET2_T3_PNSO_IST_E10value_typeET4_T5_PSY_SZ_PNS1_23onesweep_lookback_stateEbbT6_jjT7_P12ihipStream_tbENKUlT_T0_SN_SS_E_clISG_PjSI_PS9_EEDaS16_S17_SN_SS_EUlS16_E_NS1_11comp_targetILNS1_3genE5ELNS1_11target_archE942ELNS1_3gpuE9ELNS1_3repE0EEENS1_47radix_sort_onesweep_sort_config_static_selectorELNS0_4arch9wavefront6targetE0EEEvSN_
; %bb.0:
	.section	.rodata,"a",@progbits
	.p2align	6, 0x0
	.amdhsa_kernel _ZN7rocprim17ROCPRIM_400000_NS6detail17trampoline_kernelINS0_14default_configENS1_35radix_sort_onesweep_config_selectorIjN6thrust23THRUST_200600_302600_NS5tupleIffNS6_9null_typeES8_S8_S8_S8_S8_S8_S8_EEEEZZNS1_29radix_sort_onesweep_iterationIS3_Lb0ENS6_6detail15normal_iteratorINS6_10device_ptrIjEEEESG_NSD_INSE_IS9_EEEESI_jNS0_19identity_decomposerENS1_16block_id_wrapperIjLb1EEEEE10hipError_tT1_PNSt15iterator_traitsISN_E10value_typeET2_T3_PNSO_IST_E10value_typeET4_T5_PSY_SZ_PNS1_23onesweep_lookback_stateEbbT6_jjT7_P12ihipStream_tbENKUlT_T0_SN_SS_E_clISG_PjSI_PS9_EEDaS16_S17_SN_SS_EUlS16_E_NS1_11comp_targetILNS1_3genE5ELNS1_11target_archE942ELNS1_3gpuE9ELNS1_3repE0EEENS1_47radix_sort_onesweep_sort_config_static_selectorELNS0_4arch9wavefront6targetE0EEEvSN_
		.amdhsa_group_segment_fixed_size 0
		.amdhsa_private_segment_fixed_size 0
		.amdhsa_kernarg_size 88
		.amdhsa_user_sgpr_count 2
		.amdhsa_user_sgpr_dispatch_ptr 0
		.amdhsa_user_sgpr_queue_ptr 0
		.amdhsa_user_sgpr_kernarg_segment_ptr 1
		.amdhsa_user_sgpr_dispatch_id 0
		.amdhsa_user_sgpr_private_segment_size 0
		.amdhsa_wavefront_size32 1
		.amdhsa_uses_dynamic_stack 0
		.amdhsa_enable_private_segment 0
		.amdhsa_system_sgpr_workgroup_id_x 1
		.amdhsa_system_sgpr_workgroup_id_y 0
		.amdhsa_system_sgpr_workgroup_id_z 0
		.amdhsa_system_sgpr_workgroup_info 0
		.amdhsa_system_vgpr_workitem_id 0
		.amdhsa_next_free_vgpr 1
		.amdhsa_next_free_sgpr 1
		.amdhsa_reserve_vcc 0
		.amdhsa_float_round_mode_32 0
		.amdhsa_float_round_mode_16_64 0
		.amdhsa_float_denorm_mode_32 3
		.amdhsa_float_denorm_mode_16_64 3
		.amdhsa_fp16_overflow 0
		.amdhsa_workgroup_processor_mode 1
		.amdhsa_memory_ordered 1
		.amdhsa_forward_progress 1
		.amdhsa_inst_pref_size 0
		.amdhsa_round_robin_scheduling 0
		.amdhsa_exception_fp_ieee_invalid_op 0
		.amdhsa_exception_fp_denorm_src 0
		.amdhsa_exception_fp_ieee_div_zero 0
		.amdhsa_exception_fp_ieee_overflow 0
		.amdhsa_exception_fp_ieee_underflow 0
		.amdhsa_exception_fp_ieee_inexact 0
		.amdhsa_exception_int_div_zero 0
	.end_amdhsa_kernel
	.section	.text._ZN7rocprim17ROCPRIM_400000_NS6detail17trampoline_kernelINS0_14default_configENS1_35radix_sort_onesweep_config_selectorIjN6thrust23THRUST_200600_302600_NS5tupleIffNS6_9null_typeES8_S8_S8_S8_S8_S8_S8_EEEEZZNS1_29radix_sort_onesweep_iterationIS3_Lb0ENS6_6detail15normal_iteratorINS6_10device_ptrIjEEEESG_NSD_INSE_IS9_EEEESI_jNS0_19identity_decomposerENS1_16block_id_wrapperIjLb1EEEEE10hipError_tT1_PNSt15iterator_traitsISN_E10value_typeET2_T3_PNSO_IST_E10value_typeET4_T5_PSY_SZ_PNS1_23onesweep_lookback_stateEbbT6_jjT7_P12ihipStream_tbENKUlT_T0_SN_SS_E_clISG_PjSI_PS9_EEDaS16_S17_SN_SS_EUlS16_E_NS1_11comp_targetILNS1_3genE5ELNS1_11target_archE942ELNS1_3gpuE9ELNS1_3repE0EEENS1_47radix_sort_onesweep_sort_config_static_selectorELNS0_4arch9wavefront6targetE0EEEvSN_,"axG",@progbits,_ZN7rocprim17ROCPRIM_400000_NS6detail17trampoline_kernelINS0_14default_configENS1_35radix_sort_onesweep_config_selectorIjN6thrust23THRUST_200600_302600_NS5tupleIffNS6_9null_typeES8_S8_S8_S8_S8_S8_S8_EEEEZZNS1_29radix_sort_onesweep_iterationIS3_Lb0ENS6_6detail15normal_iteratorINS6_10device_ptrIjEEEESG_NSD_INSE_IS9_EEEESI_jNS0_19identity_decomposerENS1_16block_id_wrapperIjLb1EEEEE10hipError_tT1_PNSt15iterator_traitsISN_E10value_typeET2_T3_PNSO_IST_E10value_typeET4_T5_PSY_SZ_PNS1_23onesweep_lookback_stateEbbT6_jjT7_P12ihipStream_tbENKUlT_T0_SN_SS_E_clISG_PjSI_PS9_EEDaS16_S17_SN_SS_EUlS16_E_NS1_11comp_targetILNS1_3genE5ELNS1_11target_archE942ELNS1_3gpuE9ELNS1_3repE0EEENS1_47radix_sort_onesweep_sort_config_static_selectorELNS0_4arch9wavefront6targetE0EEEvSN_,comdat
.Lfunc_end186:
	.size	_ZN7rocprim17ROCPRIM_400000_NS6detail17trampoline_kernelINS0_14default_configENS1_35radix_sort_onesweep_config_selectorIjN6thrust23THRUST_200600_302600_NS5tupleIffNS6_9null_typeES8_S8_S8_S8_S8_S8_S8_EEEEZZNS1_29radix_sort_onesweep_iterationIS3_Lb0ENS6_6detail15normal_iteratorINS6_10device_ptrIjEEEESG_NSD_INSE_IS9_EEEESI_jNS0_19identity_decomposerENS1_16block_id_wrapperIjLb1EEEEE10hipError_tT1_PNSt15iterator_traitsISN_E10value_typeET2_T3_PNSO_IST_E10value_typeET4_T5_PSY_SZ_PNS1_23onesweep_lookback_stateEbbT6_jjT7_P12ihipStream_tbENKUlT_T0_SN_SS_E_clISG_PjSI_PS9_EEDaS16_S17_SN_SS_EUlS16_E_NS1_11comp_targetILNS1_3genE5ELNS1_11target_archE942ELNS1_3gpuE9ELNS1_3repE0EEENS1_47radix_sort_onesweep_sort_config_static_selectorELNS0_4arch9wavefront6targetE0EEEvSN_, .Lfunc_end186-_ZN7rocprim17ROCPRIM_400000_NS6detail17trampoline_kernelINS0_14default_configENS1_35radix_sort_onesweep_config_selectorIjN6thrust23THRUST_200600_302600_NS5tupleIffNS6_9null_typeES8_S8_S8_S8_S8_S8_S8_EEEEZZNS1_29radix_sort_onesweep_iterationIS3_Lb0ENS6_6detail15normal_iteratorINS6_10device_ptrIjEEEESG_NSD_INSE_IS9_EEEESI_jNS0_19identity_decomposerENS1_16block_id_wrapperIjLb1EEEEE10hipError_tT1_PNSt15iterator_traitsISN_E10value_typeET2_T3_PNSO_IST_E10value_typeET4_T5_PSY_SZ_PNS1_23onesweep_lookback_stateEbbT6_jjT7_P12ihipStream_tbENKUlT_T0_SN_SS_E_clISG_PjSI_PS9_EEDaS16_S17_SN_SS_EUlS16_E_NS1_11comp_targetILNS1_3genE5ELNS1_11target_archE942ELNS1_3gpuE9ELNS1_3repE0EEENS1_47radix_sort_onesweep_sort_config_static_selectorELNS0_4arch9wavefront6targetE0EEEvSN_
                                        ; -- End function
	.set _ZN7rocprim17ROCPRIM_400000_NS6detail17trampoline_kernelINS0_14default_configENS1_35radix_sort_onesweep_config_selectorIjN6thrust23THRUST_200600_302600_NS5tupleIffNS6_9null_typeES8_S8_S8_S8_S8_S8_S8_EEEEZZNS1_29radix_sort_onesweep_iterationIS3_Lb0ENS6_6detail15normal_iteratorINS6_10device_ptrIjEEEESG_NSD_INSE_IS9_EEEESI_jNS0_19identity_decomposerENS1_16block_id_wrapperIjLb1EEEEE10hipError_tT1_PNSt15iterator_traitsISN_E10value_typeET2_T3_PNSO_IST_E10value_typeET4_T5_PSY_SZ_PNS1_23onesweep_lookback_stateEbbT6_jjT7_P12ihipStream_tbENKUlT_T0_SN_SS_E_clISG_PjSI_PS9_EEDaS16_S17_SN_SS_EUlS16_E_NS1_11comp_targetILNS1_3genE5ELNS1_11target_archE942ELNS1_3gpuE9ELNS1_3repE0EEENS1_47radix_sort_onesweep_sort_config_static_selectorELNS0_4arch9wavefront6targetE0EEEvSN_.num_vgpr, 0
	.set _ZN7rocprim17ROCPRIM_400000_NS6detail17trampoline_kernelINS0_14default_configENS1_35radix_sort_onesweep_config_selectorIjN6thrust23THRUST_200600_302600_NS5tupleIffNS6_9null_typeES8_S8_S8_S8_S8_S8_S8_EEEEZZNS1_29radix_sort_onesweep_iterationIS3_Lb0ENS6_6detail15normal_iteratorINS6_10device_ptrIjEEEESG_NSD_INSE_IS9_EEEESI_jNS0_19identity_decomposerENS1_16block_id_wrapperIjLb1EEEEE10hipError_tT1_PNSt15iterator_traitsISN_E10value_typeET2_T3_PNSO_IST_E10value_typeET4_T5_PSY_SZ_PNS1_23onesweep_lookback_stateEbbT6_jjT7_P12ihipStream_tbENKUlT_T0_SN_SS_E_clISG_PjSI_PS9_EEDaS16_S17_SN_SS_EUlS16_E_NS1_11comp_targetILNS1_3genE5ELNS1_11target_archE942ELNS1_3gpuE9ELNS1_3repE0EEENS1_47radix_sort_onesweep_sort_config_static_selectorELNS0_4arch9wavefront6targetE0EEEvSN_.num_agpr, 0
	.set _ZN7rocprim17ROCPRIM_400000_NS6detail17trampoline_kernelINS0_14default_configENS1_35radix_sort_onesweep_config_selectorIjN6thrust23THRUST_200600_302600_NS5tupleIffNS6_9null_typeES8_S8_S8_S8_S8_S8_S8_EEEEZZNS1_29radix_sort_onesweep_iterationIS3_Lb0ENS6_6detail15normal_iteratorINS6_10device_ptrIjEEEESG_NSD_INSE_IS9_EEEESI_jNS0_19identity_decomposerENS1_16block_id_wrapperIjLb1EEEEE10hipError_tT1_PNSt15iterator_traitsISN_E10value_typeET2_T3_PNSO_IST_E10value_typeET4_T5_PSY_SZ_PNS1_23onesweep_lookback_stateEbbT6_jjT7_P12ihipStream_tbENKUlT_T0_SN_SS_E_clISG_PjSI_PS9_EEDaS16_S17_SN_SS_EUlS16_E_NS1_11comp_targetILNS1_3genE5ELNS1_11target_archE942ELNS1_3gpuE9ELNS1_3repE0EEENS1_47radix_sort_onesweep_sort_config_static_selectorELNS0_4arch9wavefront6targetE0EEEvSN_.numbered_sgpr, 0
	.set _ZN7rocprim17ROCPRIM_400000_NS6detail17trampoline_kernelINS0_14default_configENS1_35radix_sort_onesweep_config_selectorIjN6thrust23THRUST_200600_302600_NS5tupleIffNS6_9null_typeES8_S8_S8_S8_S8_S8_S8_EEEEZZNS1_29radix_sort_onesweep_iterationIS3_Lb0ENS6_6detail15normal_iteratorINS6_10device_ptrIjEEEESG_NSD_INSE_IS9_EEEESI_jNS0_19identity_decomposerENS1_16block_id_wrapperIjLb1EEEEE10hipError_tT1_PNSt15iterator_traitsISN_E10value_typeET2_T3_PNSO_IST_E10value_typeET4_T5_PSY_SZ_PNS1_23onesweep_lookback_stateEbbT6_jjT7_P12ihipStream_tbENKUlT_T0_SN_SS_E_clISG_PjSI_PS9_EEDaS16_S17_SN_SS_EUlS16_E_NS1_11comp_targetILNS1_3genE5ELNS1_11target_archE942ELNS1_3gpuE9ELNS1_3repE0EEENS1_47radix_sort_onesweep_sort_config_static_selectorELNS0_4arch9wavefront6targetE0EEEvSN_.num_named_barrier, 0
	.set _ZN7rocprim17ROCPRIM_400000_NS6detail17trampoline_kernelINS0_14default_configENS1_35radix_sort_onesweep_config_selectorIjN6thrust23THRUST_200600_302600_NS5tupleIffNS6_9null_typeES8_S8_S8_S8_S8_S8_S8_EEEEZZNS1_29radix_sort_onesweep_iterationIS3_Lb0ENS6_6detail15normal_iteratorINS6_10device_ptrIjEEEESG_NSD_INSE_IS9_EEEESI_jNS0_19identity_decomposerENS1_16block_id_wrapperIjLb1EEEEE10hipError_tT1_PNSt15iterator_traitsISN_E10value_typeET2_T3_PNSO_IST_E10value_typeET4_T5_PSY_SZ_PNS1_23onesweep_lookback_stateEbbT6_jjT7_P12ihipStream_tbENKUlT_T0_SN_SS_E_clISG_PjSI_PS9_EEDaS16_S17_SN_SS_EUlS16_E_NS1_11comp_targetILNS1_3genE5ELNS1_11target_archE942ELNS1_3gpuE9ELNS1_3repE0EEENS1_47radix_sort_onesweep_sort_config_static_selectorELNS0_4arch9wavefront6targetE0EEEvSN_.private_seg_size, 0
	.set _ZN7rocprim17ROCPRIM_400000_NS6detail17trampoline_kernelINS0_14default_configENS1_35radix_sort_onesweep_config_selectorIjN6thrust23THRUST_200600_302600_NS5tupleIffNS6_9null_typeES8_S8_S8_S8_S8_S8_S8_EEEEZZNS1_29radix_sort_onesweep_iterationIS3_Lb0ENS6_6detail15normal_iteratorINS6_10device_ptrIjEEEESG_NSD_INSE_IS9_EEEESI_jNS0_19identity_decomposerENS1_16block_id_wrapperIjLb1EEEEE10hipError_tT1_PNSt15iterator_traitsISN_E10value_typeET2_T3_PNSO_IST_E10value_typeET4_T5_PSY_SZ_PNS1_23onesweep_lookback_stateEbbT6_jjT7_P12ihipStream_tbENKUlT_T0_SN_SS_E_clISG_PjSI_PS9_EEDaS16_S17_SN_SS_EUlS16_E_NS1_11comp_targetILNS1_3genE5ELNS1_11target_archE942ELNS1_3gpuE9ELNS1_3repE0EEENS1_47radix_sort_onesweep_sort_config_static_selectorELNS0_4arch9wavefront6targetE0EEEvSN_.uses_vcc, 0
	.set _ZN7rocprim17ROCPRIM_400000_NS6detail17trampoline_kernelINS0_14default_configENS1_35radix_sort_onesweep_config_selectorIjN6thrust23THRUST_200600_302600_NS5tupleIffNS6_9null_typeES8_S8_S8_S8_S8_S8_S8_EEEEZZNS1_29radix_sort_onesweep_iterationIS3_Lb0ENS6_6detail15normal_iteratorINS6_10device_ptrIjEEEESG_NSD_INSE_IS9_EEEESI_jNS0_19identity_decomposerENS1_16block_id_wrapperIjLb1EEEEE10hipError_tT1_PNSt15iterator_traitsISN_E10value_typeET2_T3_PNSO_IST_E10value_typeET4_T5_PSY_SZ_PNS1_23onesweep_lookback_stateEbbT6_jjT7_P12ihipStream_tbENKUlT_T0_SN_SS_E_clISG_PjSI_PS9_EEDaS16_S17_SN_SS_EUlS16_E_NS1_11comp_targetILNS1_3genE5ELNS1_11target_archE942ELNS1_3gpuE9ELNS1_3repE0EEENS1_47radix_sort_onesweep_sort_config_static_selectorELNS0_4arch9wavefront6targetE0EEEvSN_.uses_flat_scratch, 0
	.set _ZN7rocprim17ROCPRIM_400000_NS6detail17trampoline_kernelINS0_14default_configENS1_35radix_sort_onesweep_config_selectorIjN6thrust23THRUST_200600_302600_NS5tupleIffNS6_9null_typeES8_S8_S8_S8_S8_S8_S8_EEEEZZNS1_29radix_sort_onesweep_iterationIS3_Lb0ENS6_6detail15normal_iteratorINS6_10device_ptrIjEEEESG_NSD_INSE_IS9_EEEESI_jNS0_19identity_decomposerENS1_16block_id_wrapperIjLb1EEEEE10hipError_tT1_PNSt15iterator_traitsISN_E10value_typeET2_T3_PNSO_IST_E10value_typeET4_T5_PSY_SZ_PNS1_23onesweep_lookback_stateEbbT6_jjT7_P12ihipStream_tbENKUlT_T0_SN_SS_E_clISG_PjSI_PS9_EEDaS16_S17_SN_SS_EUlS16_E_NS1_11comp_targetILNS1_3genE5ELNS1_11target_archE942ELNS1_3gpuE9ELNS1_3repE0EEENS1_47radix_sort_onesweep_sort_config_static_selectorELNS0_4arch9wavefront6targetE0EEEvSN_.has_dyn_sized_stack, 0
	.set _ZN7rocprim17ROCPRIM_400000_NS6detail17trampoline_kernelINS0_14default_configENS1_35radix_sort_onesweep_config_selectorIjN6thrust23THRUST_200600_302600_NS5tupleIffNS6_9null_typeES8_S8_S8_S8_S8_S8_S8_EEEEZZNS1_29radix_sort_onesweep_iterationIS3_Lb0ENS6_6detail15normal_iteratorINS6_10device_ptrIjEEEESG_NSD_INSE_IS9_EEEESI_jNS0_19identity_decomposerENS1_16block_id_wrapperIjLb1EEEEE10hipError_tT1_PNSt15iterator_traitsISN_E10value_typeET2_T3_PNSO_IST_E10value_typeET4_T5_PSY_SZ_PNS1_23onesweep_lookback_stateEbbT6_jjT7_P12ihipStream_tbENKUlT_T0_SN_SS_E_clISG_PjSI_PS9_EEDaS16_S17_SN_SS_EUlS16_E_NS1_11comp_targetILNS1_3genE5ELNS1_11target_archE942ELNS1_3gpuE9ELNS1_3repE0EEENS1_47radix_sort_onesweep_sort_config_static_selectorELNS0_4arch9wavefront6targetE0EEEvSN_.has_recursion, 0
	.set _ZN7rocprim17ROCPRIM_400000_NS6detail17trampoline_kernelINS0_14default_configENS1_35radix_sort_onesweep_config_selectorIjN6thrust23THRUST_200600_302600_NS5tupleIffNS6_9null_typeES8_S8_S8_S8_S8_S8_S8_EEEEZZNS1_29radix_sort_onesweep_iterationIS3_Lb0ENS6_6detail15normal_iteratorINS6_10device_ptrIjEEEESG_NSD_INSE_IS9_EEEESI_jNS0_19identity_decomposerENS1_16block_id_wrapperIjLb1EEEEE10hipError_tT1_PNSt15iterator_traitsISN_E10value_typeET2_T3_PNSO_IST_E10value_typeET4_T5_PSY_SZ_PNS1_23onesweep_lookback_stateEbbT6_jjT7_P12ihipStream_tbENKUlT_T0_SN_SS_E_clISG_PjSI_PS9_EEDaS16_S17_SN_SS_EUlS16_E_NS1_11comp_targetILNS1_3genE5ELNS1_11target_archE942ELNS1_3gpuE9ELNS1_3repE0EEENS1_47radix_sort_onesweep_sort_config_static_selectorELNS0_4arch9wavefront6targetE0EEEvSN_.has_indirect_call, 0
	.section	.AMDGPU.csdata,"",@progbits
; Kernel info:
; codeLenInByte = 0
; TotalNumSgprs: 0
; NumVgprs: 0
; ScratchSize: 0
; MemoryBound: 0
; FloatMode: 240
; IeeeMode: 1
; LDSByteSize: 0 bytes/workgroup (compile time only)
; SGPRBlocks: 0
; VGPRBlocks: 0
; NumSGPRsForWavesPerEU: 1
; NumVGPRsForWavesPerEU: 1
; Occupancy: 16
; WaveLimiterHint : 0
; COMPUTE_PGM_RSRC2:SCRATCH_EN: 0
; COMPUTE_PGM_RSRC2:USER_SGPR: 2
; COMPUTE_PGM_RSRC2:TRAP_HANDLER: 0
; COMPUTE_PGM_RSRC2:TGID_X_EN: 1
; COMPUTE_PGM_RSRC2:TGID_Y_EN: 0
; COMPUTE_PGM_RSRC2:TGID_Z_EN: 0
; COMPUTE_PGM_RSRC2:TIDIG_COMP_CNT: 0
	.section	.text._ZN7rocprim17ROCPRIM_400000_NS6detail17trampoline_kernelINS0_14default_configENS1_35radix_sort_onesweep_config_selectorIjN6thrust23THRUST_200600_302600_NS5tupleIffNS6_9null_typeES8_S8_S8_S8_S8_S8_S8_EEEEZZNS1_29radix_sort_onesweep_iterationIS3_Lb0ENS6_6detail15normal_iteratorINS6_10device_ptrIjEEEESG_NSD_INSE_IS9_EEEESI_jNS0_19identity_decomposerENS1_16block_id_wrapperIjLb1EEEEE10hipError_tT1_PNSt15iterator_traitsISN_E10value_typeET2_T3_PNSO_IST_E10value_typeET4_T5_PSY_SZ_PNS1_23onesweep_lookback_stateEbbT6_jjT7_P12ihipStream_tbENKUlT_T0_SN_SS_E_clISG_PjSI_PS9_EEDaS16_S17_SN_SS_EUlS16_E_NS1_11comp_targetILNS1_3genE2ELNS1_11target_archE906ELNS1_3gpuE6ELNS1_3repE0EEENS1_47radix_sort_onesweep_sort_config_static_selectorELNS0_4arch9wavefront6targetE0EEEvSN_,"axG",@progbits,_ZN7rocprim17ROCPRIM_400000_NS6detail17trampoline_kernelINS0_14default_configENS1_35radix_sort_onesweep_config_selectorIjN6thrust23THRUST_200600_302600_NS5tupleIffNS6_9null_typeES8_S8_S8_S8_S8_S8_S8_EEEEZZNS1_29radix_sort_onesweep_iterationIS3_Lb0ENS6_6detail15normal_iteratorINS6_10device_ptrIjEEEESG_NSD_INSE_IS9_EEEESI_jNS0_19identity_decomposerENS1_16block_id_wrapperIjLb1EEEEE10hipError_tT1_PNSt15iterator_traitsISN_E10value_typeET2_T3_PNSO_IST_E10value_typeET4_T5_PSY_SZ_PNS1_23onesweep_lookback_stateEbbT6_jjT7_P12ihipStream_tbENKUlT_T0_SN_SS_E_clISG_PjSI_PS9_EEDaS16_S17_SN_SS_EUlS16_E_NS1_11comp_targetILNS1_3genE2ELNS1_11target_archE906ELNS1_3gpuE6ELNS1_3repE0EEENS1_47radix_sort_onesweep_sort_config_static_selectorELNS0_4arch9wavefront6targetE0EEEvSN_,comdat
	.protected	_ZN7rocprim17ROCPRIM_400000_NS6detail17trampoline_kernelINS0_14default_configENS1_35radix_sort_onesweep_config_selectorIjN6thrust23THRUST_200600_302600_NS5tupleIffNS6_9null_typeES8_S8_S8_S8_S8_S8_S8_EEEEZZNS1_29radix_sort_onesweep_iterationIS3_Lb0ENS6_6detail15normal_iteratorINS6_10device_ptrIjEEEESG_NSD_INSE_IS9_EEEESI_jNS0_19identity_decomposerENS1_16block_id_wrapperIjLb1EEEEE10hipError_tT1_PNSt15iterator_traitsISN_E10value_typeET2_T3_PNSO_IST_E10value_typeET4_T5_PSY_SZ_PNS1_23onesweep_lookback_stateEbbT6_jjT7_P12ihipStream_tbENKUlT_T0_SN_SS_E_clISG_PjSI_PS9_EEDaS16_S17_SN_SS_EUlS16_E_NS1_11comp_targetILNS1_3genE2ELNS1_11target_archE906ELNS1_3gpuE6ELNS1_3repE0EEENS1_47radix_sort_onesweep_sort_config_static_selectorELNS0_4arch9wavefront6targetE0EEEvSN_ ; -- Begin function _ZN7rocprim17ROCPRIM_400000_NS6detail17trampoline_kernelINS0_14default_configENS1_35radix_sort_onesweep_config_selectorIjN6thrust23THRUST_200600_302600_NS5tupleIffNS6_9null_typeES8_S8_S8_S8_S8_S8_S8_EEEEZZNS1_29radix_sort_onesweep_iterationIS3_Lb0ENS6_6detail15normal_iteratorINS6_10device_ptrIjEEEESG_NSD_INSE_IS9_EEEESI_jNS0_19identity_decomposerENS1_16block_id_wrapperIjLb1EEEEE10hipError_tT1_PNSt15iterator_traitsISN_E10value_typeET2_T3_PNSO_IST_E10value_typeET4_T5_PSY_SZ_PNS1_23onesweep_lookback_stateEbbT6_jjT7_P12ihipStream_tbENKUlT_T0_SN_SS_E_clISG_PjSI_PS9_EEDaS16_S17_SN_SS_EUlS16_E_NS1_11comp_targetILNS1_3genE2ELNS1_11target_archE906ELNS1_3gpuE6ELNS1_3repE0EEENS1_47radix_sort_onesweep_sort_config_static_selectorELNS0_4arch9wavefront6targetE0EEEvSN_
	.globl	_ZN7rocprim17ROCPRIM_400000_NS6detail17trampoline_kernelINS0_14default_configENS1_35radix_sort_onesweep_config_selectorIjN6thrust23THRUST_200600_302600_NS5tupleIffNS6_9null_typeES8_S8_S8_S8_S8_S8_S8_EEEEZZNS1_29radix_sort_onesweep_iterationIS3_Lb0ENS6_6detail15normal_iteratorINS6_10device_ptrIjEEEESG_NSD_INSE_IS9_EEEESI_jNS0_19identity_decomposerENS1_16block_id_wrapperIjLb1EEEEE10hipError_tT1_PNSt15iterator_traitsISN_E10value_typeET2_T3_PNSO_IST_E10value_typeET4_T5_PSY_SZ_PNS1_23onesweep_lookback_stateEbbT6_jjT7_P12ihipStream_tbENKUlT_T0_SN_SS_E_clISG_PjSI_PS9_EEDaS16_S17_SN_SS_EUlS16_E_NS1_11comp_targetILNS1_3genE2ELNS1_11target_archE906ELNS1_3gpuE6ELNS1_3repE0EEENS1_47radix_sort_onesweep_sort_config_static_selectorELNS0_4arch9wavefront6targetE0EEEvSN_
	.p2align	8
	.type	_ZN7rocprim17ROCPRIM_400000_NS6detail17trampoline_kernelINS0_14default_configENS1_35radix_sort_onesweep_config_selectorIjN6thrust23THRUST_200600_302600_NS5tupleIffNS6_9null_typeES8_S8_S8_S8_S8_S8_S8_EEEEZZNS1_29radix_sort_onesweep_iterationIS3_Lb0ENS6_6detail15normal_iteratorINS6_10device_ptrIjEEEESG_NSD_INSE_IS9_EEEESI_jNS0_19identity_decomposerENS1_16block_id_wrapperIjLb1EEEEE10hipError_tT1_PNSt15iterator_traitsISN_E10value_typeET2_T3_PNSO_IST_E10value_typeET4_T5_PSY_SZ_PNS1_23onesweep_lookback_stateEbbT6_jjT7_P12ihipStream_tbENKUlT_T0_SN_SS_E_clISG_PjSI_PS9_EEDaS16_S17_SN_SS_EUlS16_E_NS1_11comp_targetILNS1_3genE2ELNS1_11target_archE906ELNS1_3gpuE6ELNS1_3repE0EEENS1_47radix_sort_onesweep_sort_config_static_selectorELNS0_4arch9wavefront6targetE0EEEvSN_,@function
_ZN7rocprim17ROCPRIM_400000_NS6detail17trampoline_kernelINS0_14default_configENS1_35radix_sort_onesweep_config_selectorIjN6thrust23THRUST_200600_302600_NS5tupleIffNS6_9null_typeES8_S8_S8_S8_S8_S8_S8_EEEEZZNS1_29radix_sort_onesweep_iterationIS3_Lb0ENS6_6detail15normal_iteratorINS6_10device_ptrIjEEEESG_NSD_INSE_IS9_EEEESI_jNS0_19identity_decomposerENS1_16block_id_wrapperIjLb1EEEEE10hipError_tT1_PNSt15iterator_traitsISN_E10value_typeET2_T3_PNSO_IST_E10value_typeET4_T5_PSY_SZ_PNS1_23onesweep_lookback_stateEbbT6_jjT7_P12ihipStream_tbENKUlT_T0_SN_SS_E_clISG_PjSI_PS9_EEDaS16_S17_SN_SS_EUlS16_E_NS1_11comp_targetILNS1_3genE2ELNS1_11target_archE906ELNS1_3gpuE6ELNS1_3repE0EEENS1_47radix_sort_onesweep_sort_config_static_selectorELNS0_4arch9wavefront6targetE0EEEvSN_: ; @_ZN7rocprim17ROCPRIM_400000_NS6detail17trampoline_kernelINS0_14default_configENS1_35radix_sort_onesweep_config_selectorIjN6thrust23THRUST_200600_302600_NS5tupleIffNS6_9null_typeES8_S8_S8_S8_S8_S8_S8_EEEEZZNS1_29radix_sort_onesweep_iterationIS3_Lb0ENS6_6detail15normal_iteratorINS6_10device_ptrIjEEEESG_NSD_INSE_IS9_EEEESI_jNS0_19identity_decomposerENS1_16block_id_wrapperIjLb1EEEEE10hipError_tT1_PNSt15iterator_traitsISN_E10value_typeET2_T3_PNSO_IST_E10value_typeET4_T5_PSY_SZ_PNS1_23onesweep_lookback_stateEbbT6_jjT7_P12ihipStream_tbENKUlT_T0_SN_SS_E_clISG_PjSI_PS9_EEDaS16_S17_SN_SS_EUlS16_E_NS1_11comp_targetILNS1_3genE2ELNS1_11target_archE906ELNS1_3gpuE6ELNS1_3repE0EEENS1_47radix_sort_onesweep_sort_config_static_selectorELNS0_4arch9wavefront6targetE0EEEvSN_
; %bb.0:
	.section	.rodata,"a",@progbits
	.p2align	6, 0x0
	.amdhsa_kernel _ZN7rocprim17ROCPRIM_400000_NS6detail17trampoline_kernelINS0_14default_configENS1_35radix_sort_onesweep_config_selectorIjN6thrust23THRUST_200600_302600_NS5tupleIffNS6_9null_typeES8_S8_S8_S8_S8_S8_S8_EEEEZZNS1_29radix_sort_onesweep_iterationIS3_Lb0ENS6_6detail15normal_iteratorINS6_10device_ptrIjEEEESG_NSD_INSE_IS9_EEEESI_jNS0_19identity_decomposerENS1_16block_id_wrapperIjLb1EEEEE10hipError_tT1_PNSt15iterator_traitsISN_E10value_typeET2_T3_PNSO_IST_E10value_typeET4_T5_PSY_SZ_PNS1_23onesweep_lookback_stateEbbT6_jjT7_P12ihipStream_tbENKUlT_T0_SN_SS_E_clISG_PjSI_PS9_EEDaS16_S17_SN_SS_EUlS16_E_NS1_11comp_targetILNS1_3genE2ELNS1_11target_archE906ELNS1_3gpuE6ELNS1_3repE0EEENS1_47radix_sort_onesweep_sort_config_static_selectorELNS0_4arch9wavefront6targetE0EEEvSN_
		.amdhsa_group_segment_fixed_size 0
		.amdhsa_private_segment_fixed_size 0
		.amdhsa_kernarg_size 88
		.amdhsa_user_sgpr_count 2
		.amdhsa_user_sgpr_dispatch_ptr 0
		.amdhsa_user_sgpr_queue_ptr 0
		.amdhsa_user_sgpr_kernarg_segment_ptr 1
		.amdhsa_user_sgpr_dispatch_id 0
		.amdhsa_user_sgpr_private_segment_size 0
		.amdhsa_wavefront_size32 1
		.amdhsa_uses_dynamic_stack 0
		.amdhsa_enable_private_segment 0
		.amdhsa_system_sgpr_workgroup_id_x 1
		.amdhsa_system_sgpr_workgroup_id_y 0
		.amdhsa_system_sgpr_workgroup_id_z 0
		.amdhsa_system_sgpr_workgroup_info 0
		.amdhsa_system_vgpr_workitem_id 0
		.amdhsa_next_free_vgpr 1
		.amdhsa_next_free_sgpr 1
		.amdhsa_reserve_vcc 0
		.amdhsa_float_round_mode_32 0
		.amdhsa_float_round_mode_16_64 0
		.amdhsa_float_denorm_mode_32 3
		.amdhsa_float_denorm_mode_16_64 3
		.amdhsa_fp16_overflow 0
		.amdhsa_workgroup_processor_mode 1
		.amdhsa_memory_ordered 1
		.amdhsa_forward_progress 1
		.amdhsa_inst_pref_size 0
		.amdhsa_round_robin_scheduling 0
		.amdhsa_exception_fp_ieee_invalid_op 0
		.amdhsa_exception_fp_denorm_src 0
		.amdhsa_exception_fp_ieee_div_zero 0
		.amdhsa_exception_fp_ieee_overflow 0
		.amdhsa_exception_fp_ieee_underflow 0
		.amdhsa_exception_fp_ieee_inexact 0
		.amdhsa_exception_int_div_zero 0
	.end_amdhsa_kernel
	.section	.text._ZN7rocprim17ROCPRIM_400000_NS6detail17trampoline_kernelINS0_14default_configENS1_35radix_sort_onesweep_config_selectorIjN6thrust23THRUST_200600_302600_NS5tupleIffNS6_9null_typeES8_S8_S8_S8_S8_S8_S8_EEEEZZNS1_29radix_sort_onesweep_iterationIS3_Lb0ENS6_6detail15normal_iteratorINS6_10device_ptrIjEEEESG_NSD_INSE_IS9_EEEESI_jNS0_19identity_decomposerENS1_16block_id_wrapperIjLb1EEEEE10hipError_tT1_PNSt15iterator_traitsISN_E10value_typeET2_T3_PNSO_IST_E10value_typeET4_T5_PSY_SZ_PNS1_23onesweep_lookback_stateEbbT6_jjT7_P12ihipStream_tbENKUlT_T0_SN_SS_E_clISG_PjSI_PS9_EEDaS16_S17_SN_SS_EUlS16_E_NS1_11comp_targetILNS1_3genE2ELNS1_11target_archE906ELNS1_3gpuE6ELNS1_3repE0EEENS1_47radix_sort_onesweep_sort_config_static_selectorELNS0_4arch9wavefront6targetE0EEEvSN_,"axG",@progbits,_ZN7rocprim17ROCPRIM_400000_NS6detail17trampoline_kernelINS0_14default_configENS1_35radix_sort_onesweep_config_selectorIjN6thrust23THRUST_200600_302600_NS5tupleIffNS6_9null_typeES8_S8_S8_S8_S8_S8_S8_EEEEZZNS1_29radix_sort_onesweep_iterationIS3_Lb0ENS6_6detail15normal_iteratorINS6_10device_ptrIjEEEESG_NSD_INSE_IS9_EEEESI_jNS0_19identity_decomposerENS1_16block_id_wrapperIjLb1EEEEE10hipError_tT1_PNSt15iterator_traitsISN_E10value_typeET2_T3_PNSO_IST_E10value_typeET4_T5_PSY_SZ_PNS1_23onesweep_lookback_stateEbbT6_jjT7_P12ihipStream_tbENKUlT_T0_SN_SS_E_clISG_PjSI_PS9_EEDaS16_S17_SN_SS_EUlS16_E_NS1_11comp_targetILNS1_3genE2ELNS1_11target_archE906ELNS1_3gpuE6ELNS1_3repE0EEENS1_47radix_sort_onesweep_sort_config_static_selectorELNS0_4arch9wavefront6targetE0EEEvSN_,comdat
.Lfunc_end187:
	.size	_ZN7rocprim17ROCPRIM_400000_NS6detail17trampoline_kernelINS0_14default_configENS1_35radix_sort_onesweep_config_selectorIjN6thrust23THRUST_200600_302600_NS5tupleIffNS6_9null_typeES8_S8_S8_S8_S8_S8_S8_EEEEZZNS1_29radix_sort_onesweep_iterationIS3_Lb0ENS6_6detail15normal_iteratorINS6_10device_ptrIjEEEESG_NSD_INSE_IS9_EEEESI_jNS0_19identity_decomposerENS1_16block_id_wrapperIjLb1EEEEE10hipError_tT1_PNSt15iterator_traitsISN_E10value_typeET2_T3_PNSO_IST_E10value_typeET4_T5_PSY_SZ_PNS1_23onesweep_lookback_stateEbbT6_jjT7_P12ihipStream_tbENKUlT_T0_SN_SS_E_clISG_PjSI_PS9_EEDaS16_S17_SN_SS_EUlS16_E_NS1_11comp_targetILNS1_3genE2ELNS1_11target_archE906ELNS1_3gpuE6ELNS1_3repE0EEENS1_47radix_sort_onesweep_sort_config_static_selectorELNS0_4arch9wavefront6targetE0EEEvSN_, .Lfunc_end187-_ZN7rocprim17ROCPRIM_400000_NS6detail17trampoline_kernelINS0_14default_configENS1_35radix_sort_onesweep_config_selectorIjN6thrust23THRUST_200600_302600_NS5tupleIffNS6_9null_typeES8_S8_S8_S8_S8_S8_S8_EEEEZZNS1_29radix_sort_onesweep_iterationIS3_Lb0ENS6_6detail15normal_iteratorINS6_10device_ptrIjEEEESG_NSD_INSE_IS9_EEEESI_jNS0_19identity_decomposerENS1_16block_id_wrapperIjLb1EEEEE10hipError_tT1_PNSt15iterator_traitsISN_E10value_typeET2_T3_PNSO_IST_E10value_typeET4_T5_PSY_SZ_PNS1_23onesweep_lookback_stateEbbT6_jjT7_P12ihipStream_tbENKUlT_T0_SN_SS_E_clISG_PjSI_PS9_EEDaS16_S17_SN_SS_EUlS16_E_NS1_11comp_targetILNS1_3genE2ELNS1_11target_archE906ELNS1_3gpuE6ELNS1_3repE0EEENS1_47radix_sort_onesweep_sort_config_static_selectorELNS0_4arch9wavefront6targetE0EEEvSN_
                                        ; -- End function
	.set _ZN7rocprim17ROCPRIM_400000_NS6detail17trampoline_kernelINS0_14default_configENS1_35radix_sort_onesweep_config_selectorIjN6thrust23THRUST_200600_302600_NS5tupleIffNS6_9null_typeES8_S8_S8_S8_S8_S8_S8_EEEEZZNS1_29radix_sort_onesweep_iterationIS3_Lb0ENS6_6detail15normal_iteratorINS6_10device_ptrIjEEEESG_NSD_INSE_IS9_EEEESI_jNS0_19identity_decomposerENS1_16block_id_wrapperIjLb1EEEEE10hipError_tT1_PNSt15iterator_traitsISN_E10value_typeET2_T3_PNSO_IST_E10value_typeET4_T5_PSY_SZ_PNS1_23onesweep_lookback_stateEbbT6_jjT7_P12ihipStream_tbENKUlT_T0_SN_SS_E_clISG_PjSI_PS9_EEDaS16_S17_SN_SS_EUlS16_E_NS1_11comp_targetILNS1_3genE2ELNS1_11target_archE906ELNS1_3gpuE6ELNS1_3repE0EEENS1_47radix_sort_onesweep_sort_config_static_selectorELNS0_4arch9wavefront6targetE0EEEvSN_.num_vgpr, 0
	.set _ZN7rocprim17ROCPRIM_400000_NS6detail17trampoline_kernelINS0_14default_configENS1_35radix_sort_onesweep_config_selectorIjN6thrust23THRUST_200600_302600_NS5tupleIffNS6_9null_typeES8_S8_S8_S8_S8_S8_S8_EEEEZZNS1_29radix_sort_onesweep_iterationIS3_Lb0ENS6_6detail15normal_iteratorINS6_10device_ptrIjEEEESG_NSD_INSE_IS9_EEEESI_jNS0_19identity_decomposerENS1_16block_id_wrapperIjLb1EEEEE10hipError_tT1_PNSt15iterator_traitsISN_E10value_typeET2_T3_PNSO_IST_E10value_typeET4_T5_PSY_SZ_PNS1_23onesweep_lookback_stateEbbT6_jjT7_P12ihipStream_tbENKUlT_T0_SN_SS_E_clISG_PjSI_PS9_EEDaS16_S17_SN_SS_EUlS16_E_NS1_11comp_targetILNS1_3genE2ELNS1_11target_archE906ELNS1_3gpuE6ELNS1_3repE0EEENS1_47radix_sort_onesweep_sort_config_static_selectorELNS0_4arch9wavefront6targetE0EEEvSN_.num_agpr, 0
	.set _ZN7rocprim17ROCPRIM_400000_NS6detail17trampoline_kernelINS0_14default_configENS1_35radix_sort_onesweep_config_selectorIjN6thrust23THRUST_200600_302600_NS5tupleIffNS6_9null_typeES8_S8_S8_S8_S8_S8_S8_EEEEZZNS1_29radix_sort_onesweep_iterationIS3_Lb0ENS6_6detail15normal_iteratorINS6_10device_ptrIjEEEESG_NSD_INSE_IS9_EEEESI_jNS0_19identity_decomposerENS1_16block_id_wrapperIjLb1EEEEE10hipError_tT1_PNSt15iterator_traitsISN_E10value_typeET2_T3_PNSO_IST_E10value_typeET4_T5_PSY_SZ_PNS1_23onesweep_lookback_stateEbbT6_jjT7_P12ihipStream_tbENKUlT_T0_SN_SS_E_clISG_PjSI_PS9_EEDaS16_S17_SN_SS_EUlS16_E_NS1_11comp_targetILNS1_3genE2ELNS1_11target_archE906ELNS1_3gpuE6ELNS1_3repE0EEENS1_47radix_sort_onesweep_sort_config_static_selectorELNS0_4arch9wavefront6targetE0EEEvSN_.numbered_sgpr, 0
	.set _ZN7rocprim17ROCPRIM_400000_NS6detail17trampoline_kernelINS0_14default_configENS1_35radix_sort_onesweep_config_selectorIjN6thrust23THRUST_200600_302600_NS5tupleIffNS6_9null_typeES8_S8_S8_S8_S8_S8_S8_EEEEZZNS1_29radix_sort_onesweep_iterationIS3_Lb0ENS6_6detail15normal_iteratorINS6_10device_ptrIjEEEESG_NSD_INSE_IS9_EEEESI_jNS0_19identity_decomposerENS1_16block_id_wrapperIjLb1EEEEE10hipError_tT1_PNSt15iterator_traitsISN_E10value_typeET2_T3_PNSO_IST_E10value_typeET4_T5_PSY_SZ_PNS1_23onesweep_lookback_stateEbbT6_jjT7_P12ihipStream_tbENKUlT_T0_SN_SS_E_clISG_PjSI_PS9_EEDaS16_S17_SN_SS_EUlS16_E_NS1_11comp_targetILNS1_3genE2ELNS1_11target_archE906ELNS1_3gpuE6ELNS1_3repE0EEENS1_47radix_sort_onesweep_sort_config_static_selectorELNS0_4arch9wavefront6targetE0EEEvSN_.num_named_barrier, 0
	.set _ZN7rocprim17ROCPRIM_400000_NS6detail17trampoline_kernelINS0_14default_configENS1_35radix_sort_onesweep_config_selectorIjN6thrust23THRUST_200600_302600_NS5tupleIffNS6_9null_typeES8_S8_S8_S8_S8_S8_S8_EEEEZZNS1_29radix_sort_onesweep_iterationIS3_Lb0ENS6_6detail15normal_iteratorINS6_10device_ptrIjEEEESG_NSD_INSE_IS9_EEEESI_jNS0_19identity_decomposerENS1_16block_id_wrapperIjLb1EEEEE10hipError_tT1_PNSt15iterator_traitsISN_E10value_typeET2_T3_PNSO_IST_E10value_typeET4_T5_PSY_SZ_PNS1_23onesweep_lookback_stateEbbT6_jjT7_P12ihipStream_tbENKUlT_T0_SN_SS_E_clISG_PjSI_PS9_EEDaS16_S17_SN_SS_EUlS16_E_NS1_11comp_targetILNS1_3genE2ELNS1_11target_archE906ELNS1_3gpuE6ELNS1_3repE0EEENS1_47radix_sort_onesweep_sort_config_static_selectorELNS0_4arch9wavefront6targetE0EEEvSN_.private_seg_size, 0
	.set _ZN7rocprim17ROCPRIM_400000_NS6detail17trampoline_kernelINS0_14default_configENS1_35radix_sort_onesweep_config_selectorIjN6thrust23THRUST_200600_302600_NS5tupleIffNS6_9null_typeES8_S8_S8_S8_S8_S8_S8_EEEEZZNS1_29radix_sort_onesweep_iterationIS3_Lb0ENS6_6detail15normal_iteratorINS6_10device_ptrIjEEEESG_NSD_INSE_IS9_EEEESI_jNS0_19identity_decomposerENS1_16block_id_wrapperIjLb1EEEEE10hipError_tT1_PNSt15iterator_traitsISN_E10value_typeET2_T3_PNSO_IST_E10value_typeET4_T5_PSY_SZ_PNS1_23onesweep_lookback_stateEbbT6_jjT7_P12ihipStream_tbENKUlT_T0_SN_SS_E_clISG_PjSI_PS9_EEDaS16_S17_SN_SS_EUlS16_E_NS1_11comp_targetILNS1_3genE2ELNS1_11target_archE906ELNS1_3gpuE6ELNS1_3repE0EEENS1_47radix_sort_onesweep_sort_config_static_selectorELNS0_4arch9wavefront6targetE0EEEvSN_.uses_vcc, 0
	.set _ZN7rocprim17ROCPRIM_400000_NS6detail17trampoline_kernelINS0_14default_configENS1_35radix_sort_onesweep_config_selectorIjN6thrust23THRUST_200600_302600_NS5tupleIffNS6_9null_typeES8_S8_S8_S8_S8_S8_S8_EEEEZZNS1_29radix_sort_onesweep_iterationIS3_Lb0ENS6_6detail15normal_iteratorINS6_10device_ptrIjEEEESG_NSD_INSE_IS9_EEEESI_jNS0_19identity_decomposerENS1_16block_id_wrapperIjLb1EEEEE10hipError_tT1_PNSt15iterator_traitsISN_E10value_typeET2_T3_PNSO_IST_E10value_typeET4_T5_PSY_SZ_PNS1_23onesweep_lookback_stateEbbT6_jjT7_P12ihipStream_tbENKUlT_T0_SN_SS_E_clISG_PjSI_PS9_EEDaS16_S17_SN_SS_EUlS16_E_NS1_11comp_targetILNS1_3genE2ELNS1_11target_archE906ELNS1_3gpuE6ELNS1_3repE0EEENS1_47radix_sort_onesweep_sort_config_static_selectorELNS0_4arch9wavefront6targetE0EEEvSN_.uses_flat_scratch, 0
	.set _ZN7rocprim17ROCPRIM_400000_NS6detail17trampoline_kernelINS0_14default_configENS1_35radix_sort_onesweep_config_selectorIjN6thrust23THRUST_200600_302600_NS5tupleIffNS6_9null_typeES8_S8_S8_S8_S8_S8_S8_EEEEZZNS1_29radix_sort_onesweep_iterationIS3_Lb0ENS6_6detail15normal_iteratorINS6_10device_ptrIjEEEESG_NSD_INSE_IS9_EEEESI_jNS0_19identity_decomposerENS1_16block_id_wrapperIjLb1EEEEE10hipError_tT1_PNSt15iterator_traitsISN_E10value_typeET2_T3_PNSO_IST_E10value_typeET4_T5_PSY_SZ_PNS1_23onesweep_lookback_stateEbbT6_jjT7_P12ihipStream_tbENKUlT_T0_SN_SS_E_clISG_PjSI_PS9_EEDaS16_S17_SN_SS_EUlS16_E_NS1_11comp_targetILNS1_3genE2ELNS1_11target_archE906ELNS1_3gpuE6ELNS1_3repE0EEENS1_47radix_sort_onesweep_sort_config_static_selectorELNS0_4arch9wavefront6targetE0EEEvSN_.has_dyn_sized_stack, 0
	.set _ZN7rocprim17ROCPRIM_400000_NS6detail17trampoline_kernelINS0_14default_configENS1_35radix_sort_onesweep_config_selectorIjN6thrust23THRUST_200600_302600_NS5tupleIffNS6_9null_typeES8_S8_S8_S8_S8_S8_S8_EEEEZZNS1_29radix_sort_onesweep_iterationIS3_Lb0ENS6_6detail15normal_iteratorINS6_10device_ptrIjEEEESG_NSD_INSE_IS9_EEEESI_jNS0_19identity_decomposerENS1_16block_id_wrapperIjLb1EEEEE10hipError_tT1_PNSt15iterator_traitsISN_E10value_typeET2_T3_PNSO_IST_E10value_typeET4_T5_PSY_SZ_PNS1_23onesweep_lookback_stateEbbT6_jjT7_P12ihipStream_tbENKUlT_T0_SN_SS_E_clISG_PjSI_PS9_EEDaS16_S17_SN_SS_EUlS16_E_NS1_11comp_targetILNS1_3genE2ELNS1_11target_archE906ELNS1_3gpuE6ELNS1_3repE0EEENS1_47radix_sort_onesweep_sort_config_static_selectorELNS0_4arch9wavefront6targetE0EEEvSN_.has_recursion, 0
	.set _ZN7rocprim17ROCPRIM_400000_NS6detail17trampoline_kernelINS0_14default_configENS1_35radix_sort_onesweep_config_selectorIjN6thrust23THRUST_200600_302600_NS5tupleIffNS6_9null_typeES8_S8_S8_S8_S8_S8_S8_EEEEZZNS1_29radix_sort_onesweep_iterationIS3_Lb0ENS6_6detail15normal_iteratorINS6_10device_ptrIjEEEESG_NSD_INSE_IS9_EEEESI_jNS0_19identity_decomposerENS1_16block_id_wrapperIjLb1EEEEE10hipError_tT1_PNSt15iterator_traitsISN_E10value_typeET2_T3_PNSO_IST_E10value_typeET4_T5_PSY_SZ_PNS1_23onesweep_lookback_stateEbbT6_jjT7_P12ihipStream_tbENKUlT_T0_SN_SS_E_clISG_PjSI_PS9_EEDaS16_S17_SN_SS_EUlS16_E_NS1_11comp_targetILNS1_3genE2ELNS1_11target_archE906ELNS1_3gpuE6ELNS1_3repE0EEENS1_47radix_sort_onesweep_sort_config_static_selectorELNS0_4arch9wavefront6targetE0EEEvSN_.has_indirect_call, 0
	.section	.AMDGPU.csdata,"",@progbits
; Kernel info:
; codeLenInByte = 0
; TotalNumSgprs: 0
; NumVgprs: 0
; ScratchSize: 0
; MemoryBound: 0
; FloatMode: 240
; IeeeMode: 1
; LDSByteSize: 0 bytes/workgroup (compile time only)
; SGPRBlocks: 0
; VGPRBlocks: 0
; NumSGPRsForWavesPerEU: 1
; NumVGPRsForWavesPerEU: 1
; Occupancy: 16
; WaveLimiterHint : 0
; COMPUTE_PGM_RSRC2:SCRATCH_EN: 0
; COMPUTE_PGM_RSRC2:USER_SGPR: 2
; COMPUTE_PGM_RSRC2:TRAP_HANDLER: 0
; COMPUTE_PGM_RSRC2:TGID_X_EN: 1
; COMPUTE_PGM_RSRC2:TGID_Y_EN: 0
; COMPUTE_PGM_RSRC2:TGID_Z_EN: 0
; COMPUTE_PGM_RSRC2:TIDIG_COMP_CNT: 0
	.section	.text._ZN7rocprim17ROCPRIM_400000_NS6detail17trampoline_kernelINS0_14default_configENS1_35radix_sort_onesweep_config_selectorIjN6thrust23THRUST_200600_302600_NS5tupleIffNS6_9null_typeES8_S8_S8_S8_S8_S8_S8_EEEEZZNS1_29radix_sort_onesweep_iterationIS3_Lb0ENS6_6detail15normal_iteratorINS6_10device_ptrIjEEEESG_NSD_INSE_IS9_EEEESI_jNS0_19identity_decomposerENS1_16block_id_wrapperIjLb1EEEEE10hipError_tT1_PNSt15iterator_traitsISN_E10value_typeET2_T3_PNSO_IST_E10value_typeET4_T5_PSY_SZ_PNS1_23onesweep_lookback_stateEbbT6_jjT7_P12ihipStream_tbENKUlT_T0_SN_SS_E_clISG_PjSI_PS9_EEDaS16_S17_SN_SS_EUlS16_E_NS1_11comp_targetILNS1_3genE4ELNS1_11target_archE910ELNS1_3gpuE8ELNS1_3repE0EEENS1_47radix_sort_onesweep_sort_config_static_selectorELNS0_4arch9wavefront6targetE0EEEvSN_,"axG",@progbits,_ZN7rocprim17ROCPRIM_400000_NS6detail17trampoline_kernelINS0_14default_configENS1_35radix_sort_onesweep_config_selectorIjN6thrust23THRUST_200600_302600_NS5tupleIffNS6_9null_typeES8_S8_S8_S8_S8_S8_S8_EEEEZZNS1_29radix_sort_onesweep_iterationIS3_Lb0ENS6_6detail15normal_iteratorINS6_10device_ptrIjEEEESG_NSD_INSE_IS9_EEEESI_jNS0_19identity_decomposerENS1_16block_id_wrapperIjLb1EEEEE10hipError_tT1_PNSt15iterator_traitsISN_E10value_typeET2_T3_PNSO_IST_E10value_typeET4_T5_PSY_SZ_PNS1_23onesweep_lookback_stateEbbT6_jjT7_P12ihipStream_tbENKUlT_T0_SN_SS_E_clISG_PjSI_PS9_EEDaS16_S17_SN_SS_EUlS16_E_NS1_11comp_targetILNS1_3genE4ELNS1_11target_archE910ELNS1_3gpuE8ELNS1_3repE0EEENS1_47radix_sort_onesweep_sort_config_static_selectorELNS0_4arch9wavefront6targetE0EEEvSN_,comdat
	.protected	_ZN7rocprim17ROCPRIM_400000_NS6detail17trampoline_kernelINS0_14default_configENS1_35radix_sort_onesweep_config_selectorIjN6thrust23THRUST_200600_302600_NS5tupleIffNS6_9null_typeES8_S8_S8_S8_S8_S8_S8_EEEEZZNS1_29radix_sort_onesweep_iterationIS3_Lb0ENS6_6detail15normal_iteratorINS6_10device_ptrIjEEEESG_NSD_INSE_IS9_EEEESI_jNS0_19identity_decomposerENS1_16block_id_wrapperIjLb1EEEEE10hipError_tT1_PNSt15iterator_traitsISN_E10value_typeET2_T3_PNSO_IST_E10value_typeET4_T5_PSY_SZ_PNS1_23onesweep_lookback_stateEbbT6_jjT7_P12ihipStream_tbENKUlT_T0_SN_SS_E_clISG_PjSI_PS9_EEDaS16_S17_SN_SS_EUlS16_E_NS1_11comp_targetILNS1_3genE4ELNS1_11target_archE910ELNS1_3gpuE8ELNS1_3repE0EEENS1_47radix_sort_onesweep_sort_config_static_selectorELNS0_4arch9wavefront6targetE0EEEvSN_ ; -- Begin function _ZN7rocprim17ROCPRIM_400000_NS6detail17trampoline_kernelINS0_14default_configENS1_35radix_sort_onesweep_config_selectorIjN6thrust23THRUST_200600_302600_NS5tupleIffNS6_9null_typeES8_S8_S8_S8_S8_S8_S8_EEEEZZNS1_29radix_sort_onesweep_iterationIS3_Lb0ENS6_6detail15normal_iteratorINS6_10device_ptrIjEEEESG_NSD_INSE_IS9_EEEESI_jNS0_19identity_decomposerENS1_16block_id_wrapperIjLb1EEEEE10hipError_tT1_PNSt15iterator_traitsISN_E10value_typeET2_T3_PNSO_IST_E10value_typeET4_T5_PSY_SZ_PNS1_23onesweep_lookback_stateEbbT6_jjT7_P12ihipStream_tbENKUlT_T0_SN_SS_E_clISG_PjSI_PS9_EEDaS16_S17_SN_SS_EUlS16_E_NS1_11comp_targetILNS1_3genE4ELNS1_11target_archE910ELNS1_3gpuE8ELNS1_3repE0EEENS1_47radix_sort_onesweep_sort_config_static_selectorELNS0_4arch9wavefront6targetE0EEEvSN_
	.globl	_ZN7rocprim17ROCPRIM_400000_NS6detail17trampoline_kernelINS0_14default_configENS1_35radix_sort_onesweep_config_selectorIjN6thrust23THRUST_200600_302600_NS5tupleIffNS6_9null_typeES8_S8_S8_S8_S8_S8_S8_EEEEZZNS1_29radix_sort_onesweep_iterationIS3_Lb0ENS6_6detail15normal_iteratorINS6_10device_ptrIjEEEESG_NSD_INSE_IS9_EEEESI_jNS0_19identity_decomposerENS1_16block_id_wrapperIjLb1EEEEE10hipError_tT1_PNSt15iterator_traitsISN_E10value_typeET2_T3_PNSO_IST_E10value_typeET4_T5_PSY_SZ_PNS1_23onesweep_lookback_stateEbbT6_jjT7_P12ihipStream_tbENKUlT_T0_SN_SS_E_clISG_PjSI_PS9_EEDaS16_S17_SN_SS_EUlS16_E_NS1_11comp_targetILNS1_3genE4ELNS1_11target_archE910ELNS1_3gpuE8ELNS1_3repE0EEENS1_47radix_sort_onesweep_sort_config_static_selectorELNS0_4arch9wavefront6targetE0EEEvSN_
	.p2align	8
	.type	_ZN7rocprim17ROCPRIM_400000_NS6detail17trampoline_kernelINS0_14default_configENS1_35radix_sort_onesweep_config_selectorIjN6thrust23THRUST_200600_302600_NS5tupleIffNS6_9null_typeES8_S8_S8_S8_S8_S8_S8_EEEEZZNS1_29radix_sort_onesweep_iterationIS3_Lb0ENS6_6detail15normal_iteratorINS6_10device_ptrIjEEEESG_NSD_INSE_IS9_EEEESI_jNS0_19identity_decomposerENS1_16block_id_wrapperIjLb1EEEEE10hipError_tT1_PNSt15iterator_traitsISN_E10value_typeET2_T3_PNSO_IST_E10value_typeET4_T5_PSY_SZ_PNS1_23onesweep_lookback_stateEbbT6_jjT7_P12ihipStream_tbENKUlT_T0_SN_SS_E_clISG_PjSI_PS9_EEDaS16_S17_SN_SS_EUlS16_E_NS1_11comp_targetILNS1_3genE4ELNS1_11target_archE910ELNS1_3gpuE8ELNS1_3repE0EEENS1_47radix_sort_onesweep_sort_config_static_selectorELNS0_4arch9wavefront6targetE0EEEvSN_,@function
_ZN7rocprim17ROCPRIM_400000_NS6detail17trampoline_kernelINS0_14default_configENS1_35radix_sort_onesweep_config_selectorIjN6thrust23THRUST_200600_302600_NS5tupleIffNS6_9null_typeES8_S8_S8_S8_S8_S8_S8_EEEEZZNS1_29radix_sort_onesweep_iterationIS3_Lb0ENS6_6detail15normal_iteratorINS6_10device_ptrIjEEEESG_NSD_INSE_IS9_EEEESI_jNS0_19identity_decomposerENS1_16block_id_wrapperIjLb1EEEEE10hipError_tT1_PNSt15iterator_traitsISN_E10value_typeET2_T3_PNSO_IST_E10value_typeET4_T5_PSY_SZ_PNS1_23onesweep_lookback_stateEbbT6_jjT7_P12ihipStream_tbENKUlT_T0_SN_SS_E_clISG_PjSI_PS9_EEDaS16_S17_SN_SS_EUlS16_E_NS1_11comp_targetILNS1_3genE4ELNS1_11target_archE910ELNS1_3gpuE8ELNS1_3repE0EEENS1_47radix_sort_onesweep_sort_config_static_selectorELNS0_4arch9wavefront6targetE0EEEvSN_: ; @_ZN7rocprim17ROCPRIM_400000_NS6detail17trampoline_kernelINS0_14default_configENS1_35radix_sort_onesweep_config_selectorIjN6thrust23THRUST_200600_302600_NS5tupleIffNS6_9null_typeES8_S8_S8_S8_S8_S8_S8_EEEEZZNS1_29radix_sort_onesweep_iterationIS3_Lb0ENS6_6detail15normal_iteratorINS6_10device_ptrIjEEEESG_NSD_INSE_IS9_EEEESI_jNS0_19identity_decomposerENS1_16block_id_wrapperIjLb1EEEEE10hipError_tT1_PNSt15iterator_traitsISN_E10value_typeET2_T3_PNSO_IST_E10value_typeET4_T5_PSY_SZ_PNS1_23onesweep_lookback_stateEbbT6_jjT7_P12ihipStream_tbENKUlT_T0_SN_SS_E_clISG_PjSI_PS9_EEDaS16_S17_SN_SS_EUlS16_E_NS1_11comp_targetILNS1_3genE4ELNS1_11target_archE910ELNS1_3gpuE8ELNS1_3repE0EEENS1_47radix_sort_onesweep_sort_config_static_selectorELNS0_4arch9wavefront6targetE0EEEvSN_
; %bb.0:
	.section	.rodata,"a",@progbits
	.p2align	6, 0x0
	.amdhsa_kernel _ZN7rocprim17ROCPRIM_400000_NS6detail17trampoline_kernelINS0_14default_configENS1_35radix_sort_onesweep_config_selectorIjN6thrust23THRUST_200600_302600_NS5tupleIffNS6_9null_typeES8_S8_S8_S8_S8_S8_S8_EEEEZZNS1_29radix_sort_onesweep_iterationIS3_Lb0ENS6_6detail15normal_iteratorINS6_10device_ptrIjEEEESG_NSD_INSE_IS9_EEEESI_jNS0_19identity_decomposerENS1_16block_id_wrapperIjLb1EEEEE10hipError_tT1_PNSt15iterator_traitsISN_E10value_typeET2_T3_PNSO_IST_E10value_typeET4_T5_PSY_SZ_PNS1_23onesweep_lookback_stateEbbT6_jjT7_P12ihipStream_tbENKUlT_T0_SN_SS_E_clISG_PjSI_PS9_EEDaS16_S17_SN_SS_EUlS16_E_NS1_11comp_targetILNS1_3genE4ELNS1_11target_archE910ELNS1_3gpuE8ELNS1_3repE0EEENS1_47radix_sort_onesweep_sort_config_static_selectorELNS0_4arch9wavefront6targetE0EEEvSN_
		.amdhsa_group_segment_fixed_size 0
		.amdhsa_private_segment_fixed_size 0
		.amdhsa_kernarg_size 88
		.amdhsa_user_sgpr_count 2
		.amdhsa_user_sgpr_dispatch_ptr 0
		.amdhsa_user_sgpr_queue_ptr 0
		.amdhsa_user_sgpr_kernarg_segment_ptr 1
		.amdhsa_user_sgpr_dispatch_id 0
		.amdhsa_user_sgpr_private_segment_size 0
		.amdhsa_wavefront_size32 1
		.amdhsa_uses_dynamic_stack 0
		.amdhsa_enable_private_segment 0
		.amdhsa_system_sgpr_workgroup_id_x 1
		.amdhsa_system_sgpr_workgroup_id_y 0
		.amdhsa_system_sgpr_workgroup_id_z 0
		.amdhsa_system_sgpr_workgroup_info 0
		.amdhsa_system_vgpr_workitem_id 0
		.amdhsa_next_free_vgpr 1
		.amdhsa_next_free_sgpr 1
		.amdhsa_reserve_vcc 0
		.amdhsa_float_round_mode_32 0
		.amdhsa_float_round_mode_16_64 0
		.amdhsa_float_denorm_mode_32 3
		.amdhsa_float_denorm_mode_16_64 3
		.amdhsa_fp16_overflow 0
		.amdhsa_workgroup_processor_mode 1
		.amdhsa_memory_ordered 1
		.amdhsa_forward_progress 1
		.amdhsa_inst_pref_size 0
		.amdhsa_round_robin_scheduling 0
		.amdhsa_exception_fp_ieee_invalid_op 0
		.amdhsa_exception_fp_denorm_src 0
		.amdhsa_exception_fp_ieee_div_zero 0
		.amdhsa_exception_fp_ieee_overflow 0
		.amdhsa_exception_fp_ieee_underflow 0
		.amdhsa_exception_fp_ieee_inexact 0
		.amdhsa_exception_int_div_zero 0
	.end_amdhsa_kernel
	.section	.text._ZN7rocprim17ROCPRIM_400000_NS6detail17trampoline_kernelINS0_14default_configENS1_35radix_sort_onesweep_config_selectorIjN6thrust23THRUST_200600_302600_NS5tupleIffNS6_9null_typeES8_S8_S8_S8_S8_S8_S8_EEEEZZNS1_29radix_sort_onesweep_iterationIS3_Lb0ENS6_6detail15normal_iteratorINS6_10device_ptrIjEEEESG_NSD_INSE_IS9_EEEESI_jNS0_19identity_decomposerENS1_16block_id_wrapperIjLb1EEEEE10hipError_tT1_PNSt15iterator_traitsISN_E10value_typeET2_T3_PNSO_IST_E10value_typeET4_T5_PSY_SZ_PNS1_23onesweep_lookback_stateEbbT6_jjT7_P12ihipStream_tbENKUlT_T0_SN_SS_E_clISG_PjSI_PS9_EEDaS16_S17_SN_SS_EUlS16_E_NS1_11comp_targetILNS1_3genE4ELNS1_11target_archE910ELNS1_3gpuE8ELNS1_3repE0EEENS1_47radix_sort_onesweep_sort_config_static_selectorELNS0_4arch9wavefront6targetE0EEEvSN_,"axG",@progbits,_ZN7rocprim17ROCPRIM_400000_NS6detail17trampoline_kernelINS0_14default_configENS1_35radix_sort_onesweep_config_selectorIjN6thrust23THRUST_200600_302600_NS5tupleIffNS6_9null_typeES8_S8_S8_S8_S8_S8_S8_EEEEZZNS1_29radix_sort_onesweep_iterationIS3_Lb0ENS6_6detail15normal_iteratorINS6_10device_ptrIjEEEESG_NSD_INSE_IS9_EEEESI_jNS0_19identity_decomposerENS1_16block_id_wrapperIjLb1EEEEE10hipError_tT1_PNSt15iterator_traitsISN_E10value_typeET2_T3_PNSO_IST_E10value_typeET4_T5_PSY_SZ_PNS1_23onesweep_lookback_stateEbbT6_jjT7_P12ihipStream_tbENKUlT_T0_SN_SS_E_clISG_PjSI_PS9_EEDaS16_S17_SN_SS_EUlS16_E_NS1_11comp_targetILNS1_3genE4ELNS1_11target_archE910ELNS1_3gpuE8ELNS1_3repE0EEENS1_47radix_sort_onesweep_sort_config_static_selectorELNS0_4arch9wavefront6targetE0EEEvSN_,comdat
.Lfunc_end188:
	.size	_ZN7rocprim17ROCPRIM_400000_NS6detail17trampoline_kernelINS0_14default_configENS1_35radix_sort_onesweep_config_selectorIjN6thrust23THRUST_200600_302600_NS5tupleIffNS6_9null_typeES8_S8_S8_S8_S8_S8_S8_EEEEZZNS1_29radix_sort_onesweep_iterationIS3_Lb0ENS6_6detail15normal_iteratorINS6_10device_ptrIjEEEESG_NSD_INSE_IS9_EEEESI_jNS0_19identity_decomposerENS1_16block_id_wrapperIjLb1EEEEE10hipError_tT1_PNSt15iterator_traitsISN_E10value_typeET2_T3_PNSO_IST_E10value_typeET4_T5_PSY_SZ_PNS1_23onesweep_lookback_stateEbbT6_jjT7_P12ihipStream_tbENKUlT_T0_SN_SS_E_clISG_PjSI_PS9_EEDaS16_S17_SN_SS_EUlS16_E_NS1_11comp_targetILNS1_3genE4ELNS1_11target_archE910ELNS1_3gpuE8ELNS1_3repE0EEENS1_47radix_sort_onesweep_sort_config_static_selectorELNS0_4arch9wavefront6targetE0EEEvSN_, .Lfunc_end188-_ZN7rocprim17ROCPRIM_400000_NS6detail17trampoline_kernelINS0_14default_configENS1_35radix_sort_onesweep_config_selectorIjN6thrust23THRUST_200600_302600_NS5tupleIffNS6_9null_typeES8_S8_S8_S8_S8_S8_S8_EEEEZZNS1_29radix_sort_onesweep_iterationIS3_Lb0ENS6_6detail15normal_iteratorINS6_10device_ptrIjEEEESG_NSD_INSE_IS9_EEEESI_jNS0_19identity_decomposerENS1_16block_id_wrapperIjLb1EEEEE10hipError_tT1_PNSt15iterator_traitsISN_E10value_typeET2_T3_PNSO_IST_E10value_typeET4_T5_PSY_SZ_PNS1_23onesweep_lookback_stateEbbT6_jjT7_P12ihipStream_tbENKUlT_T0_SN_SS_E_clISG_PjSI_PS9_EEDaS16_S17_SN_SS_EUlS16_E_NS1_11comp_targetILNS1_3genE4ELNS1_11target_archE910ELNS1_3gpuE8ELNS1_3repE0EEENS1_47radix_sort_onesweep_sort_config_static_selectorELNS0_4arch9wavefront6targetE0EEEvSN_
                                        ; -- End function
	.set _ZN7rocprim17ROCPRIM_400000_NS6detail17trampoline_kernelINS0_14default_configENS1_35radix_sort_onesweep_config_selectorIjN6thrust23THRUST_200600_302600_NS5tupleIffNS6_9null_typeES8_S8_S8_S8_S8_S8_S8_EEEEZZNS1_29radix_sort_onesweep_iterationIS3_Lb0ENS6_6detail15normal_iteratorINS6_10device_ptrIjEEEESG_NSD_INSE_IS9_EEEESI_jNS0_19identity_decomposerENS1_16block_id_wrapperIjLb1EEEEE10hipError_tT1_PNSt15iterator_traitsISN_E10value_typeET2_T3_PNSO_IST_E10value_typeET4_T5_PSY_SZ_PNS1_23onesweep_lookback_stateEbbT6_jjT7_P12ihipStream_tbENKUlT_T0_SN_SS_E_clISG_PjSI_PS9_EEDaS16_S17_SN_SS_EUlS16_E_NS1_11comp_targetILNS1_3genE4ELNS1_11target_archE910ELNS1_3gpuE8ELNS1_3repE0EEENS1_47radix_sort_onesweep_sort_config_static_selectorELNS0_4arch9wavefront6targetE0EEEvSN_.num_vgpr, 0
	.set _ZN7rocprim17ROCPRIM_400000_NS6detail17trampoline_kernelINS0_14default_configENS1_35radix_sort_onesweep_config_selectorIjN6thrust23THRUST_200600_302600_NS5tupleIffNS6_9null_typeES8_S8_S8_S8_S8_S8_S8_EEEEZZNS1_29radix_sort_onesweep_iterationIS3_Lb0ENS6_6detail15normal_iteratorINS6_10device_ptrIjEEEESG_NSD_INSE_IS9_EEEESI_jNS0_19identity_decomposerENS1_16block_id_wrapperIjLb1EEEEE10hipError_tT1_PNSt15iterator_traitsISN_E10value_typeET2_T3_PNSO_IST_E10value_typeET4_T5_PSY_SZ_PNS1_23onesweep_lookback_stateEbbT6_jjT7_P12ihipStream_tbENKUlT_T0_SN_SS_E_clISG_PjSI_PS9_EEDaS16_S17_SN_SS_EUlS16_E_NS1_11comp_targetILNS1_3genE4ELNS1_11target_archE910ELNS1_3gpuE8ELNS1_3repE0EEENS1_47radix_sort_onesweep_sort_config_static_selectorELNS0_4arch9wavefront6targetE0EEEvSN_.num_agpr, 0
	.set _ZN7rocprim17ROCPRIM_400000_NS6detail17trampoline_kernelINS0_14default_configENS1_35radix_sort_onesweep_config_selectorIjN6thrust23THRUST_200600_302600_NS5tupleIffNS6_9null_typeES8_S8_S8_S8_S8_S8_S8_EEEEZZNS1_29radix_sort_onesweep_iterationIS3_Lb0ENS6_6detail15normal_iteratorINS6_10device_ptrIjEEEESG_NSD_INSE_IS9_EEEESI_jNS0_19identity_decomposerENS1_16block_id_wrapperIjLb1EEEEE10hipError_tT1_PNSt15iterator_traitsISN_E10value_typeET2_T3_PNSO_IST_E10value_typeET4_T5_PSY_SZ_PNS1_23onesweep_lookback_stateEbbT6_jjT7_P12ihipStream_tbENKUlT_T0_SN_SS_E_clISG_PjSI_PS9_EEDaS16_S17_SN_SS_EUlS16_E_NS1_11comp_targetILNS1_3genE4ELNS1_11target_archE910ELNS1_3gpuE8ELNS1_3repE0EEENS1_47radix_sort_onesweep_sort_config_static_selectorELNS0_4arch9wavefront6targetE0EEEvSN_.numbered_sgpr, 0
	.set _ZN7rocprim17ROCPRIM_400000_NS6detail17trampoline_kernelINS0_14default_configENS1_35radix_sort_onesweep_config_selectorIjN6thrust23THRUST_200600_302600_NS5tupleIffNS6_9null_typeES8_S8_S8_S8_S8_S8_S8_EEEEZZNS1_29radix_sort_onesweep_iterationIS3_Lb0ENS6_6detail15normal_iteratorINS6_10device_ptrIjEEEESG_NSD_INSE_IS9_EEEESI_jNS0_19identity_decomposerENS1_16block_id_wrapperIjLb1EEEEE10hipError_tT1_PNSt15iterator_traitsISN_E10value_typeET2_T3_PNSO_IST_E10value_typeET4_T5_PSY_SZ_PNS1_23onesweep_lookback_stateEbbT6_jjT7_P12ihipStream_tbENKUlT_T0_SN_SS_E_clISG_PjSI_PS9_EEDaS16_S17_SN_SS_EUlS16_E_NS1_11comp_targetILNS1_3genE4ELNS1_11target_archE910ELNS1_3gpuE8ELNS1_3repE0EEENS1_47radix_sort_onesweep_sort_config_static_selectorELNS0_4arch9wavefront6targetE0EEEvSN_.num_named_barrier, 0
	.set _ZN7rocprim17ROCPRIM_400000_NS6detail17trampoline_kernelINS0_14default_configENS1_35radix_sort_onesweep_config_selectorIjN6thrust23THRUST_200600_302600_NS5tupleIffNS6_9null_typeES8_S8_S8_S8_S8_S8_S8_EEEEZZNS1_29radix_sort_onesweep_iterationIS3_Lb0ENS6_6detail15normal_iteratorINS6_10device_ptrIjEEEESG_NSD_INSE_IS9_EEEESI_jNS0_19identity_decomposerENS1_16block_id_wrapperIjLb1EEEEE10hipError_tT1_PNSt15iterator_traitsISN_E10value_typeET2_T3_PNSO_IST_E10value_typeET4_T5_PSY_SZ_PNS1_23onesweep_lookback_stateEbbT6_jjT7_P12ihipStream_tbENKUlT_T0_SN_SS_E_clISG_PjSI_PS9_EEDaS16_S17_SN_SS_EUlS16_E_NS1_11comp_targetILNS1_3genE4ELNS1_11target_archE910ELNS1_3gpuE8ELNS1_3repE0EEENS1_47radix_sort_onesweep_sort_config_static_selectorELNS0_4arch9wavefront6targetE0EEEvSN_.private_seg_size, 0
	.set _ZN7rocprim17ROCPRIM_400000_NS6detail17trampoline_kernelINS0_14default_configENS1_35radix_sort_onesweep_config_selectorIjN6thrust23THRUST_200600_302600_NS5tupleIffNS6_9null_typeES8_S8_S8_S8_S8_S8_S8_EEEEZZNS1_29radix_sort_onesweep_iterationIS3_Lb0ENS6_6detail15normal_iteratorINS6_10device_ptrIjEEEESG_NSD_INSE_IS9_EEEESI_jNS0_19identity_decomposerENS1_16block_id_wrapperIjLb1EEEEE10hipError_tT1_PNSt15iterator_traitsISN_E10value_typeET2_T3_PNSO_IST_E10value_typeET4_T5_PSY_SZ_PNS1_23onesweep_lookback_stateEbbT6_jjT7_P12ihipStream_tbENKUlT_T0_SN_SS_E_clISG_PjSI_PS9_EEDaS16_S17_SN_SS_EUlS16_E_NS1_11comp_targetILNS1_3genE4ELNS1_11target_archE910ELNS1_3gpuE8ELNS1_3repE0EEENS1_47radix_sort_onesweep_sort_config_static_selectorELNS0_4arch9wavefront6targetE0EEEvSN_.uses_vcc, 0
	.set _ZN7rocprim17ROCPRIM_400000_NS6detail17trampoline_kernelINS0_14default_configENS1_35radix_sort_onesweep_config_selectorIjN6thrust23THRUST_200600_302600_NS5tupleIffNS6_9null_typeES8_S8_S8_S8_S8_S8_S8_EEEEZZNS1_29radix_sort_onesweep_iterationIS3_Lb0ENS6_6detail15normal_iteratorINS6_10device_ptrIjEEEESG_NSD_INSE_IS9_EEEESI_jNS0_19identity_decomposerENS1_16block_id_wrapperIjLb1EEEEE10hipError_tT1_PNSt15iterator_traitsISN_E10value_typeET2_T3_PNSO_IST_E10value_typeET4_T5_PSY_SZ_PNS1_23onesweep_lookback_stateEbbT6_jjT7_P12ihipStream_tbENKUlT_T0_SN_SS_E_clISG_PjSI_PS9_EEDaS16_S17_SN_SS_EUlS16_E_NS1_11comp_targetILNS1_3genE4ELNS1_11target_archE910ELNS1_3gpuE8ELNS1_3repE0EEENS1_47radix_sort_onesweep_sort_config_static_selectorELNS0_4arch9wavefront6targetE0EEEvSN_.uses_flat_scratch, 0
	.set _ZN7rocprim17ROCPRIM_400000_NS6detail17trampoline_kernelINS0_14default_configENS1_35radix_sort_onesweep_config_selectorIjN6thrust23THRUST_200600_302600_NS5tupleIffNS6_9null_typeES8_S8_S8_S8_S8_S8_S8_EEEEZZNS1_29radix_sort_onesweep_iterationIS3_Lb0ENS6_6detail15normal_iteratorINS6_10device_ptrIjEEEESG_NSD_INSE_IS9_EEEESI_jNS0_19identity_decomposerENS1_16block_id_wrapperIjLb1EEEEE10hipError_tT1_PNSt15iterator_traitsISN_E10value_typeET2_T3_PNSO_IST_E10value_typeET4_T5_PSY_SZ_PNS1_23onesweep_lookback_stateEbbT6_jjT7_P12ihipStream_tbENKUlT_T0_SN_SS_E_clISG_PjSI_PS9_EEDaS16_S17_SN_SS_EUlS16_E_NS1_11comp_targetILNS1_3genE4ELNS1_11target_archE910ELNS1_3gpuE8ELNS1_3repE0EEENS1_47radix_sort_onesweep_sort_config_static_selectorELNS0_4arch9wavefront6targetE0EEEvSN_.has_dyn_sized_stack, 0
	.set _ZN7rocprim17ROCPRIM_400000_NS6detail17trampoline_kernelINS0_14default_configENS1_35radix_sort_onesweep_config_selectorIjN6thrust23THRUST_200600_302600_NS5tupleIffNS6_9null_typeES8_S8_S8_S8_S8_S8_S8_EEEEZZNS1_29radix_sort_onesweep_iterationIS3_Lb0ENS6_6detail15normal_iteratorINS6_10device_ptrIjEEEESG_NSD_INSE_IS9_EEEESI_jNS0_19identity_decomposerENS1_16block_id_wrapperIjLb1EEEEE10hipError_tT1_PNSt15iterator_traitsISN_E10value_typeET2_T3_PNSO_IST_E10value_typeET4_T5_PSY_SZ_PNS1_23onesweep_lookback_stateEbbT6_jjT7_P12ihipStream_tbENKUlT_T0_SN_SS_E_clISG_PjSI_PS9_EEDaS16_S17_SN_SS_EUlS16_E_NS1_11comp_targetILNS1_3genE4ELNS1_11target_archE910ELNS1_3gpuE8ELNS1_3repE0EEENS1_47radix_sort_onesweep_sort_config_static_selectorELNS0_4arch9wavefront6targetE0EEEvSN_.has_recursion, 0
	.set _ZN7rocprim17ROCPRIM_400000_NS6detail17trampoline_kernelINS0_14default_configENS1_35radix_sort_onesweep_config_selectorIjN6thrust23THRUST_200600_302600_NS5tupleIffNS6_9null_typeES8_S8_S8_S8_S8_S8_S8_EEEEZZNS1_29radix_sort_onesweep_iterationIS3_Lb0ENS6_6detail15normal_iteratorINS6_10device_ptrIjEEEESG_NSD_INSE_IS9_EEEESI_jNS0_19identity_decomposerENS1_16block_id_wrapperIjLb1EEEEE10hipError_tT1_PNSt15iterator_traitsISN_E10value_typeET2_T3_PNSO_IST_E10value_typeET4_T5_PSY_SZ_PNS1_23onesweep_lookback_stateEbbT6_jjT7_P12ihipStream_tbENKUlT_T0_SN_SS_E_clISG_PjSI_PS9_EEDaS16_S17_SN_SS_EUlS16_E_NS1_11comp_targetILNS1_3genE4ELNS1_11target_archE910ELNS1_3gpuE8ELNS1_3repE0EEENS1_47radix_sort_onesweep_sort_config_static_selectorELNS0_4arch9wavefront6targetE0EEEvSN_.has_indirect_call, 0
	.section	.AMDGPU.csdata,"",@progbits
; Kernel info:
; codeLenInByte = 0
; TotalNumSgprs: 0
; NumVgprs: 0
; ScratchSize: 0
; MemoryBound: 0
; FloatMode: 240
; IeeeMode: 1
; LDSByteSize: 0 bytes/workgroup (compile time only)
; SGPRBlocks: 0
; VGPRBlocks: 0
; NumSGPRsForWavesPerEU: 1
; NumVGPRsForWavesPerEU: 1
; Occupancy: 16
; WaveLimiterHint : 0
; COMPUTE_PGM_RSRC2:SCRATCH_EN: 0
; COMPUTE_PGM_RSRC2:USER_SGPR: 2
; COMPUTE_PGM_RSRC2:TRAP_HANDLER: 0
; COMPUTE_PGM_RSRC2:TGID_X_EN: 1
; COMPUTE_PGM_RSRC2:TGID_Y_EN: 0
; COMPUTE_PGM_RSRC2:TGID_Z_EN: 0
; COMPUTE_PGM_RSRC2:TIDIG_COMP_CNT: 0
	.section	.text._ZN7rocprim17ROCPRIM_400000_NS6detail17trampoline_kernelINS0_14default_configENS1_35radix_sort_onesweep_config_selectorIjN6thrust23THRUST_200600_302600_NS5tupleIffNS6_9null_typeES8_S8_S8_S8_S8_S8_S8_EEEEZZNS1_29radix_sort_onesweep_iterationIS3_Lb0ENS6_6detail15normal_iteratorINS6_10device_ptrIjEEEESG_NSD_INSE_IS9_EEEESI_jNS0_19identity_decomposerENS1_16block_id_wrapperIjLb1EEEEE10hipError_tT1_PNSt15iterator_traitsISN_E10value_typeET2_T3_PNSO_IST_E10value_typeET4_T5_PSY_SZ_PNS1_23onesweep_lookback_stateEbbT6_jjT7_P12ihipStream_tbENKUlT_T0_SN_SS_E_clISG_PjSI_PS9_EEDaS16_S17_SN_SS_EUlS16_E_NS1_11comp_targetILNS1_3genE3ELNS1_11target_archE908ELNS1_3gpuE7ELNS1_3repE0EEENS1_47radix_sort_onesweep_sort_config_static_selectorELNS0_4arch9wavefront6targetE0EEEvSN_,"axG",@progbits,_ZN7rocprim17ROCPRIM_400000_NS6detail17trampoline_kernelINS0_14default_configENS1_35radix_sort_onesweep_config_selectorIjN6thrust23THRUST_200600_302600_NS5tupleIffNS6_9null_typeES8_S8_S8_S8_S8_S8_S8_EEEEZZNS1_29radix_sort_onesweep_iterationIS3_Lb0ENS6_6detail15normal_iteratorINS6_10device_ptrIjEEEESG_NSD_INSE_IS9_EEEESI_jNS0_19identity_decomposerENS1_16block_id_wrapperIjLb1EEEEE10hipError_tT1_PNSt15iterator_traitsISN_E10value_typeET2_T3_PNSO_IST_E10value_typeET4_T5_PSY_SZ_PNS1_23onesweep_lookback_stateEbbT6_jjT7_P12ihipStream_tbENKUlT_T0_SN_SS_E_clISG_PjSI_PS9_EEDaS16_S17_SN_SS_EUlS16_E_NS1_11comp_targetILNS1_3genE3ELNS1_11target_archE908ELNS1_3gpuE7ELNS1_3repE0EEENS1_47radix_sort_onesweep_sort_config_static_selectorELNS0_4arch9wavefront6targetE0EEEvSN_,comdat
	.protected	_ZN7rocprim17ROCPRIM_400000_NS6detail17trampoline_kernelINS0_14default_configENS1_35radix_sort_onesweep_config_selectorIjN6thrust23THRUST_200600_302600_NS5tupleIffNS6_9null_typeES8_S8_S8_S8_S8_S8_S8_EEEEZZNS1_29radix_sort_onesweep_iterationIS3_Lb0ENS6_6detail15normal_iteratorINS6_10device_ptrIjEEEESG_NSD_INSE_IS9_EEEESI_jNS0_19identity_decomposerENS1_16block_id_wrapperIjLb1EEEEE10hipError_tT1_PNSt15iterator_traitsISN_E10value_typeET2_T3_PNSO_IST_E10value_typeET4_T5_PSY_SZ_PNS1_23onesweep_lookback_stateEbbT6_jjT7_P12ihipStream_tbENKUlT_T0_SN_SS_E_clISG_PjSI_PS9_EEDaS16_S17_SN_SS_EUlS16_E_NS1_11comp_targetILNS1_3genE3ELNS1_11target_archE908ELNS1_3gpuE7ELNS1_3repE0EEENS1_47radix_sort_onesweep_sort_config_static_selectorELNS0_4arch9wavefront6targetE0EEEvSN_ ; -- Begin function _ZN7rocprim17ROCPRIM_400000_NS6detail17trampoline_kernelINS0_14default_configENS1_35radix_sort_onesweep_config_selectorIjN6thrust23THRUST_200600_302600_NS5tupleIffNS6_9null_typeES8_S8_S8_S8_S8_S8_S8_EEEEZZNS1_29radix_sort_onesweep_iterationIS3_Lb0ENS6_6detail15normal_iteratorINS6_10device_ptrIjEEEESG_NSD_INSE_IS9_EEEESI_jNS0_19identity_decomposerENS1_16block_id_wrapperIjLb1EEEEE10hipError_tT1_PNSt15iterator_traitsISN_E10value_typeET2_T3_PNSO_IST_E10value_typeET4_T5_PSY_SZ_PNS1_23onesweep_lookback_stateEbbT6_jjT7_P12ihipStream_tbENKUlT_T0_SN_SS_E_clISG_PjSI_PS9_EEDaS16_S17_SN_SS_EUlS16_E_NS1_11comp_targetILNS1_3genE3ELNS1_11target_archE908ELNS1_3gpuE7ELNS1_3repE0EEENS1_47radix_sort_onesweep_sort_config_static_selectorELNS0_4arch9wavefront6targetE0EEEvSN_
	.globl	_ZN7rocprim17ROCPRIM_400000_NS6detail17trampoline_kernelINS0_14default_configENS1_35radix_sort_onesweep_config_selectorIjN6thrust23THRUST_200600_302600_NS5tupleIffNS6_9null_typeES8_S8_S8_S8_S8_S8_S8_EEEEZZNS1_29radix_sort_onesweep_iterationIS3_Lb0ENS6_6detail15normal_iteratorINS6_10device_ptrIjEEEESG_NSD_INSE_IS9_EEEESI_jNS0_19identity_decomposerENS1_16block_id_wrapperIjLb1EEEEE10hipError_tT1_PNSt15iterator_traitsISN_E10value_typeET2_T3_PNSO_IST_E10value_typeET4_T5_PSY_SZ_PNS1_23onesweep_lookback_stateEbbT6_jjT7_P12ihipStream_tbENKUlT_T0_SN_SS_E_clISG_PjSI_PS9_EEDaS16_S17_SN_SS_EUlS16_E_NS1_11comp_targetILNS1_3genE3ELNS1_11target_archE908ELNS1_3gpuE7ELNS1_3repE0EEENS1_47radix_sort_onesweep_sort_config_static_selectorELNS0_4arch9wavefront6targetE0EEEvSN_
	.p2align	8
	.type	_ZN7rocprim17ROCPRIM_400000_NS6detail17trampoline_kernelINS0_14default_configENS1_35radix_sort_onesweep_config_selectorIjN6thrust23THRUST_200600_302600_NS5tupleIffNS6_9null_typeES8_S8_S8_S8_S8_S8_S8_EEEEZZNS1_29radix_sort_onesweep_iterationIS3_Lb0ENS6_6detail15normal_iteratorINS6_10device_ptrIjEEEESG_NSD_INSE_IS9_EEEESI_jNS0_19identity_decomposerENS1_16block_id_wrapperIjLb1EEEEE10hipError_tT1_PNSt15iterator_traitsISN_E10value_typeET2_T3_PNSO_IST_E10value_typeET4_T5_PSY_SZ_PNS1_23onesweep_lookback_stateEbbT6_jjT7_P12ihipStream_tbENKUlT_T0_SN_SS_E_clISG_PjSI_PS9_EEDaS16_S17_SN_SS_EUlS16_E_NS1_11comp_targetILNS1_3genE3ELNS1_11target_archE908ELNS1_3gpuE7ELNS1_3repE0EEENS1_47radix_sort_onesweep_sort_config_static_selectorELNS0_4arch9wavefront6targetE0EEEvSN_,@function
_ZN7rocprim17ROCPRIM_400000_NS6detail17trampoline_kernelINS0_14default_configENS1_35radix_sort_onesweep_config_selectorIjN6thrust23THRUST_200600_302600_NS5tupleIffNS6_9null_typeES8_S8_S8_S8_S8_S8_S8_EEEEZZNS1_29radix_sort_onesweep_iterationIS3_Lb0ENS6_6detail15normal_iteratorINS6_10device_ptrIjEEEESG_NSD_INSE_IS9_EEEESI_jNS0_19identity_decomposerENS1_16block_id_wrapperIjLb1EEEEE10hipError_tT1_PNSt15iterator_traitsISN_E10value_typeET2_T3_PNSO_IST_E10value_typeET4_T5_PSY_SZ_PNS1_23onesweep_lookback_stateEbbT6_jjT7_P12ihipStream_tbENKUlT_T0_SN_SS_E_clISG_PjSI_PS9_EEDaS16_S17_SN_SS_EUlS16_E_NS1_11comp_targetILNS1_3genE3ELNS1_11target_archE908ELNS1_3gpuE7ELNS1_3repE0EEENS1_47radix_sort_onesweep_sort_config_static_selectorELNS0_4arch9wavefront6targetE0EEEvSN_: ; @_ZN7rocprim17ROCPRIM_400000_NS6detail17trampoline_kernelINS0_14default_configENS1_35radix_sort_onesweep_config_selectorIjN6thrust23THRUST_200600_302600_NS5tupleIffNS6_9null_typeES8_S8_S8_S8_S8_S8_S8_EEEEZZNS1_29radix_sort_onesweep_iterationIS3_Lb0ENS6_6detail15normal_iteratorINS6_10device_ptrIjEEEESG_NSD_INSE_IS9_EEEESI_jNS0_19identity_decomposerENS1_16block_id_wrapperIjLb1EEEEE10hipError_tT1_PNSt15iterator_traitsISN_E10value_typeET2_T3_PNSO_IST_E10value_typeET4_T5_PSY_SZ_PNS1_23onesweep_lookback_stateEbbT6_jjT7_P12ihipStream_tbENKUlT_T0_SN_SS_E_clISG_PjSI_PS9_EEDaS16_S17_SN_SS_EUlS16_E_NS1_11comp_targetILNS1_3genE3ELNS1_11target_archE908ELNS1_3gpuE7ELNS1_3repE0EEENS1_47radix_sort_onesweep_sort_config_static_selectorELNS0_4arch9wavefront6targetE0EEEvSN_
; %bb.0:
	.section	.rodata,"a",@progbits
	.p2align	6, 0x0
	.amdhsa_kernel _ZN7rocprim17ROCPRIM_400000_NS6detail17trampoline_kernelINS0_14default_configENS1_35radix_sort_onesweep_config_selectorIjN6thrust23THRUST_200600_302600_NS5tupleIffNS6_9null_typeES8_S8_S8_S8_S8_S8_S8_EEEEZZNS1_29radix_sort_onesweep_iterationIS3_Lb0ENS6_6detail15normal_iteratorINS6_10device_ptrIjEEEESG_NSD_INSE_IS9_EEEESI_jNS0_19identity_decomposerENS1_16block_id_wrapperIjLb1EEEEE10hipError_tT1_PNSt15iterator_traitsISN_E10value_typeET2_T3_PNSO_IST_E10value_typeET4_T5_PSY_SZ_PNS1_23onesweep_lookback_stateEbbT6_jjT7_P12ihipStream_tbENKUlT_T0_SN_SS_E_clISG_PjSI_PS9_EEDaS16_S17_SN_SS_EUlS16_E_NS1_11comp_targetILNS1_3genE3ELNS1_11target_archE908ELNS1_3gpuE7ELNS1_3repE0EEENS1_47radix_sort_onesweep_sort_config_static_selectorELNS0_4arch9wavefront6targetE0EEEvSN_
		.amdhsa_group_segment_fixed_size 0
		.amdhsa_private_segment_fixed_size 0
		.amdhsa_kernarg_size 88
		.amdhsa_user_sgpr_count 2
		.amdhsa_user_sgpr_dispatch_ptr 0
		.amdhsa_user_sgpr_queue_ptr 0
		.amdhsa_user_sgpr_kernarg_segment_ptr 1
		.amdhsa_user_sgpr_dispatch_id 0
		.amdhsa_user_sgpr_private_segment_size 0
		.amdhsa_wavefront_size32 1
		.amdhsa_uses_dynamic_stack 0
		.amdhsa_enable_private_segment 0
		.amdhsa_system_sgpr_workgroup_id_x 1
		.amdhsa_system_sgpr_workgroup_id_y 0
		.amdhsa_system_sgpr_workgroup_id_z 0
		.amdhsa_system_sgpr_workgroup_info 0
		.amdhsa_system_vgpr_workitem_id 0
		.amdhsa_next_free_vgpr 1
		.amdhsa_next_free_sgpr 1
		.amdhsa_reserve_vcc 0
		.amdhsa_float_round_mode_32 0
		.amdhsa_float_round_mode_16_64 0
		.amdhsa_float_denorm_mode_32 3
		.amdhsa_float_denorm_mode_16_64 3
		.amdhsa_fp16_overflow 0
		.amdhsa_workgroup_processor_mode 1
		.amdhsa_memory_ordered 1
		.amdhsa_forward_progress 1
		.amdhsa_inst_pref_size 0
		.amdhsa_round_robin_scheduling 0
		.amdhsa_exception_fp_ieee_invalid_op 0
		.amdhsa_exception_fp_denorm_src 0
		.amdhsa_exception_fp_ieee_div_zero 0
		.amdhsa_exception_fp_ieee_overflow 0
		.amdhsa_exception_fp_ieee_underflow 0
		.amdhsa_exception_fp_ieee_inexact 0
		.amdhsa_exception_int_div_zero 0
	.end_amdhsa_kernel
	.section	.text._ZN7rocprim17ROCPRIM_400000_NS6detail17trampoline_kernelINS0_14default_configENS1_35radix_sort_onesweep_config_selectorIjN6thrust23THRUST_200600_302600_NS5tupleIffNS6_9null_typeES8_S8_S8_S8_S8_S8_S8_EEEEZZNS1_29radix_sort_onesweep_iterationIS3_Lb0ENS6_6detail15normal_iteratorINS6_10device_ptrIjEEEESG_NSD_INSE_IS9_EEEESI_jNS0_19identity_decomposerENS1_16block_id_wrapperIjLb1EEEEE10hipError_tT1_PNSt15iterator_traitsISN_E10value_typeET2_T3_PNSO_IST_E10value_typeET4_T5_PSY_SZ_PNS1_23onesweep_lookback_stateEbbT6_jjT7_P12ihipStream_tbENKUlT_T0_SN_SS_E_clISG_PjSI_PS9_EEDaS16_S17_SN_SS_EUlS16_E_NS1_11comp_targetILNS1_3genE3ELNS1_11target_archE908ELNS1_3gpuE7ELNS1_3repE0EEENS1_47radix_sort_onesweep_sort_config_static_selectorELNS0_4arch9wavefront6targetE0EEEvSN_,"axG",@progbits,_ZN7rocprim17ROCPRIM_400000_NS6detail17trampoline_kernelINS0_14default_configENS1_35radix_sort_onesweep_config_selectorIjN6thrust23THRUST_200600_302600_NS5tupleIffNS6_9null_typeES8_S8_S8_S8_S8_S8_S8_EEEEZZNS1_29radix_sort_onesweep_iterationIS3_Lb0ENS6_6detail15normal_iteratorINS6_10device_ptrIjEEEESG_NSD_INSE_IS9_EEEESI_jNS0_19identity_decomposerENS1_16block_id_wrapperIjLb1EEEEE10hipError_tT1_PNSt15iterator_traitsISN_E10value_typeET2_T3_PNSO_IST_E10value_typeET4_T5_PSY_SZ_PNS1_23onesweep_lookback_stateEbbT6_jjT7_P12ihipStream_tbENKUlT_T0_SN_SS_E_clISG_PjSI_PS9_EEDaS16_S17_SN_SS_EUlS16_E_NS1_11comp_targetILNS1_3genE3ELNS1_11target_archE908ELNS1_3gpuE7ELNS1_3repE0EEENS1_47radix_sort_onesweep_sort_config_static_selectorELNS0_4arch9wavefront6targetE0EEEvSN_,comdat
.Lfunc_end189:
	.size	_ZN7rocprim17ROCPRIM_400000_NS6detail17trampoline_kernelINS0_14default_configENS1_35radix_sort_onesweep_config_selectorIjN6thrust23THRUST_200600_302600_NS5tupleIffNS6_9null_typeES8_S8_S8_S8_S8_S8_S8_EEEEZZNS1_29radix_sort_onesweep_iterationIS3_Lb0ENS6_6detail15normal_iteratorINS6_10device_ptrIjEEEESG_NSD_INSE_IS9_EEEESI_jNS0_19identity_decomposerENS1_16block_id_wrapperIjLb1EEEEE10hipError_tT1_PNSt15iterator_traitsISN_E10value_typeET2_T3_PNSO_IST_E10value_typeET4_T5_PSY_SZ_PNS1_23onesweep_lookback_stateEbbT6_jjT7_P12ihipStream_tbENKUlT_T0_SN_SS_E_clISG_PjSI_PS9_EEDaS16_S17_SN_SS_EUlS16_E_NS1_11comp_targetILNS1_3genE3ELNS1_11target_archE908ELNS1_3gpuE7ELNS1_3repE0EEENS1_47radix_sort_onesweep_sort_config_static_selectorELNS0_4arch9wavefront6targetE0EEEvSN_, .Lfunc_end189-_ZN7rocprim17ROCPRIM_400000_NS6detail17trampoline_kernelINS0_14default_configENS1_35radix_sort_onesweep_config_selectorIjN6thrust23THRUST_200600_302600_NS5tupleIffNS6_9null_typeES8_S8_S8_S8_S8_S8_S8_EEEEZZNS1_29radix_sort_onesweep_iterationIS3_Lb0ENS6_6detail15normal_iteratorINS6_10device_ptrIjEEEESG_NSD_INSE_IS9_EEEESI_jNS0_19identity_decomposerENS1_16block_id_wrapperIjLb1EEEEE10hipError_tT1_PNSt15iterator_traitsISN_E10value_typeET2_T3_PNSO_IST_E10value_typeET4_T5_PSY_SZ_PNS1_23onesweep_lookback_stateEbbT6_jjT7_P12ihipStream_tbENKUlT_T0_SN_SS_E_clISG_PjSI_PS9_EEDaS16_S17_SN_SS_EUlS16_E_NS1_11comp_targetILNS1_3genE3ELNS1_11target_archE908ELNS1_3gpuE7ELNS1_3repE0EEENS1_47radix_sort_onesweep_sort_config_static_selectorELNS0_4arch9wavefront6targetE0EEEvSN_
                                        ; -- End function
	.set _ZN7rocprim17ROCPRIM_400000_NS6detail17trampoline_kernelINS0_14default_configENS1_35radix_sort_onesweep_config_selectorIjN6thrust23THRUST_200600_302600_NS5tupleIffNS6_9null_typeES8_S8_S8_S8_S8_S8_S8_EEEEZZNS1_29radix_sort_onesweep_iterationIS3_Lb0ENS6_6detail15normal_iteratorINS6_10device_ptrIjEEEESG_NSD_INSE_IS9_EEEESI_jNS0_19identity_decomposerENS1_16block_id_wrapperIjLb1EEEEE10hipError_tT1_PNSt15iterator_traitsISN_E10value_typeET2_T3_PNSO_IST_E10value_typeET4_T5_PSY_SZ_PNS1_23onesweep_lookback_stateEbbT6_jjT7_P12ihipStream_tbENKUlT_T0_SN_SS_E_clISG_PjSI_PS9_EEDaS16_S17_SN_SS_EUlS16_E_NS1_11comp_targetILNS1_3genE3ELNS1_11target_archE908ELNS1_3gpuE7ELNS1_3repE0EEENS1_47radix_sort_onesweep_sort_config_static_selectorELNS0_4arch9wavefront6targetE0EEEvSN_.num_vgpr, 0
	.set _ZN7rocprim17ROCPRIM_400000_NS6detail17trampoline_kernelINS0_14default_configENS1_35radix_sort_onesweep_config_selectorIjN6thrust23THRUST_200600_302600_NS5tupleIffNS6_9null_typeES8_S8_S8_S8_S8_S8_S8_EEEEZZNS1_29radix_sort_onesweep_iterationIS3_Lb0ENS6_6detail15normal_iteratorINS6_10device_ptrIjEEEESG_NSD_INSE_IS9_EEEESI_jNS0_19identity_decomposerENS1_16block_id_wrapperIjLb1EEEEE10hipError_tT1_PNSt15iterator_traitsISN_E10value_typeET2_T3_PNSO_IST_E10value_typeET4_T5_PSY_SZ_PNS1_23onesweep_lookback_stateEbbT6_jjT7_P12ihipStream_tbENKUlT_T0_SN_SS_E_clISG_PjSI_PS9_EEDaS16_S17_SN_SS_EUlS16_E_NS1_11comp_targetILNS1_3genE3ELNS1_11target_archE908ELNS1_3gpuE7ELNS1_3repE0EEENS1_47radix_sort_onesweep_sort_config_static_selectorELNS0_4arch9wavefront6targetE0EEEvSN_.num_agpr, 0
	.set _ZN7rocprim17ROCPRIM_400000_NS6detail17trampoline_kernelINS0_14default_configENS1_35radix_sort_onesweep_config_selectorIjN6thrust23THRUST_200600_302600_NS5tupleIffNS6_9null_typeES8_S8_S8_S8_S8_S8_S8_EEEEZZNS1_29radix_sort_onesweep_iterationIS3_Lb0ENS6_6detail15normal_iteratorINS6_10device_ptrIjEEEESG_NSD_INSE_IS9_EEEESI_jNS0_19identity_decomposerENS1_16block_id_wrapperIjLb1EEEEE10hipError_tT1_PNSt15iterator_traitsISN_E10value_typeET2_T3_PNSO_IST_E10value_typeET4_T5_PSY_SZ_PNS1_23onesweep_lookback_stateEbbT6_jjT7_P12ihipStream_tbENKUlT_T0_SN_SS_E_clISG_PjSI_PS9_EEDaS16_S17_SN_SS_EUlS16_E_NS1_11comp_targetILNS1_3genE3ELNS1_11target_archE908ELNS1_3gpuE7ELNS1_3repE0EEENS1_47radix_sort_onesweep_sort_config_static_selectorELNS0_4arch9wavefront6targetE0EEEvSN_.numbered_sgpr, 0
	.set _ZN7rocprim17ROCPRIM_400000_NS6detail17trampoline_kernelINS0_14default_configENS1_35radix_sort_onesweep_config_selectorIjN6thrust23THRUST_200600_302600_NS5tupleIffNS6_9null_typeES8_S8_S8_S8_S8_S8_S8_EEEEZZNS1_29radix_sort_onesweep_iterationIS3_Lb0ENS6_6detail15normal_iteratorINS6_10device_ptrIjEEEESG_NSD_INSE_IS9_EEEESI_jNS0_19identity_decomposerENS1_16block_id_wrapperIjLb1EEEEE10hipError_tT1_PNSt15iterator_traitsISN_E10value_typeET2_T3_PNSO_IST_E10value_typeET4_T5_PSY_SZ_PNS1_23onesweep_lookback_stateEbbT6_jjT7_P12ihipStream_tbENKUlT_T0_SN_SS_E_clISG_PjSI_PS9_EEDaS16_S17_SN_SS_EUlS16_E_NS1_11comp_targetILNS1_3genE3ELNS1_11target_archE908ELNS1_3gpuE7ELNS1_3repE0EEENS1_47radix_sort_onesweep_sort_config_static_selectorELNS0_4arch9wavefront6targetE0EEEvSN_.num_named_barrier, 0
	.set _ZN7rocprim17ROCPRIM_400000_NS6detail17trampoline_kernelINS0_14default_configENS1_35radix_sort_onesweep_config_selectorIjN6thrust23THRUST_200600_302600_NS5tupleIffNS6_9null_typeES8_S8_S8_S8_S8_S8_S8_EEEEZZNS1_29radix_sort_onesweep_iterationIS3_Lb0ENS6_6detail15normal_iteratorINS6_10device_ptrIjEEEESG_NSD_INSE_IS9_EEEESI_jNS0_19identity_decomposerENS1_16block_id_wrapperIjLb1EEEEE10hipError_tT1_PNSt15iterator_traitsISN_E10value_typeET2_T3_PNSO_IST_E10value_typeET4_T5_PSY_SZ_PNS1_23onesweep_lookback_stateEbbT6_jjT7_P12ihipStream_tbENKUlT_T0_SN_SS_E_clISG_PjSI_PS9_EEDaS16_S17_SN_SS_EUlS16_E_NS1_11comp_targetILNS1_3genE3ELNS1_11target_archE908ELNS1_3gpuE7ELNS1_3repE0EEENS1_47radix_sort_onesweep_sort_config_static_selectorELNS0_4arch9wavefront6targetE0EEEvSN_.private_seg_size, 0
	.set _ZN7rocprim17ROCPRIM_400000_NS6detail17trampoline_kernelINS0_14default_configENS1_35radix_sort_onesweep_config_selectorIjN6thrust23THRUST_200600_302600_NS5tupleIffNS6_9null_typeES8_S8_S8_S8_S8_S8_S8_EEEEZZNS1_29radix_sort_onesweep_iterationIS3_Lb0ENS6_6detail15normal_iteratorINS6_10device_ptrIjEEEESG_NSD_INSE_IS9_EEEESI_jNS0_19identity_decomposerENS1_16block_id_wrapperIjLb1EEEEE10hipError_tT1_PNSt15iterator_traitsISN_E10value_typeET2_T3_PNSO_IST_E10value_typeET4_T5_PSY_SZ_PNS1_23onesweep_lookback_stateEbbT6_jjT7_P12ihipStream_tbENKUlT_T0_SN_SS_E_clISG_PjSI_PS9_EEDaS16_S17_SN_SS_EUlS16_E_NS1_11comp_targetILNS1_3genE3ELNS1_11target_archE908ELNS1_3gpuE7ELNS1_3repE0EEENS1_47radix_sort_onesweep_sort_config_static_selectorELNS0_4arch9wavefront6targetE0EEEvSN_.uses_vcc, 0
	.set _ZN7rocprim17ROCPRIM_400000_NS6detail17trampoline_kernelINS0_14default_configENS1_35radix_sort_onesweep_config_selectorIjN6thrust23THRUST_200600_302600_NS5tupleIffNS6_9null_typeES8_S8_S8_S8_S8_S8_S8_EEEEZZNS1_29radix_sort_onesweep_iterationIS3_Lb0ENS6_6detail15normal_iteratorINS6_10device_ptrIjEEEESG_NSD_INSE_IS9_EEEESI_jNS0_19identity_decomposerENS1_16block_id_wrapperIjLb1EEEEE10hipError_tT1_PNSt15iterator_traitsISN_E10value_typeET2_T3_PNSO_IST_E10value_typeET4_T5_PSY_SZ_PNS1_23onesweep_lookback_stateEbbT6_jjT7_P12ihipStream_tbENKUlT_T0_SN_SS_E_clISG_PjSI_PS9_EEDaS16_S17_SN_SS_EUlS16_E_NS1_11comp_targetILNS1_3genE3ELNS1_11target_archE908ELNS1_3gpuE7ELNS1_3repE0EEENS1_47radix_sort_onesweep_sort_config_static_selectorELNS0_4arch9wavefront6targetE0EEEvSN_.uses_flat_scratch, 0
	.set _ZN7rocprim17ROCPRIM_400000_NS6detail17trampoline_kernelINS0_14default_configENS1_35radix_sort_onesweep_config_selectorIjN6thrust23THRUST_200600_302600_NS5tupleIffNS6_9null_typeES8_S8_S8_S8_S8_S8_S8_EEEEZZNS1_29radix_sort_onesweep_iterationIS3_Lb0ENS6_6detail15normal_iteratorINS6_10device_ptrIjEEEESG_NSD_INSE_IS9_EEEESI_jNS0_19identity_decomposerENS1_16block_id_wrapperIjLb1EEEEE10hipError_tT1_PNSt15iterator_traitsISN_E10value_typeET2_T3_PNSO_IST_E10value_typeET4_T5_PSY_SZ_PNS1_23onesweep_lookback_stateEbbT6_jjT7_P12ihipStream_tbENKUlT_T0_SN_SS_E_clISG_PjSI_PS9_EEDaS16_S17_SN_SS_EUlS16_E_NS1_11comp_targetILNS1_3genE3ELNS1_11target_archE908ELNS1_3gpuE7ELNS1_3repE0EEENS1_47radix_sort_onesweep_sort_config_static_selectorELNS0_4arch9wavefront6targetE0EEEvSN_.has_dyn_sized_stack, 0
	.set _ZN7rocprim17ROCPRIM_400000_NS6detail17trampoline_kernelINS0_14default_configENS1_35radix_sort_onesweep_config_selectorIjN6thrust23THRUST_200600_302600_NS5tupleIffNS6_9null_typeES8_S8_S8_S8_S8_S8_S8_EEEEZZNS1_29radix_sort_onesweep_iterationIS3_Lb0ENS6_6detail15normal_iteratorINS6_10device_ptrIjEEEESG_NSD_INSE_IS9_EEEESI_jNS0_19identity_decomposerENS1_16block_id_wrapperIjLb1EEEEE10hipError_tT1_PNSt15iterator_traitsISN_E10value_typeET2_T3_PNSO_IST_E10value_typeET4_T5_PSY_SZ_PNS1_23onesweep_lookback_stateEbbT6_jjT7_P12ihipStream_tbENKUlT_T0_SN_SS_E_clISG_PjSI_PS9_EEDaS16_S17_SN_SS_EUlS16_E_NS1_11comp_targetILNS1_3genE3ELNS1_11target_archE908ELNS1_3gpuE7ELNS1_3repE0EEENS1_47radix_sort_onesweep_sort_config_static_selectorELNS0_4arch9wavefront6targetE0EEEvSN_.has_recursion, 0
	.set _ZN7rocprim17ROCPRIM_400000_NS6detail17trampoline_kernelINS0_14default_configENS1_35radix_sort_onesweep_config_selectorIjN6thrust23THRUST_200600_302600_NS5tupleIffNS6_9null_typeES8_S8_S8_S8_S8_S8_S8_EEEEZZNS1_29radix_sort_onesweep_iterationIS3_Lb0ENS6_6detail15normal_iteratorINS6_10device_ptrIjEEEESG_NSD_INSE_IS9_EEEESI_jNS0_19identity_decomposerENS1_16block_id_wrapperIjLb1EEEEE10hipError_tT1_PNSt15iterator_traitsISN_E10value_typeET2_T3_PNSO_IST_E10value_typeET4_T5_PSY_SZ_PNS1_23onesweep_lookback_stateEbbT6_jjT7_P12ihipStream_tbENKUlT_T0_SN_SS_E_clISG_PjSI_PS9_EEDaS16_S17_SN_SS_EUlS16_E_NS1_11comp_targetILNS1_3genE3ELNS1_11target_archE908ELNS1_3gpuE7ELNS1_3repE0EEENS1_47radix_sort_onesweep_sort_config_static_selectorELNS0_4arch9wavefront6targetE0EEEvSN_.has_indirect_call, 0
	.section	.AMDGPU.csdata,"",@progbits
; Kernel info:
; codeLenInByte = 0
; TotalNumSgprs: 0
; NumVgprs: 0
; ScratchSize: 0
; MemoryBound: 0
; FloatMode: 240
; IeeeMode: 1
; LDSByteSize: 0 bytes/workgroup (compile time only)
; SGPRBlocks: 0
; VGPRBlocks: 0
; NumSGPRsForWavesPerEU: 1
; NumVGPRsForWavesPerEU: 1
; Occupancy: 16
; WaveLimiterHint : 0
; COMPUTE_PGM_RSRC2:SCRATCH_EN: 0
; COMPUTE_PGM_RSRC2:USER_SGPR: 2
; COMPUTE_PGM_RSRC2:TRAP_HANDLER: 0
; COMPUTE_PGM_RSRC2:TGID_X_EN: 1
; COMPUTE_PGM_RSRC2:TGID_Y_EN: 0
; COMPUTE_PGM_RSRC2:TGID_Z_EN: 0
; COMPUTE_PGM_RSRC2:TIDIG_COMP_CNT: 0
	.section	.text._ZN7rocprim17ROCPRIM_400000_NS6detail17trampoline_kernelINS0_14default_configENS1_35radix_sort_onesweep_config_selectorIjN6thrust23THRUST_200600_302600_NS5tupleIffNS6_9null_typeES8_S8_S8_S8_S8_S8_S8_EEEEZZNS1_29radix_sort_onesweep_iterationIS3_Lb0ENS6_6detail15normal_iteratorINS6_10device_ptrIjEEEESG_NSD_INSE_IS9_EEEESI_jNS0_19identity_decomposerENS1_16block_id_wrapperIjLb1EEEEE10hipError_tT1_PNSt15iterator_traitsISN_E10value_typeET2_T3_PNSO_IST_E10value_typeET4_T5_PSY_SZ_PNS1_23onesweep_lookback_stateEbbT6_jjT7_P12ihipStream_tbENKUlT_T0_SN_SS_E_clISG_PjSI_PS9_EEDaS16_S17_SN_SS_EUlS16_E_NS1_11comp_targetILNS1_3genE10ELNS1_11target_archE1201ELNS1_3gpuE5ELNS1_3repE0EEENS1_47radix_sort_onesweep_sort_config_static_selectorELNS0_4arch9wavefront6targetE0EEEvSN_,"axG",@progbits,_ZN7rocprim17ROCPRIM_400000_NS6detail17trampoline_kernelINS0_14default_configENS1_35radix_sort_onesweep_config_selectorIjN6thrust23THRUST_200600_302600_NS5tupleIffNS6_9null_typeES8_S8_S8_S8_S8_S8_S8_EEEEZZNS1_29radix_sort_onesweep_iterationIS3_Lb0ENS6_6detail15normal_iteratorINS6_10device_ptrIjEEEESG_NSD_INSE_IS9_EEEESI_jNS0_19identity_decomposerENS1_16block_id_wrapperIjLb1EEEEE10hipError_tT1_PNSt15iterator_traitsISN_E10value_typeET2_T3_PNSO_IST_E10value_typeET4_T5_PSY_SZ_PNS1_23onesweep_lookback_stateEbbT6_jjT7_P12ihipStream_tbENKUlT_T0_SN_SS_E_clISG_PjSI_PS9_EEDaS16_S17_SN_SS_EUlS16_E_NS1_11comp_targetILNS1_3genE10ELNS1_11target_archE1201ELNS1_3gpuE5ELNS1_3repE0EEENS1_47radix_sort_onesweep_sort_config_static_selectorELNS0_4arch9wavefront6targetE0EEEvSN_,comdat
	.protected	_ZN7rocprim17ROCPRIM_400000_NS6detail17trampoline_kernelINS0_14default_configENS1_35radix_sort_onesweep_config_selectorIjN6thrust23THRUST_200600_302600_NS5tupleIffNS6_9null_typeES8_S8_S8_S8_S8_S8_S8_EEEEZZNS1_29radix_sort_onesweep_iterationIS3_Lb0ENS6_6detail15normal_iteratorINS6_10device_ptrIjEEEESG_NSD_INSE_IS9_EEEESI_jNS0_19identity_decomposerENS1_16block_id_wrapperIjLb1EEEEE10hipError_tT1_PNSt15iterator_traitsISN_E10value_typeET2_T3_PNSO_IST_E10value_typeET4_T5_PSY_SZ_PNS1_23onesweep_lookback_stateEbbT6_jjT7_P12ihipStream_tbENKUlT_T0_SN_SS_E_clISG_PjSI_PS9_EEDaS16_S17_SN_SS_EUlS16_E_NS1_11comp_targetILNS1_3genE10ELNS1_11target_archE1201ELNS1_3gpuE5ELNS1_3repE0EEENS1_47radix_sort_onesweep_sort_config_static_selectorELNS0_4arch9wavefront6targetE0EEEvSN_ ; -- Begin function _ZN7rocprim17ROCPRIM_400000_NS6detail17trampoline_kernelINS0_14default_configENS1_35radix_sort_onesweep_config_selectorIjN6thrust23THRUST_200600_302600_NS5tupleIffNS6_9null_typeES8_S8_S8_S8_S8_S8_S8_EEEEZZNS1_29radix_sort_onesweep_iterationIS3_Lb0ENS6_6detail15normal_iteratorINS6_10device_ptrIjEEEESG_NSD_INSE_IS9_EEEESI_jNS0_19identity_decomposerENS1_16block_id_wrapperIjLb1EEEEE10hipError_tT1_PNSt15iterator_traitsISN_E10value_typeET2_T3_PNSO_IST_E10value_typeET4_T5_PSY_SZ_PNS1_23onesweep_lookback_stateEbbT6_jjT7_P12ihipStream_tbENKUlT_T0_SN_SS_E_clISG_PjSI_PS9_EEDaS16_S17_SN_SS_EUlS16_E_NS1_11comp_targetILNS1_3genE10ELNS1_11target_archE1201ELNS1_3gpuE5ELNS1_3repE0EEENS1_47radix_sort_onesweep_sort_config_static_selectorELNS0_4arch9wavefront6targetE0EEEvSN_
	.globl	_ZN7rocprim17ROCPRIM_400000_NS6detail17trampoline_kernelINS0_14default_configENS1_35radix_sort_onesweep_config_selectorIjN6thrust23THRUST_200600_302600_NS5tupleIffNS6_9null_typeES8_S8_S8_S8_S8_S8_S8_EEEEZZNS1_29radix_sort_onesweep_iterationIS3_Lb0ENS6_6detail15normal_iteratorINS6_10device_ptrIjEEEESG_NSD_INSE_IS9_EEEESI_jNS0_19identity_decomposerENS1_16block_id_wrapperIjLb1EEEEE10hipError_tT1_PNSt15iterator_traitsISN_E10value_typeET2_T3_PNSO_IST_E10value_typeET4_T5_PSY_SZ_PNS1_23onesweep_lookback_stateEbbT6_jjT7_P12ihipStream_tbENKUlT_T0_SN_SS_E_clISG_PjSI_PS9_EEDaS16_S17_SN_SS_EUlS16_E_NS1_11comp_targetILNS1_3genE10ELNS1_11target_archE1201ELNS1_3gpuE5ELNS1_3repE0EEENS1_47radix_sort_onesweep_sort_config_static_selectorELNS0_4arch9wavefront6targetE0EEEvSN_
	.p2align	8
	.type	_ZN7rocprim17ROCPRIM_400000_NS6detail17trampoline_kernelINS0_14default_configENS1_35radix_sort_onesweep_config_selectorIjN6thrust23THRUST_200600_302600_NS5tupleIffNS6_9null_typeES8_S8_S8_S8_S8_S8_S8_EEEEZZNS1_29radix_sort_onesweep_iterationIS3_Lb0ENS6_6detail15normal_iteratorINS6_10device_ptrIjEEEESG_NSD_INSE_IS9_EEEESI_jNS0_19identity_decomposerENS1_16block_id_wrapperIjLb1EEEEE10hipError_tT1_PNSt15iterator_traitsISN_E10value_typeET2_T3_PNSO_IST_E10value_typeET4_T5_PSY_SZ_PNS1_23onesweep_lookback_stateEbbT6_jjT7_P12ihipStream_tbENKUlT_T0_SN_SS_E_clISG_PjSI_PS9_EEDaS16_S17_SN_SS_EUlS16_E_NS1_11comp_targetILNS1_3genE10ELNS1_11target_archE1201ELNS1_3gpuE5ELNS1_3repE0EEENS1_47radix_sort_onesweep_sort_config_static_selectorELNS0_4arch9wavefront6targetE0EEEvSN_,@function
_ZN7rocprim17ROCPRIM_400000_NS6detail17trampoline_kernelINS0_14default_configENS1_35radix_sort_onesweep_config_selectorIjN6thrust23THRUST_200600_302600_NS5tupleIffNS6_9null_typeES8_S8_S8_S8_S8_S8_S8_EEEEZZNS1_29radix_sort_onesweep_iterationIS3_Lb0ENS6_6detail15normal_iteratorINS6_10device_ptrIjEEEESG_NSD_INSE_IS9_EEEESI_jNS0_19identity_decomposerENS1_16block_id_wrapperIjLb1EEEEE10hipError_tT1_PNSt15iterator_traitsISN_E10value_typeET2_T3_PNSO_IST_E10value_typeET4_T5_PSY_SZ_PNS1_23onesweep_lookback_stateEbbT6_jjT7_P12ihipStream_tbENKUlT_T0_SN_SS_E_clISG_PjSI_PS9_EEDaS16_S17_SN_SS_EUlS16_E_NS1_11comp_targetILNS1_3genE10ELNS1_11target_archE1201ELNS1_3gpuE5ELNS1_3repE0EEENS1_47radix_sort_onesweep_sort_config_static_selectorELNS0_4arch9wavefront6targetE0EEEvSN_: ; @_ZN7rocprim17ROCPRIM_400000_NS6detail17trampoline_kernelINS0_14default_configENS1_35radix_sort_onesweep_config_selectorIjN6thrust23THRUST_200600_302600_NS5tupleIffNS6_9null_typeES8_S8_S8_S8_S8_S8_S8_EEEEZZNS1_29radix_sort_onesweep_iterationIS3_Lb0ENS6_6detail15normal_iteratorINS6_10device_ptrIjEEEESG_NSD_INSE_IS9_EEEESI_jNS0_19identity_decomposerENS1_16block_id_wrapperIjLb1EEEEE10hipError_tT1_PNSt15iterator_traitsISN_E10value_typeET2_T3_PNSO_IST_E10value_typeET4_T5_PSY_SZ_PNS1_23onesweep_lookback_stateEbbT6_jjT7_P12ihipStream_tbENKUlT_T0_SN_SS_E_clISG_PjSI_PS9_EEDaS16_S17_SN_SS_EUlS16_E_NS1_11comp_targetILNS1_3genE10ELNS1_11target_archE1201ELNS1_3gpuE5ELNS1_3repE0EEENS1_47radix_sort_onesweep_sort_config_static_selectorELNS0_4arch9wavefront6targetE0EEEvSN_
; %bb.0:
	s_clause 0x1
	s_load_b128 s[28:31], s[0:1], 0x28
	s_load_b64 s[26:27], s[0:1], 0x38
	v_and_b32_e32 v1, 0x3ff, v0
	s_delay_alu instid0(VALU_DEP_1)
	v_cmp_eq_u32_e64 s2, 0, v1
	s_and_saveexec_b32 s3, s2
	s_cbranch_execz .LBB190_4
; %bb.1:
	s_mov_b32 s5, exec_lo
	s_mov_b32 s4, exec_lo
	v_mbcnt_lo_u32_b32 v2, s5, 0
                                        ; implicit-def: $vgpr3
	s_delay_alu instid0(VALU_DEP_1)
	v_cmpx_eq_u32_e32 0, v2
	s_cbranch_execz .LBB190_3
; %bb.2:
	s_load_b64 s[6:7], s[0:1], 0x50
	s_bcnt1_i32_b32 s5, s5
	s_wait_alu 0xfffe
	v_dual_mov_b32 v3, 0 :: v_dual_mov_b32 v4, s5
	s_wait_kmcnt 0x0
	global_atomic_add_u32 v3, v3, v4, s[6:7] th:TH_ATOMIC_RETURN scope:SCOPE_DEV
.LBB190_3:
	s_or_b32 exec_lo, exec_lo, s4
	s_wait_loadcnt 0x0
	v_readfirstlane_b32 s4, v3
	s_wait_alu 0xf1ff
	s_delay_alu instid0(VALU_DEP_1)
	v_dual_mov_b32 v3, 0 :: v_dual_add_nc_u32 v2, s4, v2
	ds_store_b32 v3, v2 offset:36992
.LBB190_4:
	s_or_b32 exec_lo, exec_lo, s3
	v_dual_mov_b32 v2, 0 :: v_dual_lshlrev_b32 v37, 4, v1
	s_clause 0x2
	s_load_b256 s[36:43], s[0:1], 0x0
	s_load_b32 s3, s[0:1], 0x20
	s_load_b96 s[44:46], s[0:1], 0x44
	s_wait_dscnt 0x0
	s_barrier_signal -1
	s_barrier_wait -1
	global_inv scope:SCOPE_SE
	ds_load_b32 v2, v2 offset:36992
	v_mbcnt_lo_u32_b32 v36, -1, 0
	s_mov_b32 s4, -1
	s_add_nc_u64 s[34:35], s[0:1], 0x58
	s_wait_loadcnt_dscnt 0x0
	s_barrier_signal -1
	s_barrier_wait -1
	global_inv scope:SCOPE_SE
	s_wait_kmcnt 0x0
	v_cmp_le_u32_e32 vcc_lo, s46, v2
	v_readfirstlane_b32 s25, v2
	s_cbranch_vccz .LBB190_152
; %bb.5:
	s_lshl_b32 s4, s46, 14
	s_lshl_b32 s46, s25, 14
	s_mov_b32 s47, 0
	v_dual_mov_b32 v11, -1 :: v_dual_and_b32 v10, 0x3e00, v37
	v_lshlrev_b32_e32 v2, 2, v36
	s_wait_alu 0xfffe
	s_sub_co_i32 s33, s3, s4
	s_lshl_b64 s[4:5], s[46:47], 2
	v_dual_mov_b32 v12, -1 :: v_dual_lshlrev_b32 v3, 2, v10
	s_wait_alu 0xfffe
	s_add_nc_u64 s[4:5], s[36:37], s[4:5]
	v_or_b32_e32 v4, v36, v10
	s_wait_alu 0xfffe
	v_add_co_u32 v2, s3, s4, v2
	s_delay_alu instid0(VALU_DEP_1) | instskip(NEXT) | instid1(VALU_DEP_3)
	v_add_co_ci_u32_e64 v5, null, s5, 0, s3
	v_cmp_gt_u32_e64 s18, s33, v4
	s_delay_alu instid0(VALU_DEP_3) | instskip(NEXT) | instid1(VALU_DEP_1)
	v_add_co_u32 v2, vcc_lo, v2, v3
	v_add_co_ci_u32_e64 v3, null, 0, v5, vcc_lo
	s_and_saveexec_b32 s3, s18
	s_cbranch_execz .LBB190_7
; %bb.6:
	global_load_b32 v12, v[2:3], off
.LBB190_7:
	s_wait_alu 0xfffe
	s_or_b32 exec_lo, exec_lo, s3
	v_or_b32_e32 v5, 32, v4
	s_delay_alu instid0(VALU_DEP_1)
	v_cmp_gt_u32_e64 s17, s33, v5
	s_and_saveexec_b32 s3, s17
	s_cbranch_execz .LBB190_9
; %bb.8:
	global_load_b32 v11, v[2:3], off offset:128
.LBB190_9:
	s_wait_alu 0xfffe
	s_or_b32 exec_lo, exec_lo, s3
	v_or_b32_e32 v5, 64, v4
	v_dual_mov_b32 v13, -1 :: v_dual_mov_b32 v14, -1
	s_delay_alu instid0(VALU_DEP_2)
	v_cmp_gt_u32_e64 s16, s33, v5
	s_and_saveexec_b32 s3, s16
	s_cbranch_execz .LBB190_11
; %bb.10:
	global_load_b32 v14, v[2:3], off offset:256
.LBB190_11:
	s_wait_alu 0xfffe
	s_or_b32 exec_lo, exec_lo, s3
	v_or_b32_e32 v5, 0x60, v4
	s_delay_alu instid0(VALU_DEP_1)
	v_cmp_gt_u32_e64 s15, s33, v5
	s_and_saveexec_b32 s3, s15
	s_cbranch_execz .LBB190_13
; %bb.12:
	global_load_b32 v13, v[2:3], off offset:384
.LBB190_13:
	s_wait_alu 0xfffe
	s_or_b32 exec_lo, exec_lo, s3
	v_or_b32_e32 v5, 0x80, v4
	v_dual_mov_b32 v15, -1 :: v_dual_mov_b32 v16, -1
	s_delay_alu instid0(VALU_DEP_2)
	v_cmp_gt_u32_e64 s14, s33, v5
	s_and_saveexec_b32 s3, s14
	s_cbranch_execz .LBB190_15
; %bb.14:
	global_load_b32 v16, v[2:3], off offset:512
.LBB190_15:
	;; [unrolled: 21-line block ×7, first 2 shown]
	s_wait_alu 0xfffe
	s_or_b32 exec_lo, exec_lo, s3
	v_or_b32_e32 v4, 0x1e0, v4
	s_delay_alu instid0(VALU_DEP_1)
	v_cmp_gt_u32_e64 s3, s33, v4
	s_and_saveexec_b32 s19, s3
	s_cbranch_execz .LBB190_37
; %bb.36:
	global_load_b32 v25, v[2:3], off offset:1920
.LBB190_37:
	s_or_b32 exec_lo, exec_lo, s19
	s_clause 0x1
	s_load_b32 s48, s[0:1], 0x58
	s_load_u16 s22, s[0:1], 0x66
	s_wait_loadcnt 0x0
	v_lshrrev_b32_e32 v2, s44, v12
	s_mov_b32 s21, 0
	v_mul_u32_u24_e32 v30, 36, v1
	s_wait_kmcnt 0x0
	s_cmp_lt_u32 ttmp9, s48
	s_cselect_b32 s20, 12, 18
	s_lshl_b32 s19, -1, s45
	s_add_nc_u64 s[20:21], s[34:35], s[20:21]
	s_not_b32 s49, s19
	s_load_u16 s20, s[20:21], 0x0
	v_and_b32_e32 v4, s49, v2
	v_bfe_u32 v2, v0, 10, 10
	s_delay_alu instid0(VALU_DEP_2)
	v_and_b32_e32 v3, 1, v4
	v_lshlrev_b32_e32 v5, 30, v4
	v_lshlrev_b32_e32 v6, 29, v4
	v_lshlrev_b32_e32 v7, 28, v4
	v_lshlrev_b32_e32 v9, 27, v4
	v_add_co_u32 v3, s19, v3, -1
	s_delay_alu instid0(VALU_DEP_1) | instskip(SKIP_3) | instid1(VALU_DEP_4)
	v_cndmask_b32_e64 v8, 0, 1, s19
	v_not_b32_e32 v29, v5
	v_cmp_gt_i32_e64 s19, 0, v5
	v_not_b32_e32 v5, v6
	v_cmp_ne_u32_e32 vcc_lo, 0, v8
	s_delay_alu instid0(VALU_DEP_4) | instskip(NEXT) | instid1(VALU_DEP_3)
	v_ashrrev_i32_e32 v29, 31, v29
	v_ashrrev_i32_e32 v5, 31, v5
	s_wait_alu 0xfffd
	v_xor_b32_e32 v3, vcc_lo, v3
	v_cmp_gt_i32_e32 vcc_lo, 0, v6
	v_not_b32_e32 v6, v7
	s_wait_alu 0xf1ff
	v_xor_b32_e32 v29, s19, v29
	v_cmp_gt_i32_e64 s19, 0, v7
	v_and_b32_e32 v3, exec_lo, v3
	v_not_b32_e32 v7, v9
	v_ashrrev_i32_e32 v6, 31, v6
	s_wait_alu 0xfffd
	v_xor_b32_e32 v5, vcc_lo, v5
	v_cmp_gt_i32_e32 vcc_lo, 0, v9
	v_and_b32_e32 v3, v3, v29
	v_ashrrev_i32_e32 v7, 31, v7
	s_wait_alu 0xf1ff
	v_xor_b32_e32 v6, s19, v6
	s_delay_alu instid0(VALU_DEP_3) | instskip(SKIP_2) | instid1(VALU_DEP_2)
	v_and_b32_e32 v3, v3, v5
	s_wait_alu 0xfffd
	v_xor_b32_e32 v7, vcc_lo, v7
	v_and_b32_e32 v3, v3, v6
	s_delay_alu instid0(VALU_DEP_1) | instskip(SKIP_1) | instid1(VALU_DEP_1)
	v_and_b32_e32 v3, v3, v7
	v_bfe_u32 v7, v0, 20, 10
	v_mad_u32_u24 v2, v7, s22, v2
	v_mov_b32_e32 v7, 0
	v_lshlrev_b32_e32 v27, 26, v4
	v_lshlrev_b32_e32 v28, 25, v4
	;; [unrolled: 1-line block ×3, first 2 shown]
	v_mul_lo_u32 v4, 0x84, v4
	ds_store_2addr_b32 v30, v7, v7 offset0:32 offset1:33
	ds_store_2addr_b32 v30, v7, v7 offset0:34 offset1:35
	;; [unrolled: 1-line block ×4, first 2 shown]
	v_not_b32_e32 v9, v27
	v_cmp_gt_i32_e64 s19, 0, v27
	v_not_b32_e32 v5, v28
	v_cmp_gt_i32_e32 vcc_lo, 0, v28
	v_not_b32_e32 v6, v8
	v_ashrrev_i32_e32 v9, 31, v9
	ds_store_b32 v30, v7 offset:160
	v_ashrrev_i32_e32 v5, 31, v5
	s_wait_dscnt 0x0
	v_ashrrev_i32_e32 v6, 31, v6
	s_wait_alu 0xf1ff
	v_xor_b32_e32 v9, s19, v9
	v_cmp_gt_i32_e64 s19, 0, v8
	s_wait_alu 0xfffd
	v_xor_b32_e32 v5, vcc_lo, v5
	s_barrier_signal -1
	s_barrier_wait -1
	v_and_b32_e32 v3, v3, v9
	s_wait_alu 0xf1ff
	v_xor_b32_e32 v6, s19, v6
	global_inv scope:SCOPE_SE
	; wave barrier
	v_and_b32_e32 v5, v3, v5
	s_wait_kmcnt 0x0
	v_mad_co_u64_u32 v[2:3], null, v2, s20, v[1:2]
	s_delay_alu instid0(VALU_DEP_2) | instskip(NEXT) | instid1(VALU_DEP_2)
	v_and_b32_e32 v3, v5, v6
	v_lshrrev_b32_e32 v2, 3, v2
	s_delay_alu instid0(VALU_DEP_2) | instskip(SKIP_1) | instid1(VALU_DEP_3)
	v_mbcnt_lo_u32_b32 v27, v3, 0
	v_cmp_ne_u32_e64 s19, 0, v3
	v_and_b32_e32 v2, 0x1ffffffc, v2
	s_delay_alu instid0(VALU_DEP_3) | instskip(NEXT) | instid1(VALU_DEP_2)
	v_cmp_eq_u32_e32 vcc_lo, 0, v27
	v_add_nc_u32_e32 v31, v2, v4
	s_and_b32 s20, s19, vcc_lo
	s_wait_alu 0xfffe
	s_and_saveexec_b32 s19, s20
; %bb.38:
	v_bcnt_u32_b32 v3, v3, 0
	ds_store_b32 v31, v3 offset:128
; %bb.39:
	s_wait_alu 0xfffe
	s_or_b32 exec_lo, exec_lo, s19
	v_lshrrev_b32_e32 v3, s44, v11
	; wave barrier
	s_delay_alu instid0(VALU_DEP_1) | instskip(NEXT) | instid1(VALU_DEP_1)
	v_and_b32_e32 v3, s49, v3
	v_and_b32_e32 v5, 1, v3
	v_lshlrev_b32_e32 v6, 30, v3
	v_lshlrev_b32_e32 v7, 29, v3
	v_lshlrev_b32_e32 v8, 28, v3
	v_lshlrev_b32_e32 v28, 27, v3
	v_add_co_u32 v5, s19, v5, -1
	s_wait_alu 0xf1ff
	v_cndmask_b32_e64 v9, 0, 1, s19
	v_not_b32_e32 v33, v6
	v_cmp_gt_i32_e64 s19, 0, v6
	v_not_b32_e32 v6, v7
	v_lshlrev_b32_e32 v29, 26, v3
	v_cmp_ne_u32_e32 vcc_lo, 0, v9
	v_ashrrev_i32_e32 v9, 31, v33
	v_lshlrev_b32_e32 v32, 25, v3
	v_ashrrev_i32_e32 v6, 31, v6
	v_mul_lo_u32 v4, 0x84, v3
	s_wait_alu 0xfffd
	v_xor_b32_e32 v5, vcc_lo, v5
	v_cmp_gt_i32_e32 vcc_lo, 0, v7
	v_not_b32_e32 v7, v8
	s_wait_alu 0xf1ff
	v_xor_b32_e32 v9, s19, v9
	v_cmp_gt_i32_e64 s19, 0, v8
	v_and_b32_e32 v5, exec_lo, v5
	v_not_b32_e32 v8, v28
	v_ashrrev_i32_e32 v7, 31, v7
	s_wait_alu 0xfffd
	v_xor_b32_e32 v6, vcc_lo, v6
	v_cmp_gt_i32_e32 vcc_lo, 0, v28
	v_and_b32_e32 v5, v5, v9
	v_not_b32_e32 v9, v29
	v_ashrrev_i32_e32 v8, 31, v8
	s_wait_alu 0xf1ff
	v_xor_b32_e32 v7, s19, v7
	v_lshlrev_b32_e32 v3, 24, v3
	v_and_b32_e32 v5, v5, v6
	v_cmp_gt_i32_e64 s19, 0, v29
	v_not_b32_e32 v6, v32
	v_ashrrev_i32_e32 v9, 31, v9
	s_wait_alu 0xfffd
	v_xor_b32_e32 v8, vcc_lo, v8
	v_and_b32_e32 v5, v5, v7
	v_cmp_gt_i32_e32 vcc_lo, 0, v32
	v_not_b32_e32 v7, v3
	v_ashrrev_i32_e32 v6, 31, v6
	s_wait_alu 0xf1ff
	v_xor_b32_e32 v9, s19, v9
	v_and_b32_e32 v5, v5, v8
	v_cmp_gt_i32_e64 s19, 0, v3
	v_ashrrev_i32_e32 v3, 31, v7
	s_wait_alu 0xfffd
	v_xor_b32_e32 v6, vcc_lo, v6
	v_add_nc_u32_e32 v34, v2, v4
	v_and_b32_e32 v5, v5, v9
	s_wait_alu 0xf1ff
	v_xor_b32_e32 v3, s19, v3
	ds_load_b32 v28, v34 offset:128
	v_and_b32_e32 v4, v5, v6
	; wave barrier
	s_delay_alu instid0(VALU_DEP_1) | instskip(NEXT) | instid1(VALU_DEP_1)
	v_and_b32_e32 v3, v4, v3
	v_mbcnt_lo_u32_b32 v29, v3, 0
	v_cmp_ne_u32_e64 s19, 0, v3
	s_delay_alu instid0(VALU_DEP_2)
	v_cmp_eq_u32_e32 vcc_lo, 0, v29
	s_and_b32 s20, s19, vcc_lo
	s_wait_alu 0xfffe
	s_and_saveexec_b32 s19, s20
	s_cbranch_execz .LBB190_41
; %bb.40:
	s_wait_dscnt 0x0
	v_bcnt_u32_b32 v3, v3, v28
	ds_store_b32 v34, v3 offset:128
.LBB190_41:
	s_wait_alu 0xfffe
	s_or_b32 exec_lo, exec_lo, s19
	v_lshrrev_b32_e32 v3, s44, v14
	; wave barrier
	s_delay_alu instid0(VALU_DEP_1) | instskip(NEXT) | instid1(VALU_DEP_1)
	v_and_b32_e32 v3, s49, v3
	v_and_b32_e32 v5, 1, v3
	v_lshlrev_b32_e32 v6, 30, v3
	v_lshlrev_b32_e32 v7, 29, v3
	;; [unrolled: 1-line block ×4, first 2 shown]
	v_add_co_u32 v5, s19, v5, -1
	s_wait_alu 0xf1ff
	v_cndmask_b32_e64 v9, 0, 1, s19
	v_not_b32_e32 v38, v6
	v_cmp_gt_i32_e64 s19, 0, v6
	v_not_b32_e32 v6, v7
	v_lshlrev_b32_e32 v33, 26, v3
	v_cmp_ne_u32_e32 vcc_lo, 0, v9
	v_ashrrev_i32_e32 v9, 31, v38
	v_lshlrev_b32_e32 v35, 25, v3
	v_ashrrev_i32_e32 v6, 31, v6
	v_mul_lo_u32 v4, 0x84, v3
	s_wait_alu 0xfffd
	v_xor_b32_e32 v5, vcc_lo, v5
	v_cmp_gt_i32_e32 vcc_lo, 0, v7
	v_not_b32_e32 v7, v8
	s_wait_alu 0xf1ff
	v_xor_b32_e32 v9, s19, v9
	v_cmp_gt_i32_e64 s19, 0, v8
	v_and_b32_e32 v5, exec_lo, v5
	v_not_b32_e32 v8, v32
	v_ashrrev_i32_e32 v7, 31, v7
	s_wait_alu 0xfffd
	v_xor_b32_e32 v6, vcc_lo, v6
	v_cmp_gt_i32_e32 vcc_lo, 0, v32
	v_and_b32_e32 v5, v5, v9
	v_not_b32_e32 v9, v33
	v_ashrrev_i32_e32 v8, 31, v8
	s_wait_alu 0xf1ff
	v_xor_b32_e32 v7, s19, v7
	v_lshlrev_b32_e32 v3, 24, v3
	v_and_b32_e32 v5, v5, v6
	v_cmp_gt_i32_e64 s19, 0, v33
	v_not_b32_e32 v6, v35
	v_ashrrev_i32_e32 v9, 31, v9
	s_wait_alu 0xfffd
	v_xor_b32_e32 v8, vcc_lo, v8
	v_and_b32_e32 v5, v5, v7
	v_cmp_gt_i32_e32 vcc_lo, 0, v35
	v_not_b32_e32 v7, v3
	v_ashrrev_i32_e32 v6, 31, v6
	s_wait_alu 0xf1ff
	v_xor_b32_e32 v9, s19, v9
	v_and_b32_e32 v5, v5, v8
	v_cmp_gt_i32_e64 s19, 0, v3
	v_ashrrev_i32_e32 v3, 31, v7
	s_wait_alu 0xfffd
	v_xor_b32_e32 v6, vcc_lo, v6
	v_add_nc_u32_e32 v39, v2, v4
	v_and_b32_e32 v5, v5, v9
	s_wait_alu 0xf1ff
	v_xor_b32_e32 v3, s19, v3
	ds_load_b32 v32, v39 offset:128
	v_and_b32_e32 v4, v5, v6
	; wave barrier
	s_delay_alu instid0(VALU_DEP_1) | instskip(NEXT) | instid1(VALU_DEP_1)
	v_and_b32_e32 v3, v4, v3
	v_mbcnt_lo_u32_b32 v33, v3, 0
	v_cmp_ne_u32_e64 s19, 0, v3
	s_delay_alu instid0(VALU_DEP_2)
	v_cmp_eq_u32_e32 vcc_lo, 0, v33
	s_and_b32 s20, s19, vcc_lo
	s_wait_alu 0xfffe
	s_and_saveexec_b32 s19, s20
	s_cbranch_execz .LBB190_43
; %bb.42:
	s_wait_dscnt 0x0
	v_bcnt_u32_b32 v3, v3, v32
	ds_store_b32 v39, v3 offset:128
.LBB190_43:
	s_wait_alu 0xfffe
	s_or_b32 exec_lo, exec_lo, s19
	v_lshrrev_b32_e32 v3, s44, v13
	; wave barrier
	s_delay_alu instid0(VALU_DEP_1) | instskip(NEXT) | instid1(VALU_DEP_1)
	v_and_b32_e32 v3, s49, v3
	v_and_b32_e32 v5, 1, v3
	v_lshlrev_b32_e32 v6, 30, v3
	v_lshlrev_b32_e32 v7, 29, v3
	;; [unrolled: 1-line block ×4, first 2 shown]
	v_add_co_u32 v5, s19, v5, -1
	s_wait_alu 0xf1ff
	v_cndmask_b32_e64 v9, 0, 1, s19
	v_not_b32_e32 v41, v6
	v_cmp_gt_i32_e64 s19, 0, v6
	v_not_b32_e32 v6, v7
	v_lshlrev_b32_e32 v38, 26, v3
	v_cmp_ne_u32_e32 vcc_lo, 0, v9
	v_ashrrev_i32_e32 v9, 31, v41
	v_lshlrev_b32_e32 v40, 25, v3
	v_ashrrev_i32_e32 v6, 31, v6
	v_mul_lo_u32 v4, 0x84, v3
	s_wait_alu 0xfffd
	v_xor_b32_e32 v5, vcc_lo, v5
	v_cmp_gt_i32_e32 vcc_lo, 0, v7
	v_not_b32_e32 v7, v8
	s_wait_alu 0xf1ff
	v_xor_b32_e32 v9, s19, v9
	v_cmp_gt_i32_e64 s19, 0, v8
	v_and_b32_e32 v5, exec_lo, v5
	v_not_b32_e32 v8, v35
	v_ashrrev_i32_e32 v7, 31, v7
	s_wait_alu 0xfffd
	v_xor_b32_e32 v6, vcc_lo, v6
	v_cmp_gt_i32_e32 vcc_lo, 0, v35
	v_and_b32_e32 v5, v5, v9
	v_not_b32_e32 v9, v38
	v_ashrrev_i32_e32 v8, 31, v8
	s_wait_alu 0xf1ff
	v_xor_b32_e32 v7, s19, v7
	v_lshlrev_b32_e32 v3, 24, v3
	v_and_b32_e32 v5, v5, v6
	v_cmp_gt_i32_e64 s19, 0, v38
	v_not_b32_e32 v6, v40
	v_ashrrev_i32_e32 v9, 31, v9
	s_wait_alu 0xfffd
	v_xor_b32_e32 v8, vcc_lo, v8
	v_and_b32_e32 v5, v5, v7
	v_cmp_gt_i32_e32 vcc_lo, 0, v40
	v_not_b32_e32 v7, v3
	v_ashrrev_i32_e32 v6, 31, v6
	s_wait_alu 0xf1ff
	v_xor_b32_e32 v9, s19, v9
	v_and_b32_e32 v5, v5, v8
	v_cmp_gt_i32_e64 s19, 0, v3
	v_ashrrev_i32_e32 v3, 31, v7
	s_wait_alu 0xfffd
	v_xor_b32_e32 v6, vcc_lo, v6
	v_add_nc_u32_e32 v42, v2, v4
	v_and_b32_e32 v5, v5, v9
	s_wait_alu 0xf1ff
	v_xor_b32_e32 v3, s19, v3
	ds_load_b32 v35, v42 offset:128
	v_and_b32_e32 v4, v5, v6
	; wave barrier
	s_delay_alu instid0(VALU_DEP_1) | instskip(NEXT) | instid1(VALU_DEP_1)
	v_and_b32_e32 v3, v4, v3
	v_mbcnt_lo_u32_b32 v38, v3, 0
	v_cmp_ne_u32_e64 s19, 0, v3
	s_delay_alu instid0(VALU_DEP_2)
	v_cmp_eq_u32_e32 vcc_lo, 0, v38
	s_and_b32 s20, s19, vcc_lo
	s_wait_alu 0xfffe
	s_and_saveexec_b32 s19, s20
	s_cbranch_execz .LBB190_45
; %bb.44:
	s_wait_dscnt 0x0
	v_bcnt_u32_b32 v3, v3, v35
	ds_store_b32 v42, v3 offset:128
.LBB190_45:
	s_wait_alu 0xfffe
	s_or_b32 exec_lo, exec_lo, s19
	v_lshrrev_b32_e32 v3, s44, v16
	; wave barrier
	s_delay_alu instid0(VALU_DEP_1) | instskip(NEXT) | instid1(VALU_DEP_1)
	v_and_b32_e32 v3, s49, v3
	v_and_b32_e32 v5, 1, v3
	v_lshlrev_b32_e32 v6, 30, v3
	v_lshlrev_b32_e32 v7, 29, v3
	;; [unrolled: 1-line block ×4, first 2 shown]
	v_add_co_u32 v5, s19, v5, -1
	s_wait_alu 0xf1ff
	v_cndmask_b32_e64 v9, 0, 1, s19
	v_not_b32_e32 v44, v6
	v_cmp_gt_i32_e64 s19, 0, v6
	v_not_b32_e32 v6, v7
	v_lshlrev_b32_e32 v41, 26, v3
	v_cmp_ne_u32_e32 vcc_lo, 0, v9
	v_ashrrev_i32_e32 v9, 31, v44
	v_lshlrev_b32_e32 v43, 25, v3
	v_ashrrev_i32_e32 v6, 31, v6
	v_mul_lo_u32 v4, 0x84, v3
	s_wait_alu 0xfffd
	v_xor_b32_e32 v5, vcc_lo, v5
	v_cmp_gt_i32_e32 vcc_lo, 0, v7
	v_not_b32_e32 v7, v8
	s_wait_alu 0xf1ff
	v_xor_b32_e32 v9, s19, v9
	v_cmp_gt_i32_e64 s19, 0, v8
	v_and_b32_e32 v5, exec_lo, v5
	v_not_b32_e32 v8, v40
	v_ashrrev_i32_e32 v7, 31, v7
	s_wait_alu 0xfffd
	v_xor_b32_e32 v6, vcc_lo, v6
	v_cmp_gt_i32_e32 vcc_lo, 0, v40
	v_and_b32_e32 v5, v5, v9
	v_not_b32_e32 v9, v41
	v_ashrrev_i32_e32 v8, 31, v8
	s_wait_alu 0xf1ff
	v_xor_b32_e32 v7, s19, v7
	v_lshlrev_b32_e32 v3, 24, v3
	v_and_b32_e32 v5, v5, v6
	v_cmp_gt_i32_e64 s19, 0, v41
	v_not_b32_e32 v6, v43
	v_ashrrev_i32_e32 v9, 31, v9
	s_wait_alu 0xfffd
	v_xor_b32_e32 v8, vcc_lo, v8
	v_and_b32_e32 v5, v5, v7
	v_cmp_gt_i32_e32 vcc_lo, 0, v43
	v_not_b32_e32 v7, v3
	v_ashrrev_i32_e32 v6, 31, v6
	s_wait_alu 0xf1ff
	v_xor_b32_e32 v9, s19, v9
	v_and_b32_e32 v5, v5, v8
	v_cmp_gt_i32_e64 s19, 0, v3
	v_ashrrev_i32_e32 v3, 31, v7
	s_wait_alu 0xfffd
	v_xor_b32_e32 v6, vcc_lo, v6
	v_add_nc_u32_e32 v45, v2, v4
	v_and_b32_e32 v5, v5, v9
	s_wait_alu 0xf1ff
	v_xor_b32_e32 v3, s19, v3
	ds_load_b32 v40, v45 offset:128
	v_and_b32_e32 v4, v5, v6
	; wave barrier
	s_delay_alu instid0(VALU_DEP_1) | instskip(NEXT) | instid1(VALU_DEP_1)
	v_and_b32_e32 v3, v4, v3
	v_mbcnt_lo_u32_b32 v41, v3, 0
	v_cmp_ne_u32_e64 s19, 0, v3
	s_delay_alu instid0(VALU_DEP_2)
	v_cmp_eq_u32_e32 vcc_lo, 0, v41
	s_and_b32 s20, s19, vcc_lo
	s_wait_alu 0xfffe
	s_and_saveexec_b32 s19, s20
	s_cbranch_execz .LBB190_47
; %bb.46:
	s_wait_dscnt 0x0
	v_bcnt_u32_b32 v3, v3, v40
	ds_store_b32 v45, v3 offset:128
.LBB190_47:
	s_wait_alu 0xfffe
	s_or_b32 exec_lo, exec_lo, s19
	v_lshrrev_b32_e32 v3, s44, v15
	; wave barrier
	s_delay_alu instid0(VALU_DEP_1) | instskip(NEXT) | instid1(VALU_DEP_1)
	v_and_b32_e32 v3, s49, v3
	v_and_b32_e32 v5, 1, v3
	v_lshlrev_b32_e32 v6, 30, v3
	v_lshlrev_b32_e32 v7, 29, v3
	;; [unrolled: 1-line block ×4, first 2 shown]
	v_add_co_u32 v5, s19, v5, -1
	s_wait_alu 0xf1ff
	v_cndmask_b32_e64 v9, 0, 1, s19
	v_not_b32_e32 v47, v6
	v_cmp_gt_i32_e64 s19, 0, v6
	v_not_b32_e32 v6, v7
	v_lshlrev_b32_e32 v44, 26, v3
	v_cmp_ne_u32_e32 vcc_lo, 0, v9
	v_ashrrev_i32_e32 v9, 31, v47
	v_lshlrev_b32_e32 v46, 25, v3
	v_ashrrev_i32_e32 v6, 31, v6
	v_mul_lo_u32 v4, 0x84, v3
	s_wait_alu 0xfffd
	v_xor_b32_e32 v5, vcc_lo, v5
	v_cmp_gt_i32_e32 vcc_lo, 0, v7
	v_not_b32_e32 v7, v8
	s_wait_alu 0xf1ff
	v_xor_b32_e32 v9, s19, v9
	v_cmp_gt_i32_e64 s19, 0, v8
	v_and_b32_e32 v5, exec_lo, v5
	v_not_b32_e32 v8, v43
	v_ashrrev_i32_e32 v7, 31, v7
	s_wait_alu 0xfffd
	v_xor_b32_e32 v6, vcc_lo, v6
	v_cmp_gt_i32_e32 vcc_lo, 0, v43
	v_and_b32_e32 v5, v5, v9
	v_not_b32_e32 v9, v44
	v_ashrrev_i32_e32 v8, 31, v8
	s_wait_alu 0xf1ff
	v_xor_b32_e32 v7, s19, v7
	v_lshlrev_b32_e32 v3, 24, v3
	v_and_b32_e32 v5, v5, v6
	v_cmp_gt_i32_e64 s19, 0, v44
	v_not_b32_e32 v6, v46
	v_ashrrev_i32_e32 v9, 31, v9
	s_wait_alu 0xfffd
	v_xor_b32_e32 v8, vcc_lo, v8
	v_and_b32_e32 v5, v5, v7
	v_cmp_gt_i32_e32 vcc_lo, 0, v46
	v_not_b32_e32 v7, v3
	v_ashrrev_i32_e32 v6, 31, v6
	s_wait_alu 0xf1ff
	v_xor_b32_e32 v9, s19, v9
	v_and_b32_e32 v5, v5, v8
	v_cmp_gt_i32_e64 s19, 0, v3
	v_ashrrev_i32_e32 v3, 31, v7
	s_wait_alu 0xfffd
	v_xor_b32_e32 v6, vcc_lo, v6
	v_add_nc_u32_e32 v48, v2, v4
	v_and_b32_e32 v5, v5, v9
	s_wait_alu 0xf1ff
	v_xor_b32_e32 v3, s19, v3
	ds_load_b32 v43, v48 offset:128
	v_and_b32_e32 v4, v5, v6
	; wave barrier
	s_delay_alu instid0(VALU_DEP_1) | instskip(NEXT) | instid1(VALU_DEP_1)
	v_and_b32_e32 v3, v4, v3
	v_mbcnt_lo_u32_b32 v44, v3, 0
	v_cmp_ne_u32_e64 s19, 0, v3
	s_delay_alu instid0(VALU_DEP_2)
	v_cmp_eq_u32_e32 vcc_lo, 0, v44
	s_and_b32 s20, s19, vcc_lo
	s_wait_alu 0xfffe
	s_and_saveexec_b32 s19, s20
	s_cbranch_execz .LBB190_49
; %bb.48:
	s_wait_dscnt 0x0
	v_bcnt_u32_b32 v3, v3, v43
	ds_store_b32 v48, v3 offset:128
.LBB190_49:
	s_wait_alu 0xfffe
	s_or_b32 exec_lo, exec_lo, s19
	v_lshrrev_b32_e32 v3, s44, v18
	; wave barrier
	s_delay_alu instid0(VALU_DEP_1) | instskip(NEXT) | instid1(VALU_DEP_1)
	v_and_b32_e32 v3, s49, v3
	v_and_b32_e32 v5, 1, v3
	v_lshlrev_b32_e32 v6, 30, v3
	v_lshlrev_b32_e32 v7, 29, v3
	;; [unrolled: 1-line block ×4, first 2 shown]
	v_add_co_u32 v5, s19, v5, -1
	s_wait_alu 0xf1ff
	v_cndmask_b32_e64 v9, 0, 1, s19
	v_not_b32_e32 v50, v6
	v_cmp_gt_i32_e64 s19, 0, v6
	v_not_b32_e32 v6, v7
	v_lshlrev_b32_e32 v47, 26, v3
	v_cmp_ne_u32_e32 vcc_lo, 0, v9
	v_ashrrev_i32_e32 v9, 31, v50
	v_lshlrev_b32_e32 v49, 25, v3
	v_ashrrev_i32_e32 v6, 31, v6
	v_mul_lo_u32 v4, 0x84, v3
	s_wait_alu 0xfffd
	v_xor_b32_e32 v5, vcc_lo, v5
	v_cmp_gt_i32_e32 vcc_lo, 0, v7
	v_not_b32_e32 v7, v8
	s_wait_alu 0xf1ff
	v_xor_b32_e32 v9, s19, v9
	v_cmp_gt_i32_e64 s19, 0, v8
	v_and_b32_e32 v5, exec_lo, v5
	v_not_b32_e32 v8, v46
	v_ashrrev_i32_e32 v7, 31, v7
	s_wait_alu 0xfffd
	v_xor_b32_e32 v6, vcc_lo, v6
	v_cmp_gt_i32_e32 vcc_lo, 0, v46
	v_and_b32_e32 v5, v5, v9
	v_not_b32_e32 v9, v47
	v_ashrrev_i32_e32 v8, 31, v8
	s_wait_alu 0xf1ff
	v_xor_b32_e32 v7, s19, v7
	v_lshlrev_b32_e32 v3, 24, v3
	v_and_b32_e32 v5, v5, v6
	v_cmp_gt_i32_e64 s19, 0, v47
	v_not_b32_e32 v6, v49
	v_ashrrev_i32_e32 v9, 31, v9
	s_wait_alu 0xfffd
	v_xor_b32_e32 v8, vcc_lo, v8
	v_and_b32_e32 v5, v5, v7
	v_cmp_gt_i32_e32 vcc_lo, 0, v49
	v_not_b32_e32 v7, v3
	v_ashrrev_i32_e32 v6, 31, v6
	s_wait_alu 0xf1ff
	v_xor_b32_e32 v9, s19, v9
	v_and_b32_e32 v5, v5, v8
	v_cmp_gt_i32_e64 s19, 0, v3
	v_ashrrev_i32_e32 v3, 31, v7
	s_wait_alu 0xfffd
	v_xor_b32_e32 v6, vcc_lo, v6
	v_add_nc_u32_e32 v51, v2, v4
	v_and_b32_e32 v5, v5, v9
	s_wait_alu 0xf1ff
	v_xor_b32_e32 v3, s19, v3
	ds_load_b32 v46, v51 offset:128
	v_and_b32_e32 v4, v5, v6
	; wave barrier
	s_delay_alu instid0(VALU_DEP_1) | instskip(NEXT) | instid1(VALU_DEP_1)
	v_and_b32_e32 v3, v4, v3
	v_mbcnt_lo_u32_b32 v47, v3, 0
	v_cmp_ne_u32_e64 s19, 0, v3
	s_delay_alu instid0(VALU_DEP_2)
	v_cmp_eq_u32_e32 vcc_lo, 0, v47
	s_and_b32 s20, s19, vcc_lo
	s_wait_alu 0xfffe
	s_and_saveexec_b32 s19, s20
	s_cbranch_execz .LBB190_51
; %bb.50:
	s_wait_dscnt 0x0
	v_bcnt_u32_b32 v3, v3, v46
	ds_store_b32 v51, v3 offset:128
.LBB190_51:
	s_wait_alu 0xfffe
	s_or_b32 exec_lo, exec_lo, s19
	v_lshrrev_b32_e32 v3, s44, v17
	; wave barrier
	s_delay_alu instid0(VALU_DEP_1) | instskip(NEXT) | instid1(VALU_DEP_1)
	v_and_b32_e32 v3, s49, v3
	v_and_b32_e32 v5, 1, v3
	v_lshlrev_b32_e32 v6, 30, v3
	v_lshlrev_b32_e32 v7, 29, v3
	;; [unrolled: 1-line block ×4, first 2 shown]
	v_add_co_u32 v5, s19, v5, -1
	s_wait_alu 0xf1ff
	v_cndmask_b32_e64 v9, 0, 1, s19
	v_not_b32_e32 v53, v6
	v_cmp_gt_i32_e64 s19, 0, v6
	v_not_b32_e32 v6, v7
	v_lshlrev_b32_e32 v50, 26, v3
	v_cmp_ne_u32_e32 vcc_lo, 0, v9
	v_ashrrev_i32_e32 v9, 31, v53
	v_lshlrev_b32_e32 v52, 25, v3
	v_ashrrev_i32_e32 v6, 31, v6
	v_mul_lo_u32 v4, 0x84, v3
	s_wait_alu 0xfffd
	v_xor_b32_e32 v5, vcc_lo, v5
	v_cmp_gt_i32_e32 vcc_lo, 0, v7
	v_not_b32_e32 v7, v8
	s_wait_alu 0xf1ff
	v_xor_b32_e32 v9, s19, v9
	v_cmp_gt_i32_e64 s19, 0, v8
	v_and_b32_e32 v5, exec_lo, v5
	v_not_b32_e32 v8, v49
	v_ashrrev_i32_e32 v7, 31, v7
	s_wait_alu 0xfffd
	v_xor_b32_e32 v6, vcc_lo, v6
	v_cmp_gt_i32_e32 vcc_lo, 0, v49
	v_and_b32_e32 v5, v5, v9
	v_not_b32_e32 v9, v50
	v_ashrrev_i32_e32 v8, 31, v8
	s_wait_alu 0xf1ff
	v_xor_b32_e32 v7, s19, v7
	v_lshlrev_b32_e32 v3, 24, v3
	v_and_b32_e32 v5, v5, v6
	v_cmp_gt_i32_e64 s19, 0, v50
	v_not_b32_e32 v6, v52
	v_ashrrev_i32_e32 v9, 31, v9
	s_wait_alu 0xfffd
	v_xor_b32_e32 v8, vcc_lo, v8
	v_and_b32_e32 v5, v5, v7
	v_cmp_gt_i32_e32 vcc_lo, 0, v52
	v_not_b32_e32 v7, v3
	v_ashrrev_i32_e32 v6, 31, v6
	s_wait_alu 0xf1ff
	v_xor_b32_e32 v9, s19, v9
	v_and_b32_e32 v5, v5, v8
	v_cmp_gt_i32_e64 s19, 0, v3
	v_ashrrev_i32_e32 v3, 31, v7
	s_wait_alu 0xfffd
	v_xor_b32_e32 v6, vcc_lo, v6
	v_add_nc_u32_e32 v54, v2, v4
	v_and_b32_e32 v5, v5, v9
	s_wait_alu 0xf1ff
	v_xor_b32_e32 v3, s19, v3
	ds_load_b32 v49, v54 offset:128
	v_and_b32_e32 v4, v5, v6
	; wave barrier
	s_delay_alu instid0(VALU_DEP_1) | instskip(NEXT) | instid1(VALU_DEP_1)
	v_and_b32_e32 v3, v4, v3
	v_mbcnt_lo_u32_b32 v50, v3, 0
	v_cmp_ne_u32_e64 s19, 0, v3
	s_delay_alu instid0(VALU_DEP_2)
	v_cmp_eq_u32_e32 vcc_lo, 0, v50
	s_and_b32 s20, s19, vcc_lo
	s_wait_alu 0xfffe
	s_and_saveexec_b32 s19, s20
	s_cbranch_execz .LBB190_53
; %bb.52:
	s_wait_dscnt 0x0
	v_bcnt_u32_b32 v3, v3, v49
	ds_store_b32 v54, v3 offset:128
.LBB190_53:
	s_wait_alu 0xfffe
	s_or_b32 exec_lo, exec_lo, s19
	v_lshrrev_b32_e32 v3, s44, v20
	; wave barrier
	s_delay_alu instid0(VALU_DEP_1) | instskip(NEXT) | instid1(VALU_DEP_1)
	v_and_b32_e32 v3, s49, v3
	v_and_b32_e32 v5, 1, v3
	v_lshlrev_b32_e32 v6, 30, v3
	v_lshlrev_b32_e32 v7, 29, v3
	;; [unrolled: 1-line block ×4, first 2 shown]
	v_add_co_u32 v5, s19, v5, -1
	s_wait_alu 0xf1ff
	v_cndmask_b32_e64 v9, 0, 1, s19
	v_not_b32_e32 v56, v6
	v_cmp_gt_i32_e64 s19, 0, v6
	v_not_b32_e32 v6, v7
	v_lshlrev_b32_e32 v53, 26, v3
	v_cmp_ne_u32_e32 vcc_lo, 0, v9
	v_ashrrev_i32_e32 v9, 31, v56
	v_lshlrev_b32_e32 v55, 25, v3
	v_ashrrev_i32_e32 v6, 31, v6
	v_mul_lo_u32 v4, 0x84, v3
	s_wait_alu 0xfffd
	v_xor_b32_e32 v5, vcc_lo, v5
	v_cmp_gt_i32_e32 vcc_lo, 0, v7
	v_not_b32_e32 v7, v8
	s_wait_alu 0xf1ff
	v_xor_b32_e32 v9, s19, v9
	v_cmp_gt_i32_e64 s19, 0, v8
	v_and_b32_e32 v5, exec_lo, v5
	v_not_b32_e32 v8, v52
	v_ashrrev_i32_e32 v7, 31, v7
	s_wait_alu 0xfffd
	v_xor_b32_e32 v6, vcc_lo, v6
	v_cmp_gt_i32_e32 vcc_lo, 0, v52
	v_and_b32_e32 v5, v5, v9
	v_not_b32_e32 v9, v53
	v_ashrrev_i32_e32 v8, 31, v8
	s_wait_alu 0xf1ff
	v_xor_b32_e32 v7, s19, v7
	v_lshlrev_b32_e32 v3, 24, v3
	v_and_b32_e32 v5, v5, v6
	v_cmp_gt_i32_e64 s19, 0, v53
	v_not_b32_e32 v6, v55
	v_ashrrev_i32_e32 v9, 31, v9
	s_wait_alu 0xfffd
	v_xor_b32_e32 v8, vcc_lo, v8
	v_and_b32_e32 v5, v5, v7
	v_cmp_gt_i32_e32 vcc_lo, 0, v55
	v_not_b32_e32 v7, v3
	v_ashrrev_i32_e32 v6, 31, v6
	s_wait_alu 0xf1ff
	v_xor_b32_e32 v9, s19, v9
	v_and_b32_e32 v5, v5, v8
	v_cmp_gt_i32_e64 s19, 0, v3
	v_ashrrev_i32_e32 v3, 31, v7
	s_wait_alu 0xfffd
	v_xor_b32_e32 v6, vcc_lo, v6
	v_add_nc_u32_e32 v57, v2, v4
	v_and_b32_e32 v5, v5, v9
	s_wait_alu 0xf1ff
	v_xor_b32_e32 v3, s19, v3
	ds_load_b32 v52, v57 offset:128
	v_and_b32_e32 v4, v5, v6
	; wave barrier
	s_delay_alu instid0(VALU_DEP_1) | instskip(NEXT) | instid1(VALU_DEP_1)
	v_and_b32_e32 v3, v4, v3
	v_mbcnt_lo_u32_b32 v53, v3, 0
	v_cmp_ne_u32_e64 s19, 0, v3
	s_delay_alu instid0(VALU_DEP_2)
	v_cmp_eq_u32_e32 vcc_lo, 0, v53
	s_and_b32 s20, s19, vcc_lo
	s_wait_alu 0xfffe
	s_and_saveexec_b32 s19, s20
	s_cbranch_execz .LBB190_55
; %bb.54:
	s_wait_dscnt 0x0
	v_bcnt_u32_b32 v3, v3, v52
	ds_store_b32 v57, v3 offset:128
.LBB190_55:
	s_wait_alu 0xfffe
	s_or_b32 exec_lo, exec_lo, s19
	v_lshrrev_b32_e32 v3, s44, v19
	; wave barrier
	s_delay_alu instid0(VALU_DEP_1) | instskip(NEXT) | instid1(VALU_DEP_1)
	v_and_b32_e32 v3, s49, v3
	v_and_b32_e32 v5, 1, v3
	v_lshlrev_b32_e32 v6, 30, v3
	v_lshlrev_b32_e32 v7, 29, v3
	;; [unrolled: 1-line block ×4, first 2 shown]
	v_add_co_u32 v5, s19, v5, -1
	s_wait_alu 0xf1ff
	v_cndmask_b32_e64 v9, 0, 1, s19
	v_not_b32_e32 v59, v6
	v_cmp_gt_i32_e64 s19, 0, v6
	v_not_b32_e32 v6, v7
	v_lshlrev_b32_e32 v56, 26, v3
	v_cmp_ne_u32_e32 vcc_lo, 0, v9
	v_ashrrev_i32_e32 v9, 31, v59
	v_lshlrev_b32_e32 v58, 25, v3
	v_ashrrev_i32_e32 v6, 31, v6
	v_mul_lo_u32 v4, 0x84, v3
	s_wait_alu 0xfffd
	v_xor_b32_e32 v5, vcc_lo, v5
	v_cmp_gt_i32_e32 vcc_lo, 0, v7
	v_not_b32_e32 v7, v8
	s_wait_alu 0xf1ff
	v_xor_b32_e32 v9, s19, v9
	v_cmp_gt_i32_e64 s19, 0, v8
	v_and_b32_e32 v5, exec_lo, v5
	v_not_b32_e32 v8, v55
	v_ashrrev_i32_e32 v7, 31, v7
	s_wait_alu 0xfffd
	v_xor_b32_e32 v6, vcc_lo, v6
	v_cmp_gt_i32_e32 vcc_lo, 0, v55
	v_and_b32_e32 v5, v5, v9
	v_not_b32_e32 v9, v56
	v_ashrrev_i32_e32 v8, 31, v8
	s_wait_alu 0xf1ff
	v_xor_b32_e32 v7, s19, v7
	v_lshlrev_b32_e32 v3, 24, v3
	v_and_b32_e32 v5, v5, v6
	v_cmp_gt_i32_e64 s19, 0, v56
	v_not_b32_e32 v6, v58
	v_ashrrev_i32_e32 v9, 31, v9
	s_wait_alu 0xfffd
	v_xor_b32_e32 v8, vcc_lo, v8
	v_and_b32_e32 v5, v5, v7
	v_cmp_gt_i32_e32 vcc_lo, 0, v58
	v_not_b32_e32 v7, v3
	v_ashrrev_i32_e32 v6, 31, v6
	s_wait_alu 0xf1ff
	v_xor_b32_e32 v9, s19, v9
	v_and_b32_e32 v5, v5, v8
	v_cmp_gt_i32_e64 s19, 0, v3
	v_ashrrev_i32_e32 v3, 31, v7
	s_wait_alu 0xfffd
	v_xor_b32_e32 v6, vcc_lo, v6
	v_add_nc_u32_e32 v60, v2, v4
	v_and_b32_e32 v5, v5, v9
	s_wait_alu 0xf1ff
	v_xor_b32_e32 v3, s19, v3
	ds_load_b32 v55, v60 offset:128
	v_and_b32_e32 v4, v5, v6
	; wave barrier
	s_delay_alu instid0(VALU_DEP_1) | instskip(NEXT) | instid1(VALU_DEP_1)
	v_and_b32_e32 v3, v4, v3
	v_mbcnt_lo_u32_b32 v56, v3, 0
	v_cmp_ne_u32_e64 s19, 0, v3
	s_delay_alu instid0(VALU_DEP_2)
	v_cmp_eq_u32_e32 vcc_lo, 0, v56
	s_and_b32 s20, s19, vcc_lo
	s_wait_alu 0xfffe
	s_and_saveexec_b32 s19, s20
	s_cbranch_execz .LBB190_57
; %bb.56:
	s_wait_dscnt 0x0
	v_bcnt_u32_b32 v3, v3, v55
	ds_store_b32 v60, v3 offset:128
.LBB190_57:
	s_wait_alu 0xfffe
	s_or_b32 exec_lo, exec_lo, s19
	v_lshrrev_b32_e32 v3, s44, v22
	; wave barrier
	s_delay_alu instid0(VALU_DEP_1) | instskip(NEXT) | instid1(VALU_DEP_1)
	v_and_b32_e32 v3, s49, v3
	v_and_b32_e32 v5, 1, v3
	v_lshlrev_b32_e32 v6, 30, v3
	v_lshlrev_b32_e32 v7, 29, v3
	;; [unrolled: 1-line block ×4, first 2 shown]
	v_add_co_u32 v5, s19, v5, -1
	s_wait_alu 0xf1ff
	v_cndmask_b32_e64 v9, 0, 1, s19
	v_not_b32_e32 v62, v6
	v_cmp_gt_i32_e64 s19, 0, v6
	v_not_b32_e32 v6, v7
	v_lshlrev_b32_e32 v59, 26, v3
	v_cmp_ne_u32_e32 vcc_lo, 0, v9
	v_ashrrev_i32_e32 v9, 31, v62
	v_lshlrev_b32_e32 v61, 25, v3
	v_ashrrev_i32_e32 v6, 31, v6
	v_mul_lo_u32 v4, 0x84, v3
	s_wait_alu 0xfffd
	v_xor_b32_e32 v5, vcc_lo, v5
	v_cmp_gt_i32_e32 vcc_lo, 0, v7
	v_not_b32_e32 v7, v8
	s_wait_alu 0xf1ff
	v_xor_b32_e32 v9, s19, v9
	v_cmp_gt_i32_e64 s19, 0, v8
	v_and_b32_e32 v5, exec_lo, v5
	v_not_b32_e32 v8, v58
	v_ashrrev_i32_e32 v7, 31, v7
	s_wait_alu 0xfffd
	v_xor_b32_e32 v6, vcc_lo, v6
	v_cmp_gt_i32_e32 vcc_lo, 0, v58
	v_and_b32_e32 v5, v5, v9
	v_not_b32_e32 v9, v59
	v_ashrrev_i32_e32 v8, 31, v8
	s_wait_alu 0xf1ff
	v_xor_b32_e32 v7, s19, v7
	v_lshlrev_b32_e32 v3, 24, v3
	v_and_b32_e32 v5, v5, v6
	v_cmp_gt_i32_e64 s19, 0, v59
	v_not_b32_e32 v6, v61
	v_ashrrev_i32_e32 v9, 31, v9
	s_wait_alu 0xfffd
	v_xor_b32_e32 v8, vcc_lo, v8
	v_and_b32_e32 v5, v5, v7
	v_cmp_gt_i32_e32 vcc_lo, 0, v61
	v_not_b32_e32 v7, v3
	v_ashrrev_i32_e32 v6, 31, v6
	s_wait_alu 0xf1ff
	v_xor_b32_e32 v9, s19, v9
	v_and_b32_e32 v5, v5, v8
	v_cmp_gt_i32_e64 s19, 0, v3
	v_ashrrev_i32_e32 v3, 31, v7
	s_wait_alu 0xfffd
	v_xor_b32_e32 v6, vcc_lo, v6
	v_add_nc_u32_e32 v63, v2, v4
	v_and_b32_e32 v5, v5, v9
	s_wait_alu 0xf1ff
	v_xor_b32_e32 v3, s19, v3
	ds_load_b32 v58, v63 offset:128
	v_and_b32_e32 v4, v5, v6
	; wave barrier
	s_delay_alu instid0(VALU_DEP_1) | instskip(NEXT) | instid1(VALU_DEP_1)
	v_and_b32_e32 v3, v4, v3
	v_mbcnt_lo_u32_b32 v59, v3, 0
	v_cmp_ne_u32_e64 s19, 0, v3
	s_delay_alu instid0(VALU_DEP_2)
	v_cmp_eq_u32_e32 vcc_lo, 0, v59
	s_and_b32 s20, s19, vcc_lo
	s_wait_alu 0xfffe
	s_and_saveexec_b32 s19, s20
	s_cbranch_execz .LBB190_59
; %bb.58:
	s_wait_dscnt 0x0
	v_bcnt_u32_b32 v3, v3, v58
	ds_store_b32 v63, v3 offset:128
.LBB190_59:
	s_wait_alu 0xfffe
	s_or_b32 exec_lo, exec_lo, s19
	v_lshrrev_b32_e32 v3, s44, v21
	; wave barrier
	s_delay_alu instid0(VALU_DEP_1) | instskip(NEXT) | instid1(VALU_DEP_1)
	v_and_b32_e32 v3, s49, v3
	v_and_b32_e32 v5, 1, v3
	v_lshlrev_b32_e32 v6, 30, v3
	v_lshlrev_b32_e32 v7, 29, v3
	;; [unrolled: 1-line block ×4, first 2 shown]
	v_add_co_u32 v5, s19, v5, -1
	s_wait_alu 0xf1ff
	v_cndmask_b32_e64 v9, 0, 1, s19
	v_not_b32_e32 v65, v6
	v_cmp_gt_i32_e64 s19, 0, v6
	v_not_b32_e32 v6, v7
	v_lshlrev_b32_e32 v62, 26, v3
	v_cmp_ne_u32_e32 vcc_lo, 0, v9
	v_ashrrev_i32_e32 v9, 31, v65
	v_lshlrev_b32_e32 v64, 25, v3
	v_ashrrev_i32_e32 v6, 31, v6
	v_mul_lo_u32 v4, 0x84, v3
	s_wait_alu 0xfffd
	v_xor_b32_e32 v5, vcc_lo, v5
	v_cmp_gt_i32_e32 vcc_lo, 0, v7
	v_not_b32_e32 v7, v8
	s_wait_alu 0xf1ff
	v_xor_b32_e32 v9, s19, v9
	v_cmp_gt_i32_e64 s19, 0, v8
	v_and_b32_e32 v5, exec_lo, v5
	v_not_b32_e32 v8, v61
	v_ashrrev_i32_e32 v7, 31, v7
	s_wait_alu 0xfffd
	v_xor_b32_e32 v6, vcc_lo, v6
	v_cmp_gt_i32_e32 vcc_lo, 0, v61
	v_and_b32_e32 v5, v5, v9
	v_not_b32_e32 v9, v62
	v_ashrrev_i32_e32 v8, 31, v8
	s_wait_alu 0xf1ff
	v_xor_b32_e32 v7, s19, v7
	v_lshlrev_b32_e32 v3, 24, v3
	v_and_b32_e32 v5, v5, v6
	v_cmp_gt_i32_e64 s19, 0, v62
	v_not_b32_e32 v6, v64
	v_ashrrev_i32_e32 v9, 31, v9
	s_wait_alu 0xfffd
	v_xor_b32_e32 v8, vcc_lo, v8
	v_and_b32_e32 v5, v5, v7
	v_cmp_gt_i32_e32 vcc_lo, 0, v64
	v_not_b32_e32 v7, v3
	v_ashrrev_i32_e32 v6, 31, v6
	s_wait_alu 0xf1ff
	v_xor_b32_e32 v9, s19, v9
	v_and_b32_e32 v5, v5, v8
	v_cmp_gt_i32_e64 s19, 0, v3
	v_ashrrev_i32_e32 v3, 31, v7
	s_wait_alu 0xfffd
	v_xor_b32_e32 v6, vcc_lo, v6
	v_add_nc_u32_e32 v66, v2, v4
	v_and_b32_e32 v5, v5, v9
	s_wait_alu 0xf1ff
	v_xor_b32_e32 v3, s19, v3
	ds_load_b32 v61, v66 offset:128
	v_and_b32_e32 v4, v5, v6
	; wave barrier
	s_delay_alu instid0(VALU_DEP_1) | instskip(NEXT) | instid1(VALU_DEP_1)
	v_and_b32_e32 v3, v4, v3
	v_mbcnt_lo_u32_b32 v62, v3, 0
	v_cmp_ne_u32_e64 s19, 0, v3
	s_delay_alu instid0(VALU_DEP_2)
	v_cmp_eq_u32_e32 vcc_lo, 0, v62
	s_and_b32 s20, s19, vcc_lo
	s_wait_alu 0xfffe
	s_and_saveexec_b32 s19, s20
	s_cbranch_execz .LBB190_61
; %bb.60:
	s_wait_dscnt 0x0
	v_bcnt_u32_b32 v3, v3, v61
	ds_store_b32 v66, v3 offset:128
.LBB190_61:
	s_wait_alu 0xfffe
	s_or_b32 exec_lo, exec_lo, s19
	v_lshrrev_b32_e32 v3, s44, v24
	; wave barrier
	s_delay_alu instid0(VALU_DEP_1) | instskip(NEXT) | instid1(VALU_DEP_1)
	v_and_b32_e32 v3, s49, v3
	v_and_b32_e32 v5, 1, v3
	v_lshlrev_b32_e32 v6, 30, v3
	v_lshlrev_b32_e32 v7, 29, v3
	;; [unrolled: 1-line block ×4, first 2 shown]
	v_add_co_u32 v5, s19, v5, -1
	s_wait_alu 0xf1ff
	v_cndmask_b32_e64 v9, 0, 1, s19
	v_not_b32_e32 v68, v6
	v_cmp_gt_i32_e64 s19, 0, v6
	v_not_b32_e32 v6, v7
	v_lshlrev_b32_e32 v65, 26, v3
	v_cmp_ne_u32_e32 vcc_lo, 0, v9
	v_ashrrev_i32_e32 v9, 31, v68
	v_lshlrev_b32_e32 v67, 25, v3
	v_ashrrev_i32_e32 v6, 31, v6
	v_mul_lo_u32 v4, 0x84, v3
	s_wait_alu 0xfffd
	v_xor_b32_e32 v5, vcc_lo, v5
	v_cmp_gt_i32_e32 vcc_lo, 0, v7
	v_not_b32_e32 v7, v8
	s_wait_alu 0xf1ff
	v_xor_b32_e32 v9, s19, v9
	v_cmp_gt_i32_e64 s19, 0, v8
	v_and_b32_e32 v5, exec_lo, v5
	v_not_b32_e32 v8, v64
	v_ashrrev_i32_e32 v7, 31, v7
	s_wait_alu 0xfffd
	v_xor_b32_e32 v6, vcc_lo, v6
	v_cmp_gt_i32_e32 vcc_lo, 0, v64
	v_and_b32_e32 v5, v5, v9
	v_not_b32_e32 v9, v65
	v_ashrrev_i32_e32 v8, 31, v8
	s_wait_alu 0xf1ff
	v_xor_b32_e32 v7, s19, v7
	v_lshlrev_b32_e32 v3, 24, v3
	v_and_b32_e32 v5, v5, v6
	v_cmp_gt_i32_e64 s19, 0, v65
	v_not_b32_e32 v6, v67
	v_ashrrev_i32_e32 v9, 31, v9
	s_wait_alu 0xfffd
	v_xor_b32_e32 v8, vcc_lo, v8
	v_and_b32_e32 v5, v5, v7
	v_cmp_gt_i32_e32 vcc_lo, 0, v67
	v_not_b32_e32 v7, v3
	v_ashrrev_i32_e32 v6, 31, v6
	s_wait_alu 0xf1ff
	v_xor_b32_e32 v9, s19, v9
	v_and_b32_e32 v5, v5, v8
	v_cmp_gt_i32_e64 s19, 0, v3
	v_ashrrev_i32_e32 v3, 31, v7
	s_wait_alu 0xfffd
	v_xor_b32_e32 v6, vcc_lo, v6
	v_add_nc_u32_e32 v69, v2, v4
	v_and_b32_e32 v5, v5, v9
	s_wait_alu 0xf1ff
	v_xor_b32_e32 v3, s19, v3
	ds_load_b32 v64, v69 offset:128
	v_and_b32_e32 v4, v5, v6
	; wave barrier
	s_delay_alu instid0(VALU_DEP_1) | instskip(NEXT) | instid1(VALU_DEP_1)
	v_and_b32_e32 v3, v4, v3
	v_mbcnt_lo_u32_b32 v65, v3, 0
	v_cmp_ne_u32_e64 s19, 0, v3
	s_delay_alu instid0(VALU_DEP_2)
	v_cmp_eq_u32_e32 vcc_lo, 0, v65
	s_and_b32 s20, s19, vcc_lo
	s_wait_alu 0xfffe
	s_and_saveexec_b32 s19, s20
	s_cbranch_execz .LBB190_63
; %bb.62:
	s_wait_dscnt 0x0
	v_bcnt_u32_b32 v3, v3, v64
	ds_store_b32 v69, v3 offset:128
.LBB190_63:
	s_wait_alu 0xfffe
	s_or_b32 exec_lo, exec_lo, s19
	v_lshrrev_b32_e32 v3, s44, v23
	; wave barrier
	s_delay_alu instid0(VALU_DEP_1) | instskip(NEXT) | instid1(VALU_DEP_1)
	v_and_b32_e32 v3, s49, v3
	v_and_b32_e32 v5, 1, v3
	v_lshlrev_b32_e32 v6, 30, v3
	v_lshlrev_b32_e32 v7, 29, v3
	;; [unrolled: 1-line block ×4, first 2 shown]
	v_add_co_u32 v5, s19, v5, -1
	s_wait_alu 0xf1ff
	v_cndmask_b32_e64 v9, 0, 1, s19
	v_not_b32_e32 v71, v6
	v_cmp_gt_i32_e64 s19, 0, v6
	v_not_b32_e32 v6, v7
	v_lshlrev_b32_e32 v68, 26, v3
	v_cmp_ne_u32_e32 vcc_lo, 0, v9
	v_ashrrev_i32_e32 v9, 31, v71
	v_lshlrev_b32_e32 v70, 25, v3
	v_ashrrev_i32_e32 v6, 31, v6
	v_mul_lo_u32 v4, 0x84, v3
	s_wait_alu 0xfffd
	v_xor_b32_e32 v5, vcc_lo, v5
	v_cmp_gt_i32_e32 vcc_lo, 0, v7
	v_not_b32_e32 v7, v8
	s_wait_alu 0xf1ff
	v_xor_b32_e32 v9, s19, v9
	v_cmp_gt_i32_e64 s19, 0, v8
	v_and_b32_e32 v5, exec_lo, v5
	v_not_b32_e32 v8, v67
	v_ashrrev_i32_e32 v7, 31, v7
	s_wait_alu 0xfffd
	v_xor_b32_e32 v6, vcc_lo, v6
	v_cmp_gt_i32_e32 vcc_lo, 0, v67
	v_and_b32_e32 v5, v5, v9
	v_not_b32_e32 v9, v68
	v_ashrrev_i32_e32 v8, 31, v8
	s_wait_alu 0xf1ff
	v_xor_b32_e32 v7, s19, v7
	v_lshlrev_b32_e32 v3, 24, v3
	v_and_b32_e32 v5, v5, v6
	v_cmp_gt_i32_e64 s19, 0, v68
	v_not_b32_e32 v6, v70
	v_ashrrev_i32_e32 v9, 31, v9
	s_wait_alu 0xfffd
	v_xor_b32_e32 v8, vcc_lo, v8
	v_and_b32_e32 v5, v5, v7
	v_cmp_gt_i32_e32 vcc_lo, 0, v70
	v_not_b32_e32 v7, v3
	v_ashrrev_i32_e32 v6, 31, v6
	s_wait_alu 0xf1ff
	v_xor_b32_e32 v9, s19, v9
	v_and_b32_e32 v5, v5, v8
	v_cmp_gt_i32_e64 s19, 0, v3
	v_ashrrev_i32_e32 v3, 31, v7
	s_wait_alu 0xfffd
	v_xor_b32_e32 v6, vcc_lo, v6
	v_add_nc_u32_e32 v72, v2, v4
	v_and_b32_e32 v5, v5, v9
	s_wait_alu 0xf1ff
	v_xor_b32_e32 v3, s19, v3
	ds_load_b32 v67, v72 offset:128
	v_and_b32_e32 v4, v5, v6
	; wave barrier
	s_delay_alu instid0(VALU_DEP_1) | instskip(NEXT) | instid1(VALU_DEP_1)
	v_and_b32_e32 v3, v4, v3
	v_mbcnt_lo_u32_b32 v68, v3, 0
	v_cmp_ne_u32_e64 s19, 0, v3
	s_delay_alu instid0(VALU_DEP_2)
	v_cmp_eq_u32_e32 vcc_lo, 0, v68
	s_and_b32 s20, s19, vcc_lo
	s_wait_alu 0xfffe
	s_and_saveexec_b32 s19, s20
	s_cbranch_execz .LBB190_65
; %bb.64:
	s_wait_dscnt 0x0
	v_bcnt_u32_b32 v3, v3, v67
	ds_store_b32 v72, v3 offset:128
.LBB190_65:
	s_wait_alu 0xfffe
	s_or_b32 exec_lo, exec_lo, s19
	v_lshrrev_b32_e32 v3, s44, v26
	; wave barrier
	s_delay_alu instid0(VALU_DEP_1) | instskip(NEXT) | instid1(VALU_DEP_1)
	v_and_b32_e32 v3, s49, v3
	v_and_b32_e32 v5, 1, v3
	v_lshlrev_b32_e32 v6, 30, v3
	v_lshlrev_b32_e32 v7, 29, v3
	;; [unrolled: 1-line block ×4, first 2 shown]
	v_add_co_u32 v5, s19, v5, -1
	s_wait_alu 0xf1ff
	v_cndmask_b32_e64 v9, 0, 1, s19
	v_not_b32_e32 v74, v6
	v_cmp_gt_i32_e64 s19, 0, v6
	v_not_b32_e32 v6, v7
	v_lshlrev_b32_e32 v71, 26, v3
	v_cmp_ne_u32_e32 vcc_lo, 0, v9
	v_ashrrev_i32_e32 v9, 31, v74
	v_lshlrev_b32_e32 v73, 25, v3
	v_ashrrev_i32_e32 v6, 31, v6
	v_mul_lo_u32 v4, 0x84, v3
	s_wait_alu 0xfffd
	v_xor_b32_e32 v5, vcc_lo, v5
	v_cmp_gt_i32_e32 vcc_lo, 0, v7
	v_not_b32_e32 v7, v8
	s_wait_alu 0xf1ff
	v_xor_b32_e32 v9, s19, v9
	v_cmp_gt_i32_e64 s19, 0, v8
	v_and_b32_e32 v5, exec_lo, v5
	v_not_b32_e32 v8, v70
	v_ashrrev_i32_e32 v7, 31, v7
	s_wait_alu 0xfffd
	v_xor_b32_e32 v6, vcc_lo, v6
	v_cmp_gt_i32_e32 vcc_lo, 0, v70
	v_and_b32_e32 v5, v5, v9
	v_not_b32_e32 v9, v71
	v_ashrrev_i32_e32 v8, 31, v8
	s_wait_alu 0xf1ff
	v_xor_b32_e32 v7, s19, v7
	v_lshlrev_b32_e32 v3, 24, v3
	v_and_b32_e32 v5, v5, v6
	v_cmp_gt_i32_e64 s19, 0, v71
	v_not_b32_e32 v6, v73
	v_ashrrev_i32_e32 v9, 31, v9
	s_wait_alu 0xfffd
	v_xor_b32_e32 v8, vcc_lo, v8
	v_and_b32_e32 v5, v5, v7
	v_cmp_gt_i32_e32 vcc_lo, 0, v73
	v_not_b32_e32 v7, v3
	v_ashrrev_i32_e32 v6, 31, v6
	s_wait_alu 0xf1ff
	v_xor_b32_e32 v9, s19, v9
	v_and_b32_e32 v5, v5, v8
	v_cmp_gt_i32_e64 s19, 0, v3
	v_ashrrev_i32_e32 v3, 31, v7
	s_wait_alu 0xfffd
	v_xor_b32_e32 v6, vcc_lo, v6
	v_add_nc_u32_e32 v75, v2, v4
	v_and_b32_e32 v5, v5, v9
	s_wait_alu 0xf1ff
	v_xor_b32_e32 v3, s19, v3
	ds_load_b32 v70, v75 offset:128
	v_and_b32_e32 v4, v5, v6
	; wave barrier
	s_delay_alu instid0(VALU_DEP_1) | instskip(NEXT) | instid1(VALU_DEP_1)
	v_and_b32_e32 v3, v4, v3
	v_mbcnt_lo_u32_b32 v71, v3, 0
	v_cmp_ne_u32_e64 s19, 0, v3
	s_delay_alu instid0(VALU_DEP_2)
	v_cmp_eq_u32_e32 vcc_lo, 0, v71
	s_and_b32 s20, s19, vcc_lo
	s_wait_alu 0xfffe
	s_and_saveexec_b32 s19, s20
	s_cbranch_execz .LBB190_67
; %bb.66:
	s_wait_dscnt 0x0
	v_bcnt_u32_b32 v3, v3, v70
	ds_store_b32 v75, v3 offset:128
.LBB190_67:
	s_wait_alu 0xfffe
	s_or_b32 exec_lo, exec_lo, s19
	v_lshrrev_b32_e32 v3, s44, v25
	; wave barrier
	s_delay_alu instid0(VALU_DEP_1) | instskip(NEXT) | instid1(VALU_DEP_1)
	v_and_b32_e32 v3, s49, v3
	v_and_b32_e32 v5, 1, v3
	v_lshlrev_b32_e32 v6, 30, v3
	v_lshlrev_b32_e32 v7, 29, v3
	;; [unrolled: 1-line block ×4, first 2 shown]
	v_add_co_u32 v5, s19, v5, -1
	s_wait_alu 0xf1ff
	v_cndmask_b32_e64 v9, 0, 1, s19
	v_not_b32_e32 v77, v6
	v_cmp_gt_i32_e64 s19, 0, v6
	v_not_b32_e32 v6, v7
	v_lshlrev_b32_e32 v74, 26, v3
	v_cmp_ne_u32_e32 vcc_lo, 0, v9
	v_ashrrev_i32_e32 v9, 31, v77
	v_lshlrev_b32_e32 v76, 25, v3
	v_ashrrev_i32_e32 v6, 31, v6
	v_mul_lo_u32 v4, 0x84, v3
	s_wait_alu 0xfffd
	v_xor_b32_e32 v5, vcc_lo, v5
	v_cmp_gt_i32_e32 vcc_lo, 0, v7
	v_not_b32_e32 v7, v8
	s_wait_alu 0xf1ff
	v_xor_b32_e32 v9, s19, v9
	v_cmp_gt_i32_e64 s19, 0, v8
	v_and_b32_e32 v5, exec_lo, v5
	v_not_b32_e32 v8, v73
	v_ashrrev_i32_e32 v7, 31, v7
	s_wait_alu 0xfffd
	v_xor_b32_e32 v6, vcc_lo, v6
	v_cmp_gt_i32_e32 vcc_lo, 0, v73
	v_and_b32_e32 v5, v5, v9
	v_not_b32_e32 v9, v74
	v_ashrrev_i32_e32 v8, 31, v8
	s_wait_alu 0xf1ff
	v_xor_b32_e32 v7, s19, v7
	v_lshlrev_b32_e32 v3, 24, v3
	v_and_b32_e32 v5, v5, v6
	v_cmp_gt_i32_e64 s19, 0, v74
	v_not_b32_e32 v6, v76
	v_ashrrev_i32_e32 v9, 31, v9
	s_wait_alu 0xfffd
	v_xor_b32_e32 v8, vcc_lo, v8
	v_and_b32_e32 v5, v5, v7
	v_cmp_gt_i32_e32 vcc_lo, 0, v76
	v_not_b32_e32 v7, v3
	v_ashrrev_i32_e32 v6, 31, v6
	s_wait_alu 0xf1ff
	v_xor_b32_e32 v9, s19, v9
	v_and_b32_e32 v5, v5, v8
	v_cmp_gt_i32_e64 s19, 0, v3
	v_ashrrev_i32_e32 v3, 31, v7
	s_wait_alu 0xfffd
	v_xor_b32_e32 v6, vcc_lo, v6
	v_add_nc_u32_e32 v79, v2, v4
	v_and_b32_e32 v5, v5, v9
	s_wait_alu 0xf1ff
	v_xor_b32_e32 v2, s19, v3
	ds_load_b32 v73, v79 offset:128
	v_and_b32_e32 v3, v5, v6
	; wave barrier
	s_delay_alu instid0(VALU_DEP_1) | instskip(NEXT) | instid1(VALU_DEP_1)
	v_and_b32_e32 v2, v3, v2
	v_mbcnt_lo_u32_b32 v74, v2, 0
	v_cmp_ne_u32_e64 s19, 0, v2
	s_delay_alu instid0(VALU_DEP_2)
	v_cmp_eq_u32_e32 vcc_lo, 0, v74
	s_and_b32 s20, s19, vcc_lo
	s_wait_alu 0xfffe
	s_and_saveexec_b32 s19, s20
	s_cbranch_execz .LBB190_69
; %bb.68:
	s_wait_dscnt 0x0
	v_bcnt_u32_b32 v2, v2, v73
	ds_store_b32 v79, v2 offset:128
.LBB190_69:
	s_wait_alu 0xfffe
	s_or_b32 exec_lo, exec_lo, s19
	; wave barrier
	s_wait_loadcnt_dscnt 0x0
	s_barrier_signal -1
	s_barrier_wait -1
	global_inv scope:SCOPE_SE
	ds_load_2addr_b32 v[8:9], v30 offset0:32 offset1:33
	ds_load_2addr_b32 v[6:7], v30 offset0:34 offset1:35
	;; [unrolled: 1-line block ×4, first 2 shown]
	ds_load_b32 v76, v30 offset:160
	v_and_b32_e32 v80, 16, v36
	v_and_b32_e32 v81, 31, v1
	s_mov_b32 s24, exec_lo
	s_delay_alu instid0(VALU_DEP_2) | instskip(SKIP_3) | instid1(VALU_DEP_1)
	v_cmp_eq_u32_e64 s22, 0, v80
	s_wait_dscnt 0x3
	v_add3_u32 v77, v9, v8, v6
	s_wait_dscnt 0x2
	v_add3_u32 v77, v77, v7, v4
	s_wait_dscnt 0x1
	s_delay_alu instid0(VALU_DEP_1) | instskip(SKIP_1) | instid1(VALU_DEP_1)
	v_add3_u32 v77, v77, v5, v2
	s_wait_dscnt 0x0
	v_add3_u32 v76, v77, v3, v76
	v_and_b32_e32 v77, 15, v36
	s_delay_alu instid0(VALU_DEP_2) | instskip(NEXT) | instid1(VALU_DEP_2)
	v_mov_b32_dpp v78, v76 row_shr:1 row_mask:0xf bank_mask:0xf
	v_cmp_eq_u32_e32 vcc_lo, 0, v77
	v_cmp_lt_u32_e64 s19, 1, v77
	v_cmp_lt_u32_e64 s20, 3, v77
	;; [unrolled: 1-line block ×3, first 2 shown]
	s_wait_alu 0xfffd
	v_cndmask_b32_e64 v78, v78, 0, vcc_lo
	s_delay_alu instid0(VALU_DEP_1) | instskip(NEXT) | instid1(VALU_DEP_1)
	v_add_nc_u32_e32 v76, v78, v76
	v_mov_b32_dpp v78, v76 row_shr:2 row_mask:0xf bank_mask:0xf
	s_wait_alu 0xf1ff
	s_delay_alu instid0(VALU_DEP_1) | instskip(NEXT) | instid1(VALU_DEP_1)
	v_cndmask_b32_e64 v78, 0, v78, s19
	v_add_nc_u32_e32 v76, v76, v78
	s_delay_alu instid0(VALU_DEP_1) | instskip(NEXT) | instid1(VALU_DEP_1)
	v_mov_b32_dpp v78, v76 row_shr:4 row_mask:0xf bank_mask:0xf
	v_cndmask_b32_e64 v78, 0, v78, s20
	s_delay_alu instid0(VALU_DEP_1) | instskip(NEXT) | instid1(VALU_DEP_1)
	v_add_nc_u32_e32 v76, v76, v78
	v_mov_b32_dpp v78, v76 row_shr:8 row_mask:0xf bank_mask:0xf
	s_delay_alu instid0(VALU_DEP_1) | instskip(SKIP_1) | instid1(VALU_DEP_2)
	v_cndmask_b32_e64 v77, 0, v78, s21
	v_bfe_i32 v78, v36, 4, 1
	v_add_nc_u32_e32 v76, v76, v77
	ds_swizzle_b32 v77, v76 offset:swizzle(BROADCAST,32,15)
	s_wait_dscnt 0x0
	v_and_b32_e32 v78, v78, v77
	v_lshrrev_b32_e32 v77, 5, v1
	s_delay_alu instid0(VALU_DEP_2)
	v_add_nc_u32_e32 v76, v76, v78
	v_cmpx_eq_u32_e32 31, v81
; %bb.70:
	s_delay_alu instid0(VALU_DEP_3)
	v_lshlrev_b32_e32 v78, 2, v77
	ds_store_b32 v78, v76
; %bb.71:
	s_or_b32 exec_lo, exec_lo, s24
	v_cmp_lt_u32_e64 s23, 31, v1
	s_mov_b32 s50, exec_lo
	s_wait_loadcnt_dscnt 0x0
	s_barrier_signal -1
	s_barrier_wait -1
	global_inv scope:SCOPE_SE
	v_cmpx_gt_u32_e32 32, v1
	s_cbranch_execz .LBB190_73
; %bb.72:
	v_lshlrev_b32_e32 v78, 2, v1
	ds_load_b32 v80, v78
	s_wait_dscnt 0x0
	v_mov_b32_dpp v81, v80 row_shr:1 row_mask:0xf bank_mask:0xf
	s_delay_alu instid0(VALU_DEP_1) | instskip(NEXT) | instid1(VALU_DEP_1)
	v_cndmask_b32_e64 v81, v81, 0, vcc_lo
	v_add_nc_u32_e32 v80, v81, v80
	s_delay_alu instid0(VALU_DEP_1) | instskip(NEXT) | instid1(VALU_DEP_1)
	v_mov_b32_dpp v81, v80 row_shr:2 row_mask:0xf bank_mask:0xf
	v_cndmask_b32_e64 v81, 0, v81, s19
	s_delay_alu instid0(VALU_DEP_1) | instskip(NEXT) | instid1(VALU_DEP_1)
	v_add_nc_u32_e32 v80, v80, v81
	v_mov_b32_dpp v81, v80 row_shr:4 row_mask:0xf bank_mask:0xf
	s_delay_alu instid0(VALU_DEP_1) | instskip(NEXT) | instid1(VALU_DEP_1)
	v_cndmask_b32_e64 v81, 0, v81, s20
	v_add_nc_u32_e32 v80, v80, v81
	s_delay_alu instid0(VALU_DEP_1) | instskip(NEXT) | instid1(VALU_DEP_1)
	v_mov_b32_dpp v81, v80 row_shr:8 row_mask:0xf bank_mask:0xf
	v_cndmask_b32_e64 v81, 0, v81, s21
	s_delay_alu instid0(VALU_DEP_1) | instskip(SKIP_3) | instid1(VALU_DEP_1)
	v_add_nc_u32_e32 v80, v80, v81
	ds_swizzle_b32 v81, v80 offset:swizzle(BROADCAST,32,15)
	s_wait_dscnt 0x0
	v_cndmask_b32_e64 v81, v81, 0, s22
	v_add_nc_u32_e32 v80, v80, v81
	ds_store_b32 v78, v80
.LBB190_73:
	s_or_b32 exec_lo, exec_lo, s50
	v_mov_b32_e32 v78, 0
	s_wait_loadcnt_dscnt 0x0
	s_barrier_signal -1
	s_barrier_wait -1
	global_inv scope:SCOPE_SE
	s_and_saveexec_b32 s19, s23
; %bb.74:
	v_lshl_add_u32 v77, v77, 2, -4
	ds_load_b32 v78, v77
; %bb.75:
	s_wait_alu 0xfffe
	s_or_b32 exec_lo, exec_lo, s19
	v_sub_co_u32 v77, vcc_lo, v36, 1
	s_wait_dscnt 0x0
	v_add_nc_u32_e32 v76, v78, v76
	s_delay_alu instid0(VALU_DEP_2) | instskip(SKIP_1) | instid1(VALU_DEP_1)
	v_cmp_gt_i32_e64 s19, 0, v77
	s_wait_alu 0xf1ff
	v_cndmask_b32_e64 v77, v77, v36, s19
	v_cmp_lt_u32_e64 s19, 0xff, v1
	s_delay_alu instid0(VALU_DEP_2)
	v_lshlrev_b32_e32 v77, 2, v77
	ds_bpermute_b32 v76, v77, v76
	s_wait_dscnt 0x0
	s_wait_alu 0xfffd
	v_cndmask_b32_e32 v76, v76, v78, vcc_lo
	v_cmp_gt_u32_e32 vcc_lo, 0x100, v1
	s_delay_alu instid0(VALU_DEP_2) | instskip(NEXT) | instid1(VALU_DEP_1)
	v_cndmask_b32_e64 v76, v76, 0, s2
	v_add_nc_u32_e32 v8, v76, v8
	s_delay_alu instid0(VALU_DEP_1) | instskip(NEXT) | instid1(VALU_DEP_1)
	v_add_nc_u32_e32 v9, v8, v9
	v_add_nc_u32_e32 v6, v9, v6
	s_delay_alu instid0(VALU_DEP_1) | instskip(NEXT) | instid1(VALU_DEP_1)
	v_add_nc_u32_e32 v7, v6, v7
	;; [unrolled: 3-line block ×3, first 2 shown]
	v_add_nc_u32_e32 v2, v5, v2
	s_delay_alu instid0(VALU_DEP_1)
	v_add_nc_u32_e32 v3, v2, v3
	ds_store_2addr_b32 v30, v76, v8 offset0:32 offset1:33
	ds_store_2addr_b32 v30, v9, v6 offset0:34 offset1:35
	;; [unrolled: 1-line block ×4, first 2 shown]
	ds_store_b32 v30, v3 offset:160
	s_wait_loadcnt_dscnt 0x0
	s_barrier_signal -1
	s_barrier_wait -1
	global_inv scope:SCOPE_SE
	ds_load_b32 v8, v34 offset:128
	ds_load_b32 v9, v39 offset:128
	;; [unrolled: 1-line block ×16, first 2 shown]
                                        ; implicit-def: $vgpr39
                                        ; implicit-def: $vgpr42
	s_and_saveexec_b32 s21, vcc_lo
	s_cbranch_execz .LBB190_79
; %bb.76:
	v_mul_u32_u24_e32 v2, 0x84, v1
	v_add_nc_u32_e32 v3, 1, v1
	s_mov_b32 s22, exec_lo
	ds_load_b32 v39, v2 offset:128
	v_mov_b32_e32 v2, 0x4000
	v_cmpx_ne_u32_e32 0x100, v3
; %bb.77:
	v_mul_u32_u24_e32 v2, 0x84, v3
	ds_load_b32 v2, v2 offset:128
; %bb.78:
	s_wait_alu 0xfffe
	s_or_b32 exec_lo, exec_lo, s22
	s_wait_dscnt 0x0
	v_sub_nc_u32_e32 v42, v2, v39
.LBB190_79:
	s_wait_alu 0xfffe
	s_or_b32 exec_lo, exec_lo, s21
	v_mov_b32_e32 v3, 0
	v_lshlrev_b32_e32 v45, 2, v1
	s_wait_loadcnt_dscnt 0x0
	s_barrier_signal -1
	s_barrier_wait -1
	global_inv scope:SCOPE_SE
	s_and_saveexec_b32 s20, vcc_lo
	s_cbranch_execz .LBB190_89
; %bb.80:
	v_lshl_add_u32 v2, s25, 8, v1
	v_mov_b32_e32 v69, 0
	s_mov_b32 s21, 0
	s_mov_b32 s22, s25
                                        ; implicit-def: $sgpr23
	s_delay_alu instid0(VALU_DEP_2) | instskip(SKIP_1) | instid1(VALU_DEP_2)
	v_lshlrev_b64_e32 v[4:5], 2, v[2:3]
	v_or_b32_e32 v2, 2.0, v42
	v_add_co_u32 v4, vcc_lo, s26, v4
	s_wait_alu 0xfffd
	s_delay_alu instid0(VALU_DEP_3)
	v_add_co_ci_u32_e64 v5, null, s27, v5, vcc_lo
	global_store_b32 v[4:5], v2, off scope:SCOPE_DEV
	s_branch .LBB190_83
.LBB190_81:                             ;   in Loop: Header=BB190_83 Depth=1
	s_or_b32 exec_lo, exec_lo, s24
.LBB190_82:                             ;   in Loop: Header=BB190_83 Depth=1
	s_delay_alu instid0(SALU_CYCLE_1) | instskip(SKIP_2) | instid1(VALU_DEP_2)
	s_or_b32 exec_lo, exec_lo, s23
	v_and_b32_e32 v6, 0x3fffffff, v2
	v_cmp_gt_i32_e64 s23, -2.0, v2
	v_add_nc_u32_e32 v69, v6, v69
	s_and_b32 s24, exec_lo, s23
	s_wait_alu 0xfffe
	s_or_b32 s21, s24, s21
	s_wait_alu 0xfffe
	s_and_not1_b32 exec_lo, exec_lo, s21
	s_cbranch_execz .LBB190_88
.LBB190_83:                             ; =>This Loop Header: Depth=1
                                        ;     Child Loop BB190_86 Depth 2
	s_or_b32 s23, s23, exec_lo
	s_wait_alu 0xfffe
	s_cmp_eq_u32 s22, 0
	s_cbranch_scc1 .LBB190_87
; %bb.84:                               ;   in Loop: Header=BB190_83 Depth=1
	s_add_co_i32 s22, s22, -1
	s_mov_b32 s23, exec_lo
	s_wait_alu 0xfffe
	v_lshl_or_b32 v2, s22, 8, v1
	s_delay_alu instid0(VALU_DEP_1) | instskip(NEXT) | instid1(VALU_DEP_1)
	v_lshlrev_b64_e32 v[6:7], 2, v[2:3]
	v_add_co_u32 v6, vcc_lo, s26, v6
	s_wait_alu 0xfffd
	s_delay_alu instid0(VALU_DEP_2)
	v_add_co_ci_u32_e64 v7, null, s27, v7, vcc_lo
	global_load_b32 v2, v[6:7], off scope:SCOPE_DEV
	s_wait_loadcnt 0x0
	v_cmpx_gt_u32_e32 2.0, v2
	s_cbranch_execz .LBB190_82
; %bb.85:                               ;   in Loop: Header=BB190_83 Depth=1
	s_mov_b32 s24, 0
.LBB190_86:                             ;   Parent Loop BB190_83 Depth=1
                                        ; =>  This Inner Loop Header: Depth=2
	global_load_b32 v2, v[6:7], off scope:SCOPE_DEV
	s_wait_loadcnt 0x0
	v_cmp_lt_u32_e32 vcc_lo, 0x3fffffff, v2
	s_wait_alu 0xfffe
	s_or_b32 s24, vcc_lo, s24
	s_wait_alu 0xfffe
	s_and_not1_b32 exec_lo, exec_lo, s24
	s_cbranch_execnz .LBB190_86
	s_branch .LBB190_81
.LBB190_87:                             ;   in Loop: Header=BB190_83 Depth=1
                                        ; implicit-def: $sgpr22
	s_and_b32 s24, exec_lo, s23
	s_wait_alu 0xfffe
	s_or_b32 s21, s24, s21
	s_wait_alu 0xfffe
	s_and_not1_b32 exec_lo, exec_lo, s21
	s_cbranch_execnz .LBB190_83
.LBB190_88:
	s_or_b32 exec_lo, exec_lo, s21
	v_add_nc_u32_e32 v2, v69, v42
	v_sub_nc_u32_e32 v3, v69, v39
	s_delay_alu instid0(VALU_DEP_2)
	v_or_b32_e32 v2, 0x80000000, v2
	global_store_b32 v[4:5], v2, off scope:SCOPE_DEV
	global_load_b32 v2, v45, s[28:29]
	s_wait_loadcnt 0x0
	v_add_nc_u32_e32 v2, v3, v2
	ds_store_b32 v45, v2
.LBB190_89:
	s_wait_alu 0xfffe
	s_or_b32 exec_lo, exec_lo, s20
	v_dual_mov_b32 v3, 0 :: v_dual_add_nc_u32 v48, v48, v27
	v_add3_u32 v51, v74, v51, v73
	v_add3_u32 v54, v71, v54, v70
	;; [unrolled: 1-line block ×15, first 2 shown]
	v_mov_b32_e32 v4, v1
	s_mov_b32 s20, 32
	s_mov_b32 s23, 0
	s_mov_b32 s22, -1
	s_mov_b32 s21, 0
	s_branch .LBB190_91
.LBB190_90:                             ;   in Loop: Header=BB190_91 Depth=1
	s_wait_alu 0xfffe
	s_or_b32 exec_lo, exec_lo, s24
	v_add_nc_u32_e32 v4, 0x2000, v4
	s_xor_b32 s23, s22, -1
	s_addk_co_i32 s21, 0xe000
	s_mov_b32 s22, 0
	s_wait_alu 0xfffe
	s_and_b32 vcc_lo, exec_lo, s23
	s_mov_b32 s23, s20
	s_wait_loadcnt 0x0
	s_wait_storecnt 0x0
	s_barrier_signal -1
	s_barrier_wait -1
	global_inv scope:SCOPE_SE
	s_wait_alu 0xfffe
	s_cbranch_vccnz .LBB190_107
.LBB190_91:                             ; =>This Inner Loop Header: Depth=1
	s_wait_alu 0xfffe
	v_add_nc_u32_e32 v2, s21, v48
	v_add_nc_u32_e32 v5, s21, v44
	;; [unrolled: 1-line block ×5, first 2 shown]
	v_min_u32_e32 v2, 0x2000, v2
	v_add_nc_u32_e32 v9, s21, v43
	v_min_u32_e32 v5, 0x2000, v5
	v_min_u32_e32 v6, 0x2000, v6
	;; [unrolled: 1-line block ×3, first 2 shown]
	v_lshlrev_b32_e32 v2, 2, v2
	v_min_u32_e32 v8, 0x2000, v8
	v_min_u32_e32 v9, 0x2000, v9
	v_lshlrev_b32_e32 v5, 2, v5
	v_lshlrev_b32_e32 v6, 2, v6
	ds_store_b32 v2, v12 offset:1024
	v_lshlrev_b32_e32 v2, 2, v7
	v_lshlrev_b32_e32 v7, 2, v8
	;; [unrolled: 1-line block ×3, first 2 shown]
	ds_store_b32 v5, v11 offset:1024
	ds_store_b32 v6, v14 offset:1024
	;; [unrolled: 1-line block ×5, first 2 shown]
	v_add_nc_u32_e32 v2, s21, v46
	v_add_nc_u32_e32 v5, s21, v49
	;; [unrolled: 1-line block ×5, first 2 shown]
	v_min_u32_e32 v2, 0x2000, v2
	v_min_u32_e32 v5, 0x2000, v5
	;; [unrolled: 1-line block ×5, first 2 shown]
	v_lshlrev_b32_e32 v2, 2, v2
	v_lshlrev_b32_e32 v5, 2, v5
	;; [unrolled: 1-line block ×5, first 2 shown]
	ds_store_b32 v2, v18 offset:1024
	ds_store_b32 v5, v17 offset:1024
	;; [unrolled: 1-line block ×5, first 2 shown]
	v_add_nc_u32_e32 v2, s21, v61
	v_add_nc_u32_e32 v5, s21, v60
	;; [unrolled: 1-line block ×5, first 2 shown]
	v_min_u32_e32 v2, 0x2000, v2
	v_min_u32_e32 v5, 0x2000, v5
	;; [unrolled: 1-line block ×5, first 2 shown]
	v_lshlrev_b32_e32 v2, 2, v2
	v_lshlrev_b32_e32 v5, 2, v5
	;; [unrolled: 1-line block ×4, first 2 shown]
	s_mov_b32 s24, exec_lo
	v_lshlrev_b32_e32 v8, 2, v8
	ds_store_b32 v2, v21 offset:1024
	ds_store_b32 v5, v24 offset:1024
	;; [unrolled: 1-line block ×5, first 2 shown]
	s_wait_storecnt 0x0
	s_wait_loadcnt_dscnt 0x0
	s_barrier_signal -1
	s_barrier_wait -1
	global_inv scope:SCOPE_SE
	v_cmpx_gt_u32_e64 s33, v4
	s_cbranch_execz .LBB190_93
; %bb.92:                               ;   in Loop: Header=BB190_91 Depth=1
	ds_load_b32 v7, v45 offset:1024
	s_wait_dscnt 0x0
	v_lshrrev_b32_e32 v2, s44, v7
	s_delay_alu instid0(VALU_DEP_1) | instskip(NEXT) | instid1(VALU_DEP_1)
	v_and_b32_e32 v8, s49, v2
	v_lshlrev_b32_e32 v2, 2, v8
	ds_load_b32 v2, v2
	s_wait_dscnt 0x0
	v_add_nc_u32_e32 v2, v4, v2
	s_delay_alu instid0(VALU_DEP_1) | instskip(NEXT) | instid1(VALU_DEP_1)
	v_lshlrev_b64_e32 v[5:6], 2, v[2:3]
	v_add_co_u32 v5, vcc_lo, s38, v5
	s_wait_alu 0xfffd
	s_delay_alu instid0(VALU_DEP_2)
	v_add_co_ci_u32_e64 v6, null, s39, v6, vcc_lo
	global_store_b32 v[5:6], v7, off
	scratch_store_b32 off, v8, s23
.LBB190_93:                             ;   in Loop: Header=BB190_91 Depth=1
	s_wait_alu 0xfffe
	s_or_b32 exec_lo, exec_lo, s24
	v_add_nc_u32_e32 v2, 0x400, v4
	s_mov_b32 s24, exec_lo
	s_delay_alu instid0(VALU_DEP_1)
	v_cmpx_gt_u32_e64 s33, v2
	s_cbranch_execz .LBB190_95
; %bb.94:                               ;   in Loop: Header=BB190_91 Depth=1
	ds_load_b32 v7, v45 offset:5120
	s_wait_dscnt 0x0
	v_lshrrev_b32_e32 v2, s44, v7
	s_delay_alu instid0(VALU_DEP_1) | instskip(NEXT) | instid1(VALU_DEP_1)
	v_and_b32_e32 v8, s49, v2
	v_lshlrev_b32_e32 v2, 2, v8
	ds_load_b32 v2, v2
	s_wait_dscnt 0x0
	v_add3_u32 v2, v4, v2, 0x400
	s_delay_alu instid0(VALU_DEP_1) | instskip(NEXT) | instid1(VALU_DEP_1)
	v_lshlrev_b64_e32 v[5:6], 2, v[2:3]
	v_add_co_u32 v5, vcc_lo, s38, v5
	s_wait_alu 0xfffd
	s_delay_alu instid0(VALU_DEP_2)
	v_add_co_ci_u32_e64 v6, null, s39, v6, vcc_lo
	global_store_b32 v[5:6], v7, off
	scratch_store_b32 off, v8, s23 offset:4
.LBB190_95:                             ;   in Loop: Header=BB190_91 Depth=1
	s_wait_alu 0xfffe
	s_or_b32 exec_lo, exec_lo, s24
	v_add_nc_u32_e32 v2, 0x800, v4
	s_mov_b32 s24, exec_lo
	s_delay_alu instid0(VALU_DEP_1)
	v_cmpx_gt_u32_e64 s33, v2
	s_cbranch_execz .LBB190_97
; %bb.96:                               ;   in Loop: Header=BB190_91 Depth=1
	ds_load_b32 v7, v45 offset:9216
	s_wait_dscnt 0x0
	v_lshrrev_b32_e32 v2, s44, v7
	s_delay_alu instid0(VALU_DEP_1) | instskip(NEXT) | instid1(VALU_DEP_1)
	v_and_b32_e32 v8, s49, v2
	v_lshlrev_b32_e32 v2, 2, v8
	ds_load_b32 v2, v2
	s_wait_dscnt 0x0
	v_add3_u32 v2, v4, v2, 0x800
	s_delay_alu instid0(VALU_DEP_1) | instskip(NEXT) | instid1(VALU_DEP_1)
	v_lshlrev_b64_e32 v[5:6], 2, v[2:3]
	v_add_co_u32 v5, vcc_lo, s38, v5
	s_wait_alu 0xfffd
	s_delay_alu instid0(VALU_DEP_2)
	v_add_co_ci_u32_e64 v6, null, s39, v6, vcc_lo
	global_store_b32 v[5:6], v7, off
	scratch_store_b32 off, v8, s23 offset:8
.LBB190_97:                             ;   in Loop: Header=BB190_91 Depth=1
	;; [unrolled: 26-line block ×3, first 2 shown]
	s_wait_alu 0xfffe
	s_or_b32 exec_lo, exec_lo, s24
	v_add_nc_u32_e32 v2, 0x1000, v4
	s_mov_b32 s24, exec_lo
	s_delay_alu instid0(VALU_DEP_1)
	v_cmpx_gt_u32_e64 s33, v2
	s_cbranch_execz .LBB190_101
; %bb.100:                              ;   in Loop: Header=BB190_91 Depth=1
	ds_load_b32 v7, v45 offset:17408
	s_wait_dscnt 0x0
	v_lshrrev_b32_e32 v2, s44, v7
	s_delay_alu instid0(VALU_DEP_1) | instskip(NEXT) | instid1(VALU_DEP_1)
	v_and_b32_e32 v8, s49, v2
	v_lshlrev_b32_e32 v2, 2, v8
	ds_load_b32 v2, v2
	s_wait_dscnt 0x0
	v_add3_u32 v2, v4, v2, 0x1000
	s_delay_alu instid0(VALU_DEP_1) | instskip(NEXT) | instid1(VALU_DEP_1)
	v_lshlrev_b64_e32 v[5:6], 2, v[2:3]
	v_add_co_u32 v5, vcc_lo, s38, v5
	s_wait_alu 0xfffd
	s_delay_alu instid0(VALU_DEP_2)
	v_add_co_ci_u32_e64 v6, null, s39, v6, vcc_lo
	global_store_b32 v[5:6], v7, off
	scratch_store_b32 off, v8, s23 offset:16
.LBB190_101:                            ;   in Loop: Header=BB190_91 Depth=1
	s_wait_alu 0xfffe
	s_or_b32 exec_lo, exec_lo, s24
	v_add_nc_u32_e32 v2, 0x1400, v4
	s_mov_b32 s24, exec_lo
	s_delay_alu instid0(VALU_DEP_1)
	v_cmpx_gt_u32_e64 s33, v2
	s_cbranch_execz .LBB190_103
; %bb.102:                              ;   in Loop: Header=BB190_91 Depth=1
	ds_load_b32 v7, v45 offset:21504
	s_wait_dscnt 0x0
	v_lshrrev_b32_e32 v2, s44, v7
	s_delay_alu instid0(VALU_DEP_1) | instskip(NEXT) | instid1(VALU_DEP_1)
	v_and_b32_e32 v8, s49, v2
	v_lshlrev_b32_e32 v2, 2, v8
	ds_load_b32 v2, v2
	s_wait_dscnt 0x0
	v_add3_u32 v2, v4, v2, 0x1400
	s_delay_alu instid0(VALU_DEP_1) | instskip(NEXT) | instid1(VALU_DEP_1)
	v_lshlrev_b64_e32 v[5:6], 2, v[2:3]
	v_add_co_u32 v5, vcc_lo, s38, v5
	s_wait_alu 0xfffd
	s_delay_alu instid0(VALU_DEP_2)
	v_add_co_ci_u32_e64 v6, null, s39, v6, vcc_lo
	global_store_b32 v[5:6], v7, off
	scratch_store_b32 off, v8, s23 offset:20
.LBB190_103:                            ;   in Loop: Header=BB190_91 Depth=1
	;; [unrolled: 26-line block ×3, first 2 shown]
	s_wait_alu 0xfffe
	s_or_b32 exec_lo, exec_lo, s24
	v_add_nc_u32_e32 v2, 0x1c00, v4
	s_mov_b32 s24, exec_lo
	s_delay_alu instid0(VALU_DEP_1)
	v_cmpx_gt_u32_e64 s33, v2
	s_cbranch_execz .LBB190_90
; %bb.106:                              ;   in Loop: Header=BB190_91 Depth=1
	ds_load_b32 v7, v45 offset:29696
	s_wait_dscnt 0x0
	v_lshrrev_b32_e32 v2, s44, v7
	s_delay_alu instid0(VALU_DEP_1) | instskip(NEXT) | instid1(VALU_DEP_1)
	v_and_b32_e32 v8, s49, v2
	v_lshlrev_b32_e32 v2, 2, v8
	ds_load_b32 v2, v2
	s_wait_dscnt 0x0
	v_add3_u32 v2, v4, v2, 0x1c00
	s_delay_alu instid0(VALU_DEP_1) | instskip(NEXT) | instid1(VALU_DEP_1)
	v_lshlrev_b64_e32 v[5:6], 2, v[2:3]
	v_add_co_u32 v5, vcc_lo, s38, v5
	s_wait_alu 0xfffd
	s_delay_alu instid0(VALU_DEP_2)
	v_add_co_ci_u32_e64 v6, null, s39, v6, vcc_lo
	global_store_b32 v[5:6], v7, off
	scratch_store_b32 off, v8, s23 offset:28
	s_branch .LBB190_90
.LBB190_107:
	v_dual_mov_b32 v3, 0 :: v_dual_lshlrev_b32 v2, 3, v36
	s_lshl_b64 s[20:21], s[46:47], 3
	v_lshlrev_b32_e32 v4, 3, v10
	s_wait_alu 0xfffe
	s_add_nc_u64 s[20:21], s[40:41], s[20:21]
	s_wait_alu 0xfffe
	v_add_co_u32 v2, s20, s20, v2
	s_wait_alu 0xf1ff
	v_add_co_ci_u32_e64 v5, null, s21, 0, s20
	s_delay_alu instid0(VALU_DEP_2) | instskip(SKIP_1) | instid1(VALU_DEP_2)
	v_add_co_u32 v34, vcc_lo, v2, v4
	s_wait_alu 0xfffd
	v_add_co_ci_u32_e64 v35, null, 0, v5, vcc_lo
	v_dual_mov_b32 v5, 0 :: v_dual_mov_b32 v4, 0
	s_and_saveexec_b32 s20, s18
	s_cbranch_execz .LBB190_109
; %bb.108:
	global_load_b64 v[4:5], v[34:35], off
.LBB190_109:
	s_wait_alu 0xfffe
	s_or_b32 exec_lo, exec_lo, s20
	v_mov_b32_e32 v2, 0
	s_and_saveexec_b32 s18, s17
	s_cbranch_execz .LBB190_111
; %bb.110:
	global_load_b64 v[2:3], v[34:35], off offset:256
.LBB190_111:
	s_wait_alu 0xfffe
	s_or_b32 exec_lo, exec_lo, s18
	v_dual_mov_b32 v7, 0 :: v_dual_mov_b32 v8, 0
	v_mov_b32_e32 v9, 0
	s_and_saveexec_b32 s17, s16
	s_cbranch_execz .LBB190_113
; %bb.112:
	global_load_b64 v[8:9], v[34:35], off offset:512
.LBB190_113:
	s_or_b32 exec_lo, exec_lo, s17
	v_mov_b32_e32 v6, 0
	s_and_saveexec_b32 s16, s15
	s_cbranch_execz .LBB190_115
; %bb.114:
	global_load_b64 v[6:7], v[34:35], off offset:768
.LBB190_115:
	s_or_b32 exec_lo, exec_lo, s16
	v_dual_mov_b32 v11, 0 :: v_dual_mov_b32 v12, 0
	v_mov_b32_e32 v13, 0
	s_and_saveexec_b32 s15, s14
	s_cbranch_execz .LBB190_117
; %bb.116:
	global_load_b64 v[12:13], v[34:35], off offset:1024
.LBB190_117:
	s_or_b32 exec_lo, exec_lo, s15
	v_mov_b32_e32 v10, 0
	s_and_saveexec_b32 s14, s13
	s_cbranch_execz .LBB190_119
; %bb.118:
	global_load_b64 v[10:11], v[34:35], off offset:1280
.LBB190_119:
	;; [unrolled: 15-line block ×6, first 2 shown]
	s_or_b32 exec_lo, exec_lo, s6
	v_dual_mov_b32 v31, 0 :: v_dual_mov_b32 v32, 0
	v_mov_b32_e32 v33, 0
	s_and_saveexec_b32 s5, s4
	s_cbranch_execz .LBB190_137
; %bb.136:
	global_load_b64 v[32:33], v[34:35], off offset:3584
.LBB190_137:
	s_wait_alu 0xfffe
	s_or_b32 exec_lo, exec_lo, s5
	v_mov_b32_e32 v30, 0
	s_and_saveexec_b32 s4, s3
	s_cbranch_execz .LBB190_139
; %bb.138:
	global_load_b64 v[30:31], v[34:35], off offset:3840
.LBB190_139:
	s_wait_alu 0xfffe
	s_or_b32 exec_lo, exec_lo, s4
	v_dual_mov_b32 v50, v1 :: v_dual_lshlrev_b32 v47, 3, v1
	v_mov_b32_e32 v35, 0
	s_or_b32 s3, 0, 8
	s_mov_b32 s4, 0
	s_branch .LBB190_141
.LBB190_140:                            ;   in Loop: Header=BB190_141 Depth=1
	s_wait_alu 0xfffe
	s_or_b32 exec_lo, exec_lo, s5
	v_add_nc_u32_e32 v50, 0x1000, v50
	s_addk_co_i32 s4, 0xf000
	s_add_co_i32 s3, s3, 16
	s_wait_alu 0xfffe
	s_cmp_eq_u32 s4, 0xffffc000
	s_wait_loadcnt 0x0
	s_wait_storecnt 0x0
	s_barrier_signal -1
	s_barrier_wait -1
	global_inv scope:SCOPE_SE
	s_cbranch_scc1 .LBB190_149
.LBB190_141:                            ; =>This Inner Loop Header: Depth=1
	s_wait_alu 0xfffe
	v_add_nc_u32_e32 v34, s4, v48
	v_add_nc_u32_e32 v53, s4, v44
	;; [unrolled: 1-line block ×5, first 2 shown]
	v_min_u32_e32 v34, 0x1000, v34
	v_add_nc_u32_e32 v63, s4, v43
	v_min_u32_e32 v53, 0x1000, v53
	v_min_u32_e32 v56, 0x1000, v56
	;; [unrolled: 1-line block ×3, first 2 shown]
	v_lshlrev_b32_e32 v34, 3, v34
	v_min_u32_e32 v62, 0x1000, v62
	v_min_u32_e32 v63, 0x1000, v63
	v_lshlrev_b32_e32 v53, 3, v53
	v_lshlrev_b32_e32 v56, 3, v56
	s_wait_loadcnt 0x0
	ds_store_b64 v34, v[4:5] offset:1024
	v_lshlrev_b32_e32 v34, 3, v59
	v_lshlrev_b32_e32 v59, 3, v62
	;; [unrolled: 1-line block ×3, first 2 shown]
	ds_store_b64 v53, v[2:3] offset:1024
	ds_store_b64 v56, v[8:9] offset:1024
	ds_store_b64 v34, v[6:7] offset:1024
	ds_store_b64 v59, v[12:13] offset:1024
	ds_store_b64 v62, v[10:11] offset:1024
	v_add_nc_u32_e32 v34, s4, v46
	v_add_nc_u32_e32 v53, s4, v49
	;; [unrolled: 1-line block ×5, first 2 shown]
	v_min_u32_e32 v34, 0x1000, v34
	v_min_u32_e32 v53, 0x1000, v53
	;; [unrolled: 1-line block ×5, first 2 shown]
	v_lshlrev_b32_e32 v34, 3, v34
	v_lshlrev_b32_e32 v53, 3, v53
	;; [unrolled: 1-line block ×5, first 2 shown]
	ds_store_b64 v34, v[16:17] offset:1024
	ds_store_b64 v53, v[14:15] offset:1024
	;; [unrolled: 1-line block ×5, first 2 shown]
	v_add_nc_u32_e32 v34, s4, v61
	v_add_nc_u32_e32 v53, s4, v60
	;; [unrolled: 1-line block ×5, first 2 shown]
	v_min_u32_e32 v34, 0x1000, v34
	v_min_u32_e32 v53, 0x1000, v53
	;; [unrolled: 1-line block ×5, first 2 shown]
	v_lshlrev_b32_e32 v34, 3, v34
	v_lshlrev_b32_e32 v53, 3, v53
	;; [unrolled: 1-line block ×4, first 2 shown]
	s_mov_b32 s5, exec_lo
	v_lshlrev_b32_e32 v62, 3, v62
	ds_store_b64 v34, v[22:23] offset:1024
	ds_store_b64 v53, v[28:29] offset:1024
	;; [unrolled: 1-line block ×5, first 2 shown]
	s_wait_dscnt 0x0
	s_barrier_signal -1
	s_barrier_wait -1
	global_inv scope:SCOPE_SE
	v_cmpx_gt_u32_e64 s33, v50
	s_cbranch_execz .LBB190_143
; %bb.142:                              ;   in Loop: Header=BB190_141 Depth=1
	scratch_load_b32 v34, off, s3 offset:-8
	s_wait_loadcnt 0x0
	v_lshlrev_b32_e32 v34, 2, v34
	ds_load_b32 v34, v34
	ds_load_b64 v[62:63], v47 offset:1024
	s_wait_dscnt 0x1
	v_add_nc_u32_e32 v34, v50, v34
	s_delay_alu instid0(VALU_DEP_1) | instskip(NEXT) | instid1(VALU_DEP_1)
	v_lshlrev_b64_e32 v[64:65], 3, v[34:35]
	v_add_co_u32 v64, vcc_lo, s42, v64
	s_wait_alu 0xfffd
	s_delay_alu instid0(VALU_DEP_2)
	v_add_co_ci_u32_e64 v65, null, s43, v65, vcc_lo
	s_wait_dscnt 0x0
	global_store_b64 v[64:65], v[62:63], off
.LBB190_143:                            ;   in Loop: Header=BB190_141 Depth=1
	s_wait_alu 0xfffe
	s_or_b32 exec_lo, exec_lo, s5
	v_add_nc_u32_e32 v34, 0x400, v50
	s_mov_b32 s5, exec_lo
	s_delay_alu instid0(VALU_DEP_1)
	v_cmpx_gt_u32_e64 s33, v34
	s_cbranch_execz .LBB190_145
; %bb.144:                              ;   in Loop: Header=BB190_141 Depth=1
	scratch_load_b32 v34, off, s3 offset:-4
	s_wait_loadcnt 0x0
	v_lshlrev_b32_e32 v34, 2, v34
	ds_load_b32 v34, v34
	ds_load_b64 v[62:63], v47 offset:9216
	s_wait_dscnt 0x1
	v_add3_u32 v34, v50, v34, 0x400
	s_delay_alu instid0(VALU_DEP_1) | instskip(NEXT) | instid1(VALU_DEP_1)
	v_lshlrev_b64_e32 v[64:65], 3, v[34:35]
	v_add_co_u32 v64, vcc_lo, s42, v64
	s_wait_alu 0xfffd
	s_delay_alu instid0(VALU_DEP_2)
	v_add_co_ci_u32_e64 v65, null, s43, v65, vcc_lo
	s_wait_dscnt 0x0
	global_store_b64 v[64:65], v[62:63], off
.LBB190_145:                            ;   in Loop: Header=BB190_141 Depth=1
	s_wait_alu 0xfffe
	s_or_b32 exec_lo, exec_lo, s5
	v_add_nc_u32_e32 v34, 0x800, v50
	s_mov_b32 s5, exec_lo
	s_delay_alu instid0(VALU_DEP_1)
	v_cmpx_gt_u32_e64 s33, v34
	s_cbranch_execz .LBB190_147
; %bb.146:                              ;   in Loop: Header=BB190_141 Depth=1
	scratch_load_b32 v34, off, s3
	s_wait_loadcnt 0x0
	v_lshlrev_b32_e32 v34, 2, v34
	ds_load_b32 v34, v34
	ds_load_b64 v[62:63], v47 offset:17408
	s_wait_dscnt 0x1
	v_add3_u32 v34, v50, v34, 0x800
	s_delay_alu instid0(VALU_DEP_1) | instskip(NEXT) | instid1(VALU_DEP_1)
	v_lshlrev_b64_e32 v[64:65], 3, v[34:35]
	v_add_co_u32 v64, vcc_lo, s42, v64
	s_wait_alu 0xfffd
	s_delay_alu instid0(VALU_DEP_2)
	v_add_co_ci_u32_e64 v65, null, s43, v65, vcc_lo
	s_wait_dscnt 0x0
	global_store_b64 v[64:65], v[62:63], off
.LBB190_147:                            ;   in Loop: Header=BB190_141 Depth=1
	s_wait_alu 0xfffe
	s_or_b32 exec_lo, exec_lo, s5
	v_add_nc_u32_e32 v34, 0xc00, v50
	s_mov_b32 s5, exec_lo
	s_delay_alu instid0(VALU_DEP_1)
	v_cmpx_gt_u32_e64 s33, v34
	s_cbranch_execz .LBB190_140
; %bb.148:                              ;   in Loop: Header=BB190_141 Depth=1
	scratch_load_b32 v34, off, s3 offset:4
	s_wait_loadcnt 0x0
	v_lshlrev_b32_e32 v34, 2, v34
	ds_load_b32 v34, v34
	ds_load_b64 v[62:63], v47 offset:25600
	s_wait_dscnt 0x1
	v_add3_u32 v34, v50, v34, 0xc00
	s_delay_alu instid0(VALU_DEP_1) | instskip(NEXT) | instid1(VALU_DEP_1)
	v_lshlrev_b64_e32 v[64:65], 3, v[34:35]
	v_add_co_u32 v64, vcc_lo, s42, v64
	s_wait_alu 0xfffd
	s_delay_alu instid0(VALU_DEP_2)
	v_add_co_ci_u32_e64 v65, null, s43, v65, vcc_lo
	s_wait_dscnt 0x0
	global_store_b64 v[64:65], v[62:63], off
	s_branch .LBB190_140
.LBB190_149:
	s_add_co_i32 s48, s48, -1
	s_wait_alu 0xfffe
	s_cmp_eq_u32 s25, s48
	s_cselect_b32 s3, -1, 0
	s_xor_b32 s4, s19, -1
	s_wait_alu 0xfffe
	s_and_b32 s4, s4, s3
	s_wait_alu 0xfffe
	s_and_saveexec_b32 s3, s4
	s_cbranch_execz .LBB190_151
; %bb.150:
	ds_load_b32 v2, v45
	s_wait_dscnt 0x0
	v_add3_u32 v2, v39, v42, v2
	global_store_b32 v45, v2, s[30:31]
.LBB190_151:
	s_wait_alu 0xfffe
	s_or_b32 exec_lo, exec_lo, s3
	s_mov_b32 s4, 0
.LBB190_152:
	s_wait_alu 0xfffe
	s_and_b32 vcc_lo, exec_lo, s4
	s_wait_alu 0xfffe
	s_cbranch_vccz .LBB190_211
; %bb.153:
	s_lshl_b32 s8, s25, 14
	s_mov_b32 s9, 0
	v_and_b32_e32 v10, 0x3e00, v37
	v_lshlrev_b32_e32 v2, 2, v36
	s_lshl_b64 s[4:5], s[8:9], 2
	s_wait_alu 0xfffe
	s_add_nc_u64 s[4:5], s[36:37], s[4:5]
	v_lshlrev_b32_e32 v3, 2, v10
	s_wait_alu 0xfffe
	v_add_co_u32 v2, s3, s4, v2
	s_wait_alu 0xf1ff
	v_add_co_ci_u32_e64 v4, null, s5, 0, s3
	s_delay_alu instid0(VALU_DEP_2) | instskip(SKIP_1) | instid1(VALU_DEP_2)
	v_add_co_u32 v2, vcc_lo, v2, v3
	s_wait_alu 0xfffd
	v_add_co_ci_u32_e64 v3, null, 0, v4, vcc_lo
	s_clause 0xf
	global_load_b32 v11, v[2:3], off
	global_load_b32 v12, v[2:3], off offset:128
	global_load_b32 v13, v[2:3], off offset:256
	;; [unrolled: 1-line block ×15, first 2 shown]
	s_clause 0x1
	s_load_b32 s7, s[0:1], 0x58
	s_load_u16 s3, s[0:1], 0x66
	s_wait_kmcnt 0x0
	s_cmp_lt_u32 ttmp9, s7
	s_cselect_b32 s0, 12, 18
	s_lshl_b32 s1, -1, s45
	s_delay_alu instid0(SALU_CYCLE_1) | instskip(SKIP_1) | instid1(SALU_CYCLE_1)
	s_not_b32 s10, s1
	s_mov_b32 s1, s9
	s_add_nc_u64 s[0:1], s[34:35], s[0:1]
	s_load_u16 s1, s[0:1], 0x0
	s_wait_loadcnt 0xf
	v_lshrrev_b32_e32 v2, s44, v11
	s_delay_alu instid0(VALU_DEP_1) | instskip(SKIP_2) | instid1(VALU_DEP_3)
	v_and_b32_e32 v4, s10, v2
	v_bfe_u32 v2, v0, 10, 10
	v_bfe_u32 v0, v0, 20, 10
	v_and_b32_e32 v3, 1, v4
	v_lshlrev_b32_e32 v5, 30, v4
	v_lshlrev_b32_e32 v6, 29, v4
	v_lshlrev_b32_e32 v7, 28, v4
	v_lshlrev_b32_e32 v9, 27, v4
	v_add_co_u32 v3, s0, v3, -1
	s_delay_alu instid0(VALU_DEP_1)
	v_cndmask_b32_e64 v8, 0, 1, s0
	v_not_b32_e32 v29, v5
	v_cmp_gt_i32_e64 s0, 0, v5
	v_not_b32_e32 v5, v6
	v_lshlrev_b32_e32 v27, 26, v4
	v_cmp_ne_u32_e32 vcc_lo, 0, v8
	v_ashrrev_i32_e32 v29, 31, v29
	v_lshlrev_b32_e32 v28, 25, v4
	v_ashrrev_i32_e32 v5, 31, v5
	v_lshlrev_b32_e32 v8, 24, v4
	s_wait_alu 0xfffd
	v_xor_b32_e32 v3, vcc_lo, v3
	v_cmp_gt_i32_e32 vcc_lo, 0, v6
	v_not_b32_e32 v6, v7
	s_wait_alu 0xf1ff
	v_xor_b32_e32 v29, s0, v29
	v_cmp_gt_i32_e64 s0, 0, v7
	v_and_b32_e32 v3, exec_lo, v3
	v_not_b32_e32 v7, v9
	v_ashrrev_i32_e32 v6, 31, v6
	s_wait_alu 0xfffd
	v_xor_b32_e32 v5, vcc_lo, v5
	v_cmp_gt_i32_e32 vcc_lo, 0, v9
	v_and_b32_e32 v3, v3, v29
	v_not_b32_e32 v9, v27
	v_ashrrev_i32_e32 v7, 31, v7
	s_wait_alu 0xf1ff
	v_xor_b32_e32 v6, s0, v6
	v_cmp_gt_i32_e64 s0, 0, v27
	v_and_b32_e32 v3, v3, v5
	v_not_b32_e32 v5, v28
	v_ashrrev_i32_e32 v9, 31, v9
	s_wait_alu 0xfffd
	v_xor_b32_e32 v7, vcc_lo, v7
	v_cmp_gt_i32_e32 vcc_lo, 0, v28
	v_and_b32_e32 v3, v3, v6
	v_ashrrev_i32_e32 v5, 31, v5
	s_wait_alu 0xf1ff
	v_xor_b32_e32 v9, s0, v9
	v_not_b32_e32 v6, v8
	v_mad_u32_u24 v0, v0, s3, v2
	v_and_b32_e32 v3, v3, v7
	s_wait_alu 0xfffd
	v_xor_b32_e32 v5, vcc_lo, v5
	v_cmp_gt_i32_e64 s0, 0, v8
	v_ashrrev_i32_e32 v6, 31, v6
	v_mul_lo_u32 v4, 0x84, v4
	v_and_b32_e32 v3, v3, v9
	v_mul_u32_u24_e32 v29, 36, v1
	v_mov_b32_e32 v7, 0
	s_wait_alu 0xf1ff
	v_xor_b32_e32 v6, s0, v6
	ds_store_2addr_b32 v29, v7, v7 offset0:32 offset1:33
	ds_store_2addr_b32 v29, v7, v7 offset0:34 offset1:35
	;; [unrolled: 1-line block ×4, first 2 shown]
	v_and_b32_e32 v5, v3, v5
	s_wait_kmcnt 0x0
	v_mad_co_u64_u32 v[2:3], null, v0, s1, v[1:2]
	ds_store_b32 v29, v7 offset:160
	s_wait_storecnt 0x0
	s_wait_loadcnt_dscnt 0x0
	v_and_b32_e32 v3, v5, v6
	s_barrier_signal -1
	s_barrier_wait -1
	global_inv scope:SCOPE_SE
	v_lshrrev_b32_e32 v2, 3, v2
	v_mbcnt_lo_u32_b32 v0, v3, 0
	v_cmp_ne_u32_e64 s0, 0, v3
	; wave barrier
	s_delay_alu instid0(VALU_DEP_3) | instskip(NEXT) | instid1(VALU_DEP_3)
	v_and_b32_e32 v2, 0x1ffffffc, v2
	v_cmp_eq_u32_e32 vcc_lo, 0, v0
	s_delay_alu instid0(VALU_DEP_2)
	v_add_nc_u32_e32 v30, v2, v4
	s_and_b32 s1, s0, vcc_lo
	s_wait_alu 0xfffe
	s_and_saveexec_b32 s0, s1
; %bb.154:
	v_bcnt_u32_b32 v3, v3, 0
	ds_store_b32 v30, v3 offset:128
; %bb.155:
	s_wait_alu 0xfffe
	s_or_b32 exec_lo, exec_lo, s0
	v_lshrrev_b32_e32 v3, s44, v12
	; wave barrier
	s_delay_alu instid0(VALU_DEP_1) | instskip(NEXT) | instid1(VALU_DEP_1)
	v_and_b32_e32 v3, s10, v3
	v_and_b32_e32 v5, 1, v3
	v_lshlrev_b32_e32 v6, 30, v3
	v_lshlrev_b32_e32 v7, 29, v3
	;; [unrolled: 1-line block ×4, first 2 shown]
	v_add_co_u32 v5, s0, v5, -1
	s_wait_alu 0xf1ff
	v_cndmask_b32_e64 v9, 0, 1, s0
	v_not_b32_e32 v32, v6
	v_cmp_gt_i32_e64 s0, 0, v6
	v_not_b32_e32 v6, v7
	v_lshlrev_b32_e32 v28, 26, v3
	v_cmp_ne_u32_e32 vcc_lo, 0, v9
	v_ashrrev_i32_e32 v9, 31, v32
	v_lshlrev_b32_e32 v31, 25, v3
	v_ashrrev_i32_e32 v6, 31, v6
	v_mul_lo_u32 v4, 0x84, v3
	s_wait_alu 0xfffd
	v_xor_b32_e32 v5, vcc_lo, v5
	v_cmp_gt_i32_e32 vcc_lo, 0, v7
	v_not_b32_e32 v7, v8
	s_wait_alu 0xf1ff
	v_xor_b32_e32 v9, s0, v9
	v_cmp_gt_i32_e64 s0, 0, v8
	v_and_b32_e32 v5, exec_lo, v5
	v_not_b32_e32 v8, v27
	v_ashrrev_i32_e32 v7, 31, v7
	s_wait_alu 0xfffd
	v_xor_b32_e32 v6, vcc_lo, v6
	v_cmp_gt_i32_e32 vcc_lo, 0, v27
	v_and_b32_e32 v5, v5, v9
	v_not_b32_e32 v9, v28
	v_ashrrev_i32_e32 v8, 31, v8
	s_wait_alu 0xf1ff
	v_xor_b32_e32 v7, s0, v7
	v_lshlrev_b32_e32 v3, 24, v3
	v_and_b32_e32 v5, v5, v6
	v_cmp_gt_i32_e64 s0, 0, v28
	v_not_b32_e32 v6, v31
	v_ashrrev_i32_e32 v9, 31, v9
	s_wait_alu 0xfffd
	v_xor_b32_e32 v8, vcc_lo, v8
	v_and_b32_e32 v5, v5, v7
	v_cmp_gt_i32_e32 vcc_lo, 0, v31
	v_not_b32_e32 v7, v3
	v_ashrrev_i32_e32 v6, 31, v6
	s_wait_alu 0xf1ff
	v_xor_b32_e32 v9, s0, v9
	v_and_b32_e32 v5, v5, v8
	v_cmp_gt_i32_e64 s0, 0, v3
	v_ashrrev_i32_e32 v3, 31, v7
	s_wait_alu 0xfffd
	v_xor_b32_e32 v6, vcc_lo, v6
	v_add_nc_u32_e32 v33, v2, v4
	v_and_b32_e32 v5, v5, v9
	s_wait_alu 0xf1ff
	v_xor_b32_e32 v3, s0, v3
	ds_load_b32 v27, v33 offset:128
	v_and_b32_e32 v4, v5, v6
	; wave barrier
	s_delay_alu instid0(VALU_DEP_1) | instskip(NEXT) | instid1(VALU_DEP_1)
	v_and_b32_e32 v3, v4, v3
	v_mbcnt_lo_u32_b32 v28, v3, 0
	v_cmp_ne_u32_e64 s0, 0, v3
	s_delay_alu instid0(VALU_DEP_2)
	v_cmp_eq_u32_e32 vcc_lo, 0, v28
	s_and_b32 s1, s0, vcc_lo
	s_wait_alu 0xfffe
	s_and_saveexec_b32 s0, s1
	s_cbranch_execz .LBB190_157
; %bb.156:
	s_wait_dscnt 0x0
	v_bcnt_u32_b32 v3, v3, v27
	ds_store_b32 v33, v3 offset:128
.LBB190_157:
	s_wait_alu 0xfffe
	s_or_b32 exec_lo, exec_lo, s0
	v_lshrrev_b32_e32 v3, s44, v13
	; wave barrier
	s_delay_alu instid0(VALU_DEP_1) | instskip(NEXT) | instid1(VALU_DEP_1)
	v_and_b32_e32 v3, s10, v3
	v_and_b32_e32 v5, 1, v3
	v_lshlrev_b32_e32 v6, 30, v3
	v_lshlrev_b32_e32 v7, 29, v3
	;; [unrolled: 1-line block ×4, first 2 shown]
	v_add_co_u32 v5, s0, v5, -1
	s_wait_alu 0xf1ff
	v_cndmask_b32_e64 v9, 0, 1, s0
	v_not_b32_e32 v35, v6
	v_cmp_gt_i32_e64 s0, 0, v6
	v_not_b32_e32 v6, v7
	v_lshlrev_b32_e32 v32, 26, v3
	v_cmp_ne_u32_e32 vcc_lo, 0, v9
	v_ashrrev_i32_e32 v9, 31, v35
	v_lshlrev_b32_e32 v34, 25, v3
	v_ashrrev_i32_e32 v6, 31, v6
	v_mul_lo_u32 v4, 0x84, v3
	s_wait_alu 0xfffd
	v_xor_b32_e32 v5, vcc_lo, v5
	v_cmp_gt_i32_e32 vcc_lo, 0, v7
	v_not_b32_e32 v7, v8
	s_wait_alu 0xf1ff
	v_xor_b32_e32 v9, s0, v9
	v_cmp_gt_i32_e64 s0, 0, v8
	v_and_b32_e32 v5, exec_lo, v5
	v_not_b32_e32 v8, v31
	v_ashrrev_i32_e32 v7, 31, v7
	s_wait_alu 0xfffd
	v_xor_b32_e32 v6, vcc_lo, v6
	v_cmp_gt_i32_e32 vcc_lo, 0, v31
	v_and_b32_e32 v5, v5, v9
	v_not_b32_e32 v9, v32
	v_ashrrev_i32_e32 v8, 31, v8
	s_wait_alu 0xf1ff
	v_xor_b32_e32 v7, s0, v7
	v_lshlrev_b32_e32 v3, 24, v3
	v_and_b32_e32 v5, v5, v6
	v_cmp_gt_i32_e64 s0, 0, v32
	v_not_b32_e32 v6, v34
	v_ashrrev_i32_e32 v9, 31, v9
	s_wait_alu 0xfffd
	v_xor_b32_e32 v8, vcc_lo, v8
	v_and_b32_e32 v5, v5, v7
	v_cmp_gt_i32_e32 vcc_lo, 0, v34
	v_not_b32_e32 v7, v3
	v_ashrrev_i32_e32 v6, 31, v6
	s_wait_alu 0xf1ff
	v_xor_b32_e32 v9, s0, v9
	v_and_b32_e32 v5, v5, v8
	v_cmp_gt_i32_e64 s0, 0, v3
	v_ashrrev_i32_e32 v3, 31, v7
	s_wait_alu 0xfffd
	v_xor_b32_e32 v6, vcc_lo, v6
	v_add_nc_u32_e32 v37, v2, v4
	v_and_b32_e32 v5, v5, v9
	s_wait_alu 0xf1ff
	v_xor_b32_e32 v3, s0, v3
	ds_load_b32 v31, v37 offset:128
	v_and_b32_e32 v4, v5, v6
	; wave barrier
	s_delay_alu instid0(VALU_DEP_1) | instskip(NEXT) | instid1(VALU_DEP_1)
	v_and_b32_e32 v3, v4, v3
	v_mbcnt_lo_u32_b32 v32, v3, 0
	v_cmp_ne_u32_e64 s0, 0, v3
	s_delay_alu instid0(VALU_DEP_2)
	v_cmp_eq_u32_e32 vcc_lo, 0, v32
	s_and_b32 s1, s0, vcc_lo
	s_wait_alu 0xfffe
	s_and_saveexec_b32 s0, s1
	s_cbranch_execz .LBB190_159
; %bb.158:
	s_wait_dscnt 0x0
	v_bcnt_u32_b32 v3, v3, v31
	ds_store_b32 v37, v3 offset:128
.LBB190_159:
	s_wait_alu 0xfffe
	s_or_b32 exec_lo, exec_lo, s0
	v_lshrrev_b32_e32 v3, s44, v14
	; wave barrier
	s_delay_alu instid0(VALU_DEP_1) | instskip(NEXT) | instid1(VALU_DEP_1)
	v_and_b32_e32 v3, s10, v3
	v_and_b32_e32 v5, 1, v3
	v_lshlrev_b32_e32 v6, 30, v3
	v_lshlrev_b32_e32 v7, 29, v3
	;; [unrolled: 1-line block ×4, first 2 shown]
	v_add_co_u32 v5, s0, v5, -1
	s_wait_alu 0xf1ff
	v_cndmask_b32_e64 v9, 0, 1, s0
	v_not_b32_e32 v39, v6
	v_cmp_gt_i32_e64 s0, 0, v6
	v_not_b32_e32 v6, v7
	v_lshlrev_b32_e32 v35, 26, v3
	v_cmp_ne_u32_e32 vcc_lo, 0, v9
	v_ashrrev_i32_e32 v9, 31, v39
	v_lshlrev_b32_e32 v38, 25, v3
	v_ashrrev_i32_e32 v6, 31, v6
	v_mul_lo_u32 v4, 0x84, v3
	s_wait_alu 0xfffd
	v_xor_b32_e32 v5, vcc_lo, v5
	v_cmp_gt_i32_e32 vcc_lo, 0, v7
	v_not_b32_e32 v7, v8
	s_wait_alu 0xf1ff
	v_xor_b32_e32 v9, s0, v9
	v_cmp_gt_i32_e64 s0, 0, v8
	v_and_b32_e32 v5, exec_lo, v5
	v_not_b32_e32 v8, v34
	v_ashrrev_i32_e32 v7, 31, v7
	s_wait_alu 0xfffd
	v_xor_b32_e32 v6, vcc_lo, v6
	v_cmp_gt_i32_e32 vcc_lo, 0, v34
	v_and_b32_e32 v5, v5, v9
	v_not_b32_e32 v9, v35
	v_ashrrev_i32_e32 v8, 31, v8
	s_wait_alu 0xf1ff
	v_xor_b32_e32 v7, s0, v7
	v_lshlrev_b32_e32 v3, 24, v3
	v_and_b32_e32 v5, v5, v6
	v_cmp_gt_i32_e64 s0, 0, v35
	v_not_b32_e32 v6, v38
	v_ashrrev_i32_e32 v9, 31, v9
	s_wait_alu 0xfffd
	v_xor_b32_e32 v8, vcc_lo, v8
	v_and_b32_e32 v5, v5, v7
	v_cmp_gt_i32_e32 vcc_lo, 0, v38
	v_not_b32_e32 v7, v3
	v_ashrrev_i32_e32 v6, 31, v6
	s_wait_alu 0xf1ff
	v_xor_b32_e32 v9, s0, v9
	v_and_b32_e32 v5, v5, v8
	v_cmp_gt_i32_e64 s0, 0, v3
	v_ashrrev_i32_e32 v3, 31, v7
	s_wait_alu 0xfffd
	v_xor_b32_e32 v6, vcc_lo, v6
	v_add_nc_u32_e32 v40, v2, v4
	v_and_b32_e32 v5, v5, v9
	s_wait_alu 0xf1ff
	v_xor_b32_e32 v3, s0, v3
	ds_load_b32 v34, v40 offset:128
	v_and_b32_e32 v4, v5, v6
	; wave barrier
	s_delay_alu instid0(VALU_DEP_1) | instskip(NEXT) | instid1(VALU_DEP_1)
	v_and_b32_e32 v3, v4, v3
	v_mbcnt_lo_u32_b32 v35, v3, 0
	v_cmp_ne_u32_e64 s0, 0, v3
	s_delay_alu instid0(VALU_DEP_2)
	v_cmp_eq_u32_e32 vcc_lo, 0, v35
	s_and_b32 s1, s0, vcc_lo
	s_wait_alu 0xfffe
	s_and_saveexec_b32 s0, s1
	s_cbranch_execz .LBB190_161
; %bb.160:
	s_wait_dscnt 0x0
	v_bcnt_u32_b32 v3, v3, v34
	ds_store_b32 v40, v3 offset:128
.LBB190_161:
	s_wait_alu 0xfffe
	s_or_b32 exec_lo, exec_lo, s0
	v_lshrrev_b32_e32 v3, s44, v15
	; wave barrier
	s_delay_alu instid0(VALU_DEP_1) | instskip(NEXT) | instid1(VALU_DEP_1)
	v_and_b32_e32 v3, s10, v3
	v_and_b32_e32 v5, 1, v3
	v_lshlrev_b32_e32 v6, 30, v3
	v_lshlrev_b32_e32 v7, 29, v3
	;; [unrolled: 1-line block ×4, first 2 shown]
	v_add_co_u32 v5, s0, v5, -1
	s_wait_alu 0xf1ff
	v_cndmask_b32_e64 v9, 0, 1, s0
	v_not_b32_e32 v42, v6
	v_cmp_gt_i32_e64 s0, 0, v6
	v_not_b32_e32 v6, v7
	v_lshlrev_b32_e32 v39, 26, v3
	v_cmp_ne_u32_e32 vcc_lo, 0, v9
	v_ashrrev_i32_e32 v9, 31, v42
	v_lshlrev_b32_e32 v41, 25, v3
	v_ashrrev_i32_e32 v6, 31, v6
	v_mul_lo_u32 v4, 0x84, v3
	s_wait_alu 0xfffd
	v_xor_b32_e32 v5, vcc_lo, v5
	v_cmp_gt_i32_e32 vcc_lo, 0, v7
	v_not_b32_e32 v7, v8
	s_wait_alu 0xf1ff
	v_xor_b32_e32 v9, s0, v9
	v_cmp_gt_i32_e64 s0, 0, v8
	v_and_b32_e32 v5, exec_lo, v5
	v_not_b32_e32 v8, v38
	v_ashrrev_i32_e32 v7, 31, v7
	s_wait_alu 0xfffd
	v_xor_b32_e32 v6, vcc_lo, v6
	v_cmp_gt_i32_e32 vcc_lo, 0, v38
	v_and_b32_e32 v5, v5, v9
	v_not_b32_e32 v9, v39
	v_ashrrev_i32_e32 v8, 31, v8
	s_wait_alu 0xf1ff
	v_xor_b32_e32 v7, s0, v7
	v_lshlrev_b32_e32 v3, 24, v3
	v_and_b32_e32 v5, v5, v6
	v_cmp_gt_i32_e64 s0, 0, v39
	v_not_b32_e32 v6, v41
	v_ashrrev_i32_e32 v9, 31, v9
	s_wait_alu 0xfffd
	v_xor_b32_e32 v8, vcc_lo, v8
	v_and_b32_e32 v5, v5, v7
	v_cmp_gt_i32_e32 vcc_lo, 0, v41
	v_not_b32_e32 v7, v3
	v_ashrrev_i32_e32 v6, 31, v6
	s_wait_alu 0xf1ff
	v_xor_b32_e32 v9, s0, v9
	v_and_b32_e32 v5, v5, v8
	v_cmp_gt_i32_e64 s0, 0, v3
	v_ashrrev_i32_e32 v3, 31, v7
	s_wait_alu 0xfffd
	v_xor_b32_e32 v6, vcc_lo, v6
	v_add_nc_u32_e32 v43, v2, v4
	v_and_b32_e32 v5, v5, v9
	s_wait_alu 0xf1ff
	v_xor_b32_e32 v3, s0, v3
	ds_load_b32 v38, v43 offset:128
	v_and_b32_e32 v4, v5, v6
	; wave barrier
	s_delay_alu instid0(VALU_DEP_1) | instskip(NEXT) | instid1(VALU_DEP_1)
	v_and_b32_e32 v3, v4, v3
	v_mbcnt_lo_u32_b32 v39, v3, 0
	v_cmp_ne_u32_e64 s0, 0, v3
	s_delay_alu instid0(VALU_DEP_2)
	v_cmp_eq_u32_e32 vcc_lo, 0, v39
	s_and_b32 s1, s0, vcc_lo
	s_wait_alu 0xfffe
	s_and_saveexec_b32 s0, s1
	s_cbranch_execz .LBB190_163
; %bb.162:
	s_wait_dscnt 0x0
	v_bcnt_u32_b32 v3, v3, v38
	ds_store_b32 v43, v3 offset:128
.LBB190_163:
	s_wait_alu 0xfffe
	s_or_b32 exec_lo, exec_lo, s0
	v_lshrrev_b32_e32 v3, s44, v16
	; wave barrier
	s_delay_alu instid0(VALU_DEP_1) | instskip(NEXT) | instid1(VALU_DEP_1)
	v_and_b32_e32 v3, s10, v3
	v_and_b32_e32 v5, 1, v3
	v_lshlrev_b32_e32 v6, 30, v3
	v_lshlrev_b32_e32 v7, 29, v3
	;; [unrolled: 1-line block ×4, first 2 shown]
	v_add_co_u32 v5, s0, v5, -1
	s_wait_alu 0xf1ff
	v_cndmask_b32_e64 v9, 0, 1, s0
	v_not_b32_e32 v45, v6
	v_cmp_gt_i32_e64 s0, 0, v6
	v_not_b32_e32 v6, v7
	v_lshlrev_b32_e32 v42, 26, v3
	v_cmp_ne_u32_e32 vcc_lo, 0, v9
	v_ashrrev_i32_e32 v9, 31, v45
	v_lshlrev_b32_e32 v44, 25, v3
	v_ashrrev_i32_e32 v6, 31, v6
	v_mul_lo_u32 v4, 0x84, v3
	s_wait_alu 0xfffd
	v_xor_b32_e32 v5, vcc_lo, v5
	v_cmp_gt_i32_e32 vcc_lo, 0, v7
	v_not_b32_e32 v7, v8
	s_wait_alu 0xf1ff
	v_xor_b32_e32 v9, s0, v9
	v_cmp_gt_i32_e64 s0, 0, v8
	v_and_b32_e32 v5, exec_lo, v5
	v_not_b32_e32 v8, v41
	v_ashrrev_i32_e32 v7, 31, v7
	s_wait_alu 0xfffd
	v_xor_b32_e32 v6, vcc_lo, v6
	v_cmp_gt_i32_e32 vcc_lo, 0, v41
	v_and_b32_e32 v5, v5, v9
	v_not_b32_e32 v9, v42
	v_ashrrev_i32_e32 v8, 31, v8
	s_wait_alu 0xf1ff
	v_xor_b32_e32 v7, s0, v7
	v_lshlrev_b32_e32 v3, 24, v3
	v_and_b32_e32 v5, v5, v6
	v_cmp_gt_i32_e64 s0, 0, v42
	v_not_b32_e32 v6, v44
	v_ashrrev_i32_e32 v9, 31, v9
	s_wait_alu 0xfffd
	v_xor_b32_e32 v8, vcc_lo, v8
	v_and_b32_e32 v5, v5, v7
	v_cmp_gt_i32_e32 vcc_lo, 0, v44
	v_not_b32_e32 v7, v3
	v_ashrrev_i32_e32 v6, 31, v6
	s_wait_alu 0xf1ff
	v_xor_b32_e32 v9, s0, v9
	v_and_b32_e32 v5, v5, v8
	v_cmp_gt_i32_e64 s0, 0, v3
	v_ashrrev_i32_e32 v3, 31, v7
	s_wait_alu 0xfffd
	v_xor_b32_e32 v6, vcc_lo, v6
	v_add_nc_u32_e32 v46, v2, v4
	v_and_b32_e32 v5, v5, v9
	s_wait_alu 0xf1ff
	v_xor_b32_e32 v3, s0, v3
	ds_load_b32 v41, v46 offset:128
	v_and_b32_e32 v4, v5, v6
	; wave barrier
	s_delay_alu instid0(VALU_DEP_1) | instskip(NEXT) | instid1(VALU_DEP_1)
	v_and_b32_e32 v3, v4, v3
	v_mbcnt_lo_u32_b32 v42, v3, 0
	v_cmp_ne_u32_e64 s0, 0, v3
	s_delay_alu instid0(VALU_DEP_2)
	v_cmp_eq_u32_e32 vcc_lo, 0, v42
	s_and_b32 s1, s0, vcc_lo
	s_wait_alu 0xfffe
	s_and_saveexec_b32 s0, s1
	s_cbranch_execz .LBB190_165
; %bb.164:
	s_wait_dscnt 0x0
	v_bcnt_u32_b32 v3, v3, v41
	ds_store_b32 v46, v3 offset:128
.LBB190_165:
	s_wait_alu 0xfffe
	s_or_b32 exec_lo, exec_lo, s0
	v_lshrrev_b32_e32 v3, s44, v17
	; wave barrier
	s_delay_alu instid0(VALU_DEP_1) | instskip(NEXT) | instid1(VALU_DEP_1)
	v_and_b32_e32 v3, s10, v3
	v_and_b32_e32 v5, 1, v3
	v_lshlrev_b32_e32 v6, 30, v3
	v_lshlrev_b32_e32 v7, 29, v3
	;; [unrolled: 1-line block ×4, first 2 shown]
	v_add_co_u32 v5, s0, v5, -1
	s_wait_alu 0xf1ff
	v_cndmask_b32_e64 v9, 0, 1, s0
	v_not_b32_e32 v48, v6
	v_cmp_gt_i32_e64 s0, 0, v6
	v_not_b32_e32 v6, v7
	v_lshlrev_b32_e32 v45, 26, v3
	v_cmp_ne_u32_e32 vcc_lo, 0, v9
	v_ashrrev_i32_e32 v9, 31, v48
	v_lshlrev_b32_e32 v47, 25, v3
	v_ashrrev_i32_e32 v6, 31, v6
	v_mul_lo_u32 v4, 0x84, v3
	s_wait_alu 0xfffd
	v_xor_b32_e32 v5, vcc_lo, v5
	v_cmp_gt_i32_e32 vcc_lo, 0, v7
	v_not_b32_e32 v7, v8
	s_wait_alu 0xf1ff
	v_xor_b32_e32 v9, s0, v9
	v_cmp_gt_i32_e64 s0, 0, v8
	v_and_b32_e32 v5, exec_lo, v5
	v_not_b32_e32 v8, v44
	v_ashrrev_i32_e32 v7, 31, v7
	s_wait_alu 0xfffd
	v_xor_b32_e32 v6, vcc_lo, v6
	v_cmp_gt_i32_e32 vcc_lo, 0, v44
	v_and_b32_e32 v5, v5, v9
	v_not_b32_e32 v9, v45
	v_ashrrev_i32_e32 v8, 31, v8
	s_wait_alu 0xf1ff
	v_xor_b32_e32 v7, s0, v7
	v_lshlrev_b32_e32 v3, 24, v3
	v_and_b32_e32 v5, v5, v6
	v_cmp_gt_i32_e64 s0, 0, v45
	v_not_b32_e32 v6, v47
	v_ashrrev_i32_e32 v9, 31, v9
	s_wait_alu 0xfffd
	v_xor_b32_e32 v8, vcc_lo, v8
	v_and_b32_e32 v5, v5, v7
	v_cmp_gt_i32_e32 vcc_lo, 0, v47
	v_not_b32_e32 v7, v3
	v_ashrrev_i32_e32 v6, 31, v6
	s_wait_alu 0xf1ff
	v_xor_b32_e32 v9, s0, v9
	v_and_b32_e32 v5, v5, v8
	v_cmp_gt_i32_e64 s0, 0, v3
	v_ashrrev_i32_e32 v3, 31, v7
	s_wait_alu 0xfffd
	v_xor_b32_e32 v6, vcc_lo, v6
	v_add_nc_u32_e32 v49, v2, v4
	v_and_b32_e32 v5, v5, v9
	s_wait_alu 0xf1ff
	v_xor_b32_e32 v3, s0, v3
	ds_load_b32 v44, v49 offset:128
	v_and_b32_e32 v4, v5, v6
	; wave barrier
	s_delay_alu instid0(VALU_DEP_1) | instskip(NEXT) | instid1(VALU_DEP_1)
	v_and_b32_e32 v3, v4, v3
	v_mbcnt_lo_u32_b32 v45, v3, 0
	v_cmp_ne_u32_e64 s0, 0, v3
	s_delay_alu instid0(VALU_DEP_2)
	v_cmp_eq_u32_e32 vcc_lo, 0, v45
	s_and_b32 s1, s0, vcc_lo
	s_wait_alu 0xfffe
	s_and_saveexec_b32 s0, s1
	s_cbranch_execz .LBB190_167
; %bb.166:
	s_wait_dscnt 0x0
	v_bcnt_u32_b32 v3, v3, v44
	ds_store_b32 v49, v3 offset:128
.LBB190_167:
	s_wait_alu 0xfffe
	s_or_b32 exec_lo, exec_lo, s0
	v_lshrrev_b32_e32 v3, s44, v18
	; wave barrier
	s_delay_alu instid0(VALU_DEP_1) | instskip(NEXT) | instid1(VALU_DEP_1)
	v_and_b32_e32 v3, s10, v3
	v_and_b32_e32 v5, 1, v3
	v_lshlrev_b32_e32 v6, 30, v3
	v_lshlrev_b32_e32 v7, 29, v3
	;; [unrolled: 1-line block ×4, first 2 shown]
	v_add_co_u32 v5, s0, v5, -1
	s_wait_alu 0xf1ff
	v_cndmask_b32_e64 v9, 0, 1, s0
	v_not_b32_e32 v51, v6
	v_cmp_gt_i32_e64 s0, 0, v6
	v_not_b32_e32 v6, v7
	v_lshlrev_b32_e32 v48, 26, v3
	v_cmp_ne_u32_e32 vcc_lo, 0, v9
	v_ashrrev_i32_e32 v9, 31, v51
	v_lshlrev_b32_e32 v50, 25, v3
	v_ashrrev_i32_e32 v6, 31, v6
	v_mul_lo_u32 v4, 0x84, v3
	s_wait_alu 0xfffd
	v_xor_b32_e32 v5, vcc_lo, v5
	v_cmp_gt_i32_e32 vcc_lo, 0, v7
	v_not_b32_e32 v7, v8
	s_wait_alu 0xf1ff
	v_xor_b32_e32 v9, s0, v9
	v_cmp_gt_i32_e64 s0, 0, v8
	v_and_b32_e32 v5, exec_lo, v5
	v_not_b32_e32 v8, v47
	v_ashrrev_i32_e32 v7, 31, v7
	s_wait_alu 0xfffd
	v_xor_b32_e32 v6, vcc_lo, v6
	v_cmp_gt_i32_e32 vcc_lo, 0, v47
	v_and_b32_e32 v5, v5, v9
	v_not_b32_e32 v9, v48
	v_ashrrev_i32_e32 v8, 31, v8
	s_wait_alu 0xf1ff
	v_xor_b32_e32 v7, s0, v7
	v_lshlrev_b32_e32 v3, 24, v3
	v_and_b32_e32 v5, v5, v6
	v_cmp_gt_i32_e64 s0, 0, v48
	v_not_b32_e32 v6, v50
	v_ashrrev_i32_e32 v9, 31, v9
	s_wait_alu 0xfffd
	v_xor_b32_e32 v8, vcc_lo, v8
	v_and_b32_e32 v5, v5, v7
	v_cmp_gt_i32_e32 vcc_lo, 0, v50
	v_not_b32_e32 v7, v3
	v_ashrrev_i32_e32 v6, 31, v6
	s_wait_alu 0xf1ff
	v_xor_b32_e32 v9, s0, v9
	v_and_b32_e32 v5, v5, v8
	v_cmp_gt_i32_e64 s0, 0, v3
	v_ashrrev_i32_e32 v3, 31, v7
	s_wait_alu 0xfffd
	v_xor_b32_e32 v6, vcc_lo, v6
	v_add_nc_u32_e32 v52, v2, v4
	v_and_b32_e32 v5, v5, v9
	s_wait_alu 0xf1ff
	v_xor_b32_e32 v3, s0, v3
	ds_load_b32 v47, v52 offset:128
	v_and_b32_e32 v4, v5, v6
	; wave barrier
	s_delay_alu instid0(VALU_DEP_1) | instskip(NEXT) | instid1(VALU_DEP_1)
	v_and_b32_e32 v3, v4, v3
	v_mbcnt_lo_u32_b32 v48, v3, 0
	v_cmp_ne_u32_e64 s0, 0, v3
	s_delay_alu instid0(VALU_DEP_2)
	v_cmp_eq_u32_e32 vcc_lo, 0, v48
	s_and_b32 s1, s0, vcc_lo
	s_wait_alu 0xfffe
	s_and_saveexec_b32 s0, s1
	s_cbranch_execz .LBB190_169
; %bb.168:
	s_wait_dscnt 0x0
	v_bcnt_u32_b32 v3, v3, v47
	ds_store_b32 v52, v3 offset:128
.LBB190_169:
	s_wait_alu 0xfffe
	s_or_b32 exec_lo, exec_lo, s0
	v_lshrrev_b32_e32 v3, s44, v19
	; wave barrier
	s_delay_alu instid0(VALU_DEP_1) | instskip(NEXT) | instid1(VALU_DEP_1)
	v_and_b32_e32 v3, s10, v3
	v_and_b32_e32 v5, 1, v3
	v_lshlrev_b32_e32 v6, 30, v3
	v_lshlrev_b32_e32 v7, 29, v3
	;; [unrolled: 1-line block ×4, first 2 shown]
	v_add_co_u32 v5, s0, v5, -1
	s_wait_alu 0xf1ff
	v_cndmask_b32_e64 v9, 0, 1, s0
	v_not_b32_e32 v54, v6
	v_cmp_gt_i32_e64 s0, 0, v6
	v_not_b32_e32 v6, v7
	v_lshlrev_b32_e32 v51, 26, v3
	v_cmp_ne_u32_e32 vcc_lo, 0, v9
	v_ashrrev_i32_e32 v9, 31, v54
	v_lshlrev_b32_e32 v53, 25, v3
	v_ashrrev_i32_e32 v6, 31, v6
	v_mul_lo_u32 v4, 0x84, v3
	s_wait_alu 0xfffd
	v_xor_b32_e32 v5, vcc_lo, v5
	v_cmp_gt_i32_e32 vcc_lo, 0, v7
	v_not_b32_e32 v7, v8
	s_wait_alu 0xf1ff
	v_xor_b32_e32 v9, s0, v9
	v_cmp_gt_i32_e64 s0, 0, v8
	v_and_b32_e32 v5, exec_lo, v5
	v_not_b32_e32 v8, v50
	v_ashrrev_i32_e32 v7, 31, v7
	s_wait_alu 0xfffd
	v_xor_b32_e32 v6, vcc_lo, v6
	v_cmp_gt_i32_e32 vcc_lo, 0, v50
	v_and_b32_e32 v5, v5, v9
	v_not_b32_e32 v9, v51
	v_ashrrev_i32_e32 v8, 31, v8
	s_wait_alu 0xf1ff
	v_xor_b32_e32 v7, s0, v7
	v_lshlrev_b32_e32 v3, 24, v3
	v_and_b32_e32 v5, v5, v6
	v_cmp_gt_i32_e64 s0, 0, v51
	v_not_b32_e32 v6, v53
	v_ashrrev_i32_e32 v9, 31, v9
	s_wait_alu 0xfffd
	v_xor_b32_e32 v8, vcc_lo, v8
	v_and_b32_e32 v5, v5, v7
	v_cmp_gt_i32_e32 vcc_lo, 0, v53
	v_not_b32_e32 v7, v3
	v_ashrrev_i32_e32 v6, 31, v6
	s_wait_alu 0xf1ff
	v_xor_b32_e32 v9, s0, v9
	v_and_b32_e32 v5, v5, v8
	v_cmp_gt_i32_e64 s0, 0, v3
	v_ashrrev_i32_e32 v3, 31, v7
	s_wait_alu 0xfffd
	v_xor_b32_e32 v6, vcc_lo, v6
	v_add_nc_u32_e32 v55, v2, v4
	v_and_b32_e32 v5, v5, v9
	s_wait_alu 0xf1ff
	v_xor_b32_e32 v3, s0, v3
	ds_load_b32 v50, v55 offset:128
	v_and_b32_e32 v4, v5, v6
	; wave barrier
	s_delay_alu instid0(VALU_DEP_1) | instskip(NEXT) | instid1(VALU_DEP_1)
	v_and_b32_e32 v3, v4, v3
	v_mbcnt_lo_u32_b32 v51, v3, 0
	v_cmp_ne_u32_e64 s0, 0, v3
	s_delay_alu instid0(VALU_DEP_2)
	v_cmp_eq_u32_e32 vcc_lo, 0, v51
	s_and_b32 s1, s0, vcc_lo
	s_wait_alu 0xfffe
	s_and_saveexec_b32 s0, s1
	s_cbranch_execz .LBB190_171
; %bb.170:
	s_wait_dscnt 0x0
	v_bcnt_u32_b32 v3, v3, v50
	ds_store_b32 v55, v3 offset:128
.LBB190_171:
	s_wait_alu 0xfffe
	s_or_b32 exec_lo, exec_lo, s0
	v_lshrrev_b32_e32 v3, s44, v20
	; wave barrier
	s_delay_alu instid0(VALU_DEP_1) | instskip(NEXT) | instid1(VALU_DEP_1)
	v_and_b32_e32 v3, s10, v3
	v_and_b32_e32 v5, 1, v3
	v_lshlrev_b32_e32 v6, 30, v3
	v_lshlrev_b32_e32 v7, 29, v3
	;; [unrolled: 1-line block ×4, first 2 shown]
	v_add_co_u32 v5, s0, v5, -1
	s_wait_alu 0xf1ff
	v_cndmask_b32_e64 v9, 0, 1, s0
	v_not_b32_e32 v57, v6
	v_cmp_gt_i32_e64 s0, 0, v6
	v_not_b32_e32 v6, v7
	v_lshlrev_b32_e32 v54, 26, v3
	v_cmp_ne_u32_e32 vcc_lo, 0, v9
	v_ashrrev_i32_e32 v9, 31, v57
	v_lshlrev_b32_e32 v56, 25, v3
	v_ashrrev_i32_e32 v6, 31, v6
	v_mul_lo_u32 v4, 0x84, v3
	s_wait_alu 0xfffd
	v_xor_b32_e32 v5, vcc_lo, v5
	v_cmp_gt_i32_e32 vcc_lo, 0, v7
	v_not_b32_e32 v7, v8
	s_wait_alu 0xf1ff
	v_xor_b32_e32 v9, s0, v9
	v_cmp_gt_i32_e64 s0, 0, v8
	v_and_b32_e32 v5, exec_lo, v5
	v_not_b32_e32 v8, v53
	v_ashrrev_i32_e32 v7, 31, v7
	s_wait_alu 0xfffd
	v_xor_b32_e32 v6, vcc_lo, v6
	v_cmp_gt_i32_e32 vcc_lo, 0, v53
	v_and_b32_e32 v5, v5, v9
	v_not_b32_e32 v9, v54
	v_ashrrev_i32_e32 v8, 31, v8
	s_wait_alu 0xf1ff
	v_xor_b32_e32 v7, s0, v7
	v_lshlrev_b32_e32 v3, 24, v3
	v_and_b32_e32 v5, v5, v6
	v_cmp_gt_i32_e64 s0, 0, v54
	v_not_b32_e32 v6, v56
	v_ashrrev_i32_e32 v9, 31, v9
	s_wait_alu 0xfffd
	v_xor_b32_e32 v8, vcc_lo, v8
	v_and_b32_e32 v5, v5, v7
	v_cmp_gt_i32_e32 vcc_lo, 0, v56
	v_not_b32_e32 v7, v3
	v_ashrrev_i32_e32 v6, 31, v6
	s_wait_alu 0xf1ff
	v_xor_b32_e32 v9, s0, v9
	v_and_b32_e32 v5, v5, v8
	v_cmp_gt_i32_e64 s0, 0, v3
	v_ashrrev_i32_e32 v3, 31, v7
	s_wait_alu 0xfffd
	v_xor_b32_e32 v6, vcc_lo, v6
	v_add_nc_u32_e32 v59, v2, v4
	v_and_b32_e32 v5, v5, v9
	s_wait_alu 0xf1ff
	v_xor_b32_e32 v3, s0, v3
	ds_load_b32 v53, v59 offset:128
	v_and_b32_e32 v4, v5, v6
	; wave barrier
	s_delay_alu instid0(VALU_DEP_1) | instskip(NEXT) | instid1(VALU_DEP_1)
	v_and_b32_e32 v3, v4, v3
	v_mbcnt_lo_u32_b32 v54, v3, 0
	v_cmp_ne_u32_e64 s0, 0, v3
	s_delay_alu instid0(VALU_DEP_2)
	v_cmp_eq_u32_e32 vcc_lo, 0, v54
	s_and_b32 s1, s0, vcc_lo
	s_wait_alu 0xfffe
	s_and_saveexec_b32 s0, s1
	s_cbranch_execz .LBB190_173
; %bb.172:
	s_wait_dscnt 0x0
	v_bcnt_u32_b32 v3, v3, v53
	ds_store_b32 v59, v3 offset:128
.LBB190_173:
	s_wait_alu 0xfffe
	s_or_b32 exec_lo, exec_lo, s0
	v_lshrrev_b32_e32 v3, s44, v21
	; wave barrier
	s_delay_alu instid0(VALU_DEP_1) | instskip(NEXT) | instid1(VALU_DEP_1)
	v_and_b32_e32 v3, s10, v3
	v_and_b32_e32 v5, 1, v3
	v_lshlrev_b32_e32 v6, 30, v3
	v_lshlrev_b32_e32 v7, 29, v3
	;; [unrolled: 1-line block ×4, first 2 shown]
	v_add_co_u32 v5, s0, v5, -1
	s_wait_alu 0xf1ff
	v_cndmask_b32_e64 v9, 0, 1, s0
	v_not_b32_e32 v60, v6
	v_cmp_gt_i32_e64 s0, 0, v6
	v_not_b32_e32 v6, v7
	v_lshlrev_b32_e32 v57, 26, v3
	v_cmp_ne_u32_e32 vcc_lo, 0, v9
	v_ashrrev_i32_e32 v9, 31, v60
	v_lshlrev_b32_e32 v58, 25, v3
	v_ashrrev_i32_e32 v6, 31, v6
	v_mul_lo_u32 v4, 0x84, v3
	s_wait_alu 0xfffd
	v_xor_b32_e32 v5, vcc_lo, v5
	v_cmp_gt_i32_e32 vcc_lo, 0, v7
	v_not_b32_e32 v7, v8
	s_wait_alu 0xf1ff
	v_xor_b32_e32 v9, s0, v9
	v_cmp_gt_i32_e64 s0, 0, v8
	v_and_b32_e32 v5, exec_lo, v5
	v_not_b32_e32 v8, v56
	v_ashrrev_i32_e32 v7, 31, v7
	s_wait_alu 0xfffd
	v_xor_b32_e32 v6, vcc_lo, v6
	v_cmp_gt_i32_e32 vcc_lo, 0, v56
	v_and_b32_e32 v5, v5, v9
	v_not_b32_e32 v9, v57
	v_ashrrev_i32_e32 v8, 31, v8
	s_wait_alu 0xf1ff
	v_xor_b32_e32 v7, s0, v7
	v_lshlrev_b32_e32 v3, 24, v3
	v_and_b32_e32 v5, v5, v6
	v_cmp_gt_i32_e64 s0, 0, v57
	v_not_b32_e32 v6, v58
	v_ashrrev_i32_e32 v9, 31, v9
	s_wait_alu 0xfffd
	v_xor_b32_e32 v8, vcc_lo, v8
	v_and_b32_e32 v5, v5, v7
	v_cmp_gt_i32_e32 vcc_lo, 0, v58
	v_not_b32_e32 v7, v3
	v_ashrrev_i32_e32 v6, 31, v6
	s_wait_alu 0xf1ff
	v_xor_b32_e32 v9, s0, v9
	v_and_b32_e32 v5, v5, v8
	v_cmp_gt_i32_e64 s0, 0, v3
	v_ashrrev_i32_e32 v3, 31, v7
	s_wait_alu 0xfffd
	v_xor_b32_e32 v6, vcc_lo, v6
	v_add_nc_u32_e32 v62, v2, v4
	v_and_b32_e32 v5, v5, v9
	s_wait_alu 0xf1ff
	v_xor_b32_e32 v3, s0, v3
	ds_load_b32 v56, v62 offset:128
	v_and_b32_e32 v4, v5, v6
	; wave barrier
	s_delay_alu instid0(VALU_DEP_1) | instskip(NEXT) | instid1(VALU_DEP_1)
	v_and_b32_e32 v3, v4, v3
	v_mbcnt_lo_u32_b32 v57, v3, 0
	v_cmp_ne_u32_e64 s0, 0, v3
	s_delay_alu instid0(VALU_DEP_2)
	v_cmp_eq_u32_e32 vcc_lo, 0, v57
	s_and_b32 s1, s0, vcc_lo
	s_wait_alu 0xfffe
	s_and_saveexec_b32 s0, s1
	s_cbranch_execz .LBB190_175
; %bb.174:
	s_wait_dscnt 0x0
	v_bcnt_u32_b32 v3, v3, v56
	ds_store_b32 v62, v3 offset:128
.LBB190_175:
	s_wait_alu 0xfffe
	s_or_b32 exec_lo, exec_lo, s0
	v_lshrrev_b32_e32 v3, s44, v22
	; wave barrier
	s_delay_alu instid0(VALU_DEP_1) | instskip(NEXT) | instid1(VALU_DEP_1)
	v_and_b32_e32 v3, s10, v3
	v_and_b32_e32 v5, 1, v3
	v_lshlrev_b32_e32 v6, 30, v3
	v_lshlrev_b32_e32 v7, 29, v3
	;; [unrolled: 1-line block ×4, first 2 shown]
	v_add_co_u32 v5, s0, v5, -1
	s_wait_alu 0xf1ff
	v_cndmask_b32_e64 v9, 0, 1, s0
	v_not_b32_e32 v63, v6
	v_cmp_gt_i32_e64 s0, 0, v6
	v_not_b32_e32 v6, v7
	v_lshlrev_b32_e32 v60, 26, v3
	v_cmp_ne_u32_e32 vcc_lo, 0, v9
	v_ashrrev_i32_e32 v9, 31, v63
	v_lshlrev_b32_e32 v61, 25, v3
	v_ashrrev_i32_e32 v6, 31, v6
	v_mul_lo_u32 v4, 0x84, v3
	s_wait_alu 0xfffd
	v_xor_b32_e32 v5, vcc_lo, v5
	v_cmp_gt_i32_e32 vcc_lo, 0, v7
	v_not_b32_e32 v7, v8
	s_wait_alu 0xf1ff
	v_xor_b32_e32 v9, s0, v9
	v_cmp_gt_i32_e64 s0, 0, v8
	v_and_b32_e32 v5, exec_lo, v5
	v_not_b32_e32 v8, v58
	v_ashrrev_i32_e32 v7, 31, v7
	s_wait_alu 0xfffd
	v_xor_b32_e32 v6, vcc_lo, v6
	v_cmp_gt_i32_e32 vcc_lo, 0, v58
	v_and_b32_e32 v5, v5, v9
	v_not_b32_e32 v9, v60
	v_ashrrev_i32_e32 v8, 31, v8
	s_wait_alu 0xf1ff
	v_xor_b32_e32 v7, s0, v7
	v_lshlrev_b32_e32 v3, 24, v3
	v_and_b32_e32 v5, v5, v6
	v_cmp_gt_i32_e64 s0, 0, v60
	v_not_b32_e32 v6, v61
	v_ashrrev_i32_e32 v9, 31, v9
	s_wait_alu 0xfffd
	v_xor_b32_e32 v8, vcc_lo, v8
	v_and_b32_e32 v5, v5, v7
	v_cmp_gt_i32_e32 vcc_lo, 0, v61
	v_not_b32_e32 v7, v3
	v_ashrrev_i32_e32 v6, 31, v6
	s_wait_alu 0xf1ff
	v_xor_b32_e32 v9, s0, v9
	v_and_b32_e32 v5, v5, v8
	v_cmp_gt_i32_e64 s0, 0, v3
	v_ashrrev_i32_e32 v3, 31, v7
	s_wait_alu 0xfffd
	v_xor_b32_e32 v6, vcc_lo, v6
	v_add_nc_u32_e32 v65, v2, v4
	v_and_b32_e32 v5, v5, v9
	s_wait_alu 0xf1ff
	v_xor_b32_e32 v3, s0, v3
	ds_load_b32 v60, v65 offset:128
	v_and_b32_e32 v4, v5, v6
	; wave barrier
	s_delay_alu instid0(VALU_DEP_1) | instskip(NEXT) | instid1(VALU_DEP_1)
	v_and_b32_e32 v3, v4, v3
	v_mbcnt_lo_u32_b32 v61, v3, 0
	v_cmp_ne_u32_e64 s0, 0, v3
	s_delay_alu instid0(VALU_DEP_2)
	v_cmp_eq_u32_e32 vcc_lo, 0, v61
	s_and_b32 s1, s0, vcc_lo
	s_wait_alu 0xfffe
	s_and_saveexec_b32 s0, s1
	s_cbranch_execz .LBB190_177
; %bb.176:
	s_wait_dscnt 0x0
	v_bcnt_u32_b32 v3, v3, v60
	ds_store_b32 v65, v3 offset:128
.LBB190_177:
	s_wait_alu 0xfffe
	s_or_b32 exec_lo, exec_lo, s0
	v_lshrrev_b32_e32 v3, s44, v23
	; wave barrier
	s_delay_alu instid0(VALU_DEP_1) | instskip(NEXT) | instid1(VALU_DEP_1)
	v_and_b32_e32 v3, s10, v3
	v_and_b32_e32 v5, 1, v3
	v_lshlrev_b32_e32 v6, 30, v3
	v_lshlrev_b32_e32 v7, 29, v3
	;; [unrolled: 1-line block ×4, first 2 shown]
	v_add_co_u32 v5, s0, v5, -1
	s_wait_alu 0xf1ff
	v_cndmask_b32_e64 v9, 0, 1, s0
	v_not_b32_e32 v66, v6
	v_cmp_gt_i32_e64 s0, 0, v6
	v_not_b32_e32 v6, v7
	v_lshlrev_b32_e32 v63, 26, v3
	v_cmp_ne_u32_e32 vcc_lo, 0, v9
	v_ashrrev_i32_e32 v9, 31, v66
	v_lshlrev_b32_e32 v64, 25, v3
	v_ashrrev_i32_e32 v6, 31, v6
	v_mul_lo_u32 v4, 0x84, v3
	s_wait_alu 0xfffd
	v_xor_b32_e32 v5, vcc_lo, v5
	v_cmp_gt_i32_e32 vcc_lo, 0, v7
	v_not_b32_e32 v7, v8
	s_wait_alu 0xf1ff
	v_xor_b32_e32 v9, s0, v9
	v_cmp_gt_i32_e64 s0, 0, v8
	v_and_b32_e32 v5, exec_lo, v5
	v_not_b32_e32 v8, v58
	v_ashrrev_i32_e32 v7, 31, v7
	s_wait_alu 0xfffd
	v_xor_b32_e32 v6, vcc_lo, v6
	v_cmp_gt_i32_e32 vcc_lo, 0, v58
	v_and_b32_e32 v5, v5, v9
	v_not_b32_e32 v9, v63
	v_ashrrev_i32_e32 v8, 31, v8
	s_wait_alu 0xf1ff
	v_xor_b32_e32 v7, s0, v7
	v_lshlrev_b32_e32 v3, 24, v3
	v_and_b32_e32 v5, v5, v6
	v_cmp_gt_i32_e64 s0, 0, v63
	v_not_b32_e32 v6, v64
	v_ashrrev_i32_e32 v9, 31, v9
	s_wait_alu 0xfffd
	v_xor_b32_e32 v8, vcc_lo, v8
	v_and_b32_e32 v5, v5, v7
	v_cmp_gt_i32_e32 vcc_lo, 0, v64
	v_not_b32_e32 v7, v3
	v_ashrrev_i32_e32 v6, 31, v6
	s_wait_alu 0xf1ff
	v_xor_b32_e32 v9, s0, v9
	v_and_b32_e32 v5, v5, v8
	v_cmp_gt_i32_e64 s0, 0, v3
	v_ashrrev_i32_e32 v3, 31, v7
	s_wait_alu 0xfffd
	v_xor_b32_e32 v6, vcc_lo, v6
	v_add_nc_u32_e32 v68, v2, v4
	v_and_b32_e32 v5, v5, v9
	s_wait_alu 0xf1ff
	v_xor_b32_e32 v3, s0, v3
	ds_load_b32 v63, v68 offset:128
	v_and_b32_e32 v4, v5, v6
	; wave barrier
	s_delay_alu instid0(VALU_DEP_1) | instskip(NEXT) | instid1(VALU_DEP_1)
	v_and_b32_e32 v3, v4, v3
	v_mbcnt_lo_u32_b32 v64, v3, 0
	v_cmp_ne_u32_e64 s0, 0, v3
	s_delay_alu instid0(VALU_DEP_2)
	v_cmp_eq_u32_e32 vcc_lo, 0, v64
	s_and_b32 s1, s0, vcc_lo
	s_wait_alu 0xfffe
	s_and_saveexec_b32 s0, s1
	s_cbranch_execz .LBB190_179
; %bb.178:
	s_wait_dscnt 0x0
	v_bcnt_u32_b32 v3, v3, v63
	ds_store_b32 v68, v3 offset:128
.LBB190_179:
	s_wait_alu 0xfffe
	s_or_b32 exec_lo, exec_lo, s0
	v_lshrrev_b32_e32 v3, s44, v24
	; wave barrier
	s_delay_alu instid0(VALU_DEP_1) | instskip(NEXT) | instid1(VALU_DEP_1)
	v_and_b32_e32 v3, s10, v3
	v_and_b32_e32 v5, 1, v3
	v_lshlrev_b32_e32 v6, 30, v3
	v_lshlrev_b32_e32 v7, 29, v3
	v_lshlrev_b32_e32 v8, 28, v3
	v_lshlrev_b32_e32 v58, 27, v3
	v_add_co_u32 v5, s0, v5, -1
	s_wait_alu 0xf1ff
	v_cndmask_b32_e64 v9, 0, 1, s0
	v_not_b32_e32 v69, v6
	v_cmp_gt_i32_e64 s0, 0, v6
	v_not_b32_e32 v6, v7
	v_lshlrev_b32_e32 v66, 26, v3
	v_cmp_ne_u32_e32 vcc_lo, 0, v9
	v_ashrrev_i32_e32 v9, 31, v69
	v_lshlrev_b32_e32 v67, 25, v3
	v_ashrrev_i32_e32 v6, 31, v6
	v_mul_lo_u32 v4, 0x84, v3
	s_wait_alu 0xfffd
	v_xor_b32_e32 v5, vcc_lo, v5
	v_cmp_gt_i32_e32 vcc_lo, 0, v7
	v_not_b32_e32 v7, v8
	s_wait_alu 0xf1ff
	v_xor_b32_e32 v9, s0, v9
	v_cmp_gt_i32_e64 s0, 0, v8
	v_and_b32_e32 v5, exec_lo, v5
	v_not_b32_e32 v8, v58
	v_ashrrev_i32_e32 v7, 31, v7
	s_wait_alu 0xfffd
	v_xor_b32_e32 v6, vcc_lo, v6
	v_cmp_gt_i32_e32 vcc_lo, 0, v58
	v_and_b32_e32 v5, v5, v9
	v_not_b32_e32 v9, v66
	v_ashrrev_i32_e32 v8, 31, v8
	s_wait_alu 0xf1ff
	v_xor_b32_e32 v7, s0, v7
	v_lshlrev_b32_e32 v3, 24, v3
	v_and_b32_e32 v5, v5, v6
	v_cmp_gt_i32_e64 s0, 0, v66
	v_not_b32_e32 v6, v67
	v_ashrrev_i32_e32 v9, 31, v9
	s_wait_alu 0xfffd
	v_xor_b32_e32 v8, vcc_lo, v8
	v_and_b32_e32 v5, v5, v7
	v_cmp_gt_i32_e32 vcc_lo, 0, v67
	v_not_b32_e32 v7, v3
	v_ashrrev_i32_e32 v6, 31, v6
	s_wait_alu 0xf1ff
	v_xor_b32_e32 v9, s0, v9
	v_and_b32_e32 v5, v5, v8
	v_cmp_gt_i32_e64 s0, 0, v3
	v_ashrrev_i32_e32 v3, 31, v7
	s_wait_alu 0xfffd
	v_xor_b32_e32 v6, vcc_lo, v6
	v_add_nc_u32_e32 v71, v2, v4
	v_and_b32_e32 v5, v5, v9
	s_wait_alu 0xf1ff
	v_xor_b32_e32 v3, s0, v3
	ds_load_b32 v66, v71 offset:128
	v_and_b32_e32 v4, v5, v6
	; wave barrier
	s_delay_alu instid0(VALU_DEP_1) | instskip(NEXT) | instid1(VALU_DEP_1)
	v_and_b32_e32 v3, v4, v3
	v_mbcnt_lo_u32_b32 v67, v3, 0
	v_cmp_ne_u32_e64 s0, 0, v3
	s_delay_alu instid0(VALU_DEP_2)
	v_cmp_eq_u32_e32 vcc_lo, 0, v67
	s_and_b32 s1, s0, vcc_lo
	s_wait_alu 0xfffe
	s_and_saveexec_b32 s0, s1
	s_cbranch_execz .LBB190_181
; %bb.180:
	s_wait_dscnt 0x0
	v_bcnt_u32_b32 v3, v3, v66
	ds_store_b32 v71, v3 offset:128
.LBB190_181:
	s_wait_alu 0xfffe
	s_or_b32 exec_lo, exec_lo, s0
	v_lshrrev_b32_e32 v3, s44, v25
	; wave barrier
	s_delay_alu instid0(VALU_DEP_1) | instskip(NEXT) | instid1(VALU_DEP_1)
	v_and_b32_e32 v3, s10, v3
	v_and_b32_e32 v5, 1, v3
	v_lshlrev_b32_e32 v6, 30, v3
	v_lshlrev_b32_e32 v7, 29, v3
	;; [unrolled: 1-line block ×4, first 2 shown]
	v_add_co_u32 v5, s0, v5, -1
	s_wait_alu 0xf1ff
	v_cndmask_b32_e64 v9, 0, 1, s0
	v_not_b32_e32 v72, v6
	v_cmp_gt_i32_e64 s0, 0, v6
	v_not_b32_e32 v6, v7
	v_lshlrev_b32_e32 v69, 26, v3
	v_cmp_ne_u32_e32 vcc_lo, 0, v9
	v_ashrrev_i32_e32 v9, 31, v72
	v_lshlrev_b32_e32 v70, 25, v3
	v_ashrrev_i32_e32 v6, 31, v6
	v_mul_lo_u32 v4, 0x84, v3
	s_wait_alu 0xfffd
	v_xor_b32_e32 v5, vcc_lo, v5
	v_cmp_gt_i32_e32 vcc_lo, 0, v7
	v_not_b32_e32 v7, v8
	s_wait_alu 0xf1ff
	v_xor_b32_e32 v9, s0, v9
	v_cmp_gt_i32_e64 s0, 0, v8
	v_and_b32_e32 v5, exec_lo, v5
	v_not_b32_e32 v8, v58
	v_ashrrev_i32_e32 v7, 31, v7
	s_wait_alu 0xfffd
	v_xor_b32_e32 v6, vcc_lo, v6
	v_cmp_gt_i32_e32 vcc_lo, 0, v58
	v_and_b32_e32 v5, v5, v9
	v_not_b32_e32 v9, v69
	v_ashrrev_i32_e32 v8, 31, v8
	s_wait_alu 0xf1ff
	v_xor_b32_e32 v7, s0, v7
	v_lshlrev_b32_e32 v3, 24, v3
	v_and_b32_e32 v5, v5, v6
	v_cmp_gt_i32_e64 s0, 0, v69
	v_not_b32_e32 v6, v70
	v_ashrrev_i32_e32 v9, 31, v9
	s_wait_alu 0xfffd
	v_xor_b32_e32 v8, vcc_lo, v8
	v_and_b32_e32 v5, v5, v7
	v_cmp_gt_i32_e32 vcc_lo, 0, v70
	v_not_b32_e32 v7, v3
	v_ashrrev_i32_e32 v6, 31, v6
	s_wait_alu 0xf1ff
	v_xor_b32_e32 v9, s0, v9
	v_and_b32_e32 v5, v5, v8
	v_cmp_gt_i32_e64 s0, 0, v3
	v_ashrrev_i32_e32 v3, 31, v7
	s_wait_alu 0xfffd
	v_xor_b32_e32 v6, vcc_lo, v6
	v_add_nc_u32_e32 v74, v2, v4
	v_and_b32_e32 v5, v5, v9
	s_wait_alu 0xf1ff
	v_xor_b32_e32 v3, s0, v3
	ds_load_b32 v69, v74 offset:128
	v_and_b32_e32 v4, v5, v6
	; wave barrier
	s_delay_alu instid0(VALU_DEP_1) | instskip(NEXT) | instid1(VALU_DEP_1)
	v_and_b32_e32 v3, v4, v3
	v_mbcnt_lo_u32_b32 v70, v3, 0
	v_cmp_ne_u32_e64 s0, 0, v3
	s_delay_alu instid0(VALU_DEP_2)
	v_cmp_eq_u32_e32 vcc_lo, 0, v70
	s_and_b32 s1, s0, vcc_lo
	s_wait_alu 0xfffe
	s_and_saveexec_b32 s0, s1
	s_cbranch_execz .LBB190_183
; %bb.182:
	s_wait_dscnt 0x0
	v_bcnt_u32_b32 v3, v3, v69
	ds_store_b32 v74, v3 offset:128
.LBB190_183:
	s_wait_alu 0xfffe
	s_or_b32 exec_lo, exec_lo, s0
	v_lshrrev_b32_e32 v3, s44, v26
	; wave barrier
	s_delay_alu instid0(VALU_DEP_1) | instskip(NEXT) | instid1(VALU_DEP_1)
	v_and_b32_e32 v3, s10, v3
	v_and_b32_e32 v5, 1, v3
	v_lshlrev_b32_e32 v6, 30, v3
	v_lshlrev_b32_e32 v7, 29, v3
	;; [unrolled: 1-line block ×4, first 2 shown]
	v_add_co_u32 v5, s0, v5, -1
	s_wait_alu 0xf1ff
	v_cndmask_b32_e64 v9, 0, 1, s0
	v_not_b32_e32 v75, v6
	v_cmp_gt_i32_e64 s0, 0, v6
	v_not_b32_e32 v6, v7
	v_lshlrev_b32_e32 v72, 26, v3
	v_cmp_ne_u32_e32 vcc_lo, 0, v9
	v_ashrrev_i32_e32 v9, 31, v75
	v_lshlrev_b32_e32 v73, 25, v3
	v_ashrrev_i32_e32 v6, 31, v6
	v_mul_lo_u32 v4, 0x84, v3
	s_wait_alu 0xfffd
	v_xor_b32_e32 v5, vcc_lo, v5
	v_cmp_gt_i32_e32 vcc_lo, 0, v7
	v_not_b32_e32 v7, v8
	s_wait_alu 0xf1ff
	v_xor_b32_e32 v9, s0, v9
	v_cmp_gt_i32_e64 s0, 0, v8
	v_and_b32_e32 v5, exec_lo, v5
	v_not_b32_e32 v8, v58
	v_ashrrev_i32_e32 v7, 31, v7
	s_wait_alu 0xfffd
	v_xor_b32_e32 v6, vcc_lo, v6
	v_cmp_gt_i32_e32 vcc_lo, 0, v58
	v_and_b32_e32 v5, v5, v9
	v_not_b32_e32 v9, v72
	v_ashrrev_i32_e32 v8, 31, v8
	s_wait_alu 0xf1ff
	v_xor_b32_e32 v7, s0, v7
	v_lshlrev_b32_e32 v3, 24, v3
	v_and_b32_e32 v5, v5, v6
	v_cmp_gt_i32_e64 s0, 0, v72
	v_not_b32_e32 v6, v73
	v_ashrrev_i32_e32 v9, 31, v9
	s_wait_alu 0xfffd
	v_xor_b32_e32 v8, vcc_lo, v8
	v_and_b32_e32 v5, v5, v7
	v_cmp_gt_i32_e32 vcc_lo, 0, v73
	v_not_b32_e32 v7, v3
	v_ashrrev_i32_e32 v6, 31, v6
	s_wait_alu 0xf1ff
	v_xor_b32_e32 v9, s0, v9
	v_and_b32_e32 v5, v5, v8
	v_cmp_gt_i32_e64 s0, 0, v3
	v_ashrrev_i32_e32 v3, 31, v7
	s_wait_alu 0xfffd
	v_xor_b32_e32 v6, vcc_lo, v6
	v_add_nc_u32_e32 v78, v2, v4
	v_and_b32_e32 v5, v5, v9
	s_wait_alu 0xf1ff
	v_xor_b32_e32 v2, s0, v3
	ds_load_b32 v72, v78 offset:128
	v_and_b32_e32 v3, v5, v6
	; wave barrier
	s_delay_alu instid0(VALU_DEP_1) | instskip(NEXT) | instid1(VALU_DEP_1)
	v_and_b32_e32 v2, v3, v2
	v_mbcnt_lo_u32_b32 v73, v2, 0
	v_cmp_ne_u32_e64 s0, 0, v2
	s_delay_alu instid0(VALU_DEP_2)
	v_cmp_eq_u32_e32 vcc_lo, 0, v73
	s_and_b32 s1, s0, vcc_lo
	s_wait_alu 0xfffe
	s_and_saveexec_b32 s0, s1
	s_cbranch_execz .LBB190_185
; %bb.184:
	s_wait_dscnt 0x0
	v_bcnt_u32_b32 v2, v2, v72
	ds_store_b32 v78, v2 offset:128
.LBB190_185:
	s_wait_alu 0xfffe
	s_or_b32 exec_lo, exec_lo, s0
	; wave barrier
	s_wait_loadcnt_dscnt 0x0
	s_barrier_signal -1
	s_barrier_wait -1
	global_inv scope:SCOPE_SE
	ds_load_2addr_b32 v[8:9], v29 offset0:32 offset1:33
	ds_load_2addr_b32 v[6:7], v29 offset0:34 offset1:35
	;; [unrolled: 1-line block ×4, first 2 shown]
	ds_load_b32 v58, v29 offset:160
	v_and_b32_e32 v77, 16, v36
	v_and_b32_e32 v79, 31, v1
	s_mov_b32 s6, exec_lo
	s_delay_alu instid0(VALU_DEP_2) | instskip(SKIP_3) | instid1(VALU_DEP_1)
	v_cmp_eq_u32_e64 s4, 0, v77
	s_wait_dscnt 0x3
	v_add3_u32 v75, v9, v8, v6
	s_wait_dscnt 0x2
	v_add3_u32 v75, v75, v7, v4
	s_wait_dscnt 0x1
	s_delay_alu instid0(VALU_DEP_1) | instskip(SKIP_1) | instid1(VALU_DEP_1)
	v_add3_u32 v75, v75, v5, v2
	s_wait_dscnt 0x0
	v_add3_u32 v58, v75, v3, v58
	v_and_b32_e32 v75, 15, v36
	s_delay_alu instid0(VALU_DEP_2) | instskip(NEXT) | instid1(VALU_DEP_2)
	v_mov_b32_dpp v76, v58 row_shr:1 row_mask:0xf bank_mask:0xf
	v_cmp_eq_u32_e32 vcc_lo, 0, v75
	v_cmp_lt_u32_e64 s0, 1, v75
	v_cmp_lt_u32_e64 s1, 3, v75
	;; [unrolled: 1-line block ×3, first 2 shown]
	s_wait_alu 0xfffd
	v_cndmask_b32_e64 v76, v76, 0, vcc_lo
	s_delay_alu instid0(VALU_DEP_1) | instskip(NEXT) | instid1(VALU_DEP_1)
	v_add_nc_u32_e32 v58, v76, v58
	v_mov_b32_dpp v76, v58 row_shr:2 row_mask:0xf bank_mask:0xf
	s_wait_alu 0xf1ff
	s_delay_alu instid0(VALU_DEP_1) | instskip(NEXT) | instid1(VALU_DEP_1)
	v_cndmask_b32_e64 v76, 0, v76, s0
	v_add_nc_u32_e32 v58, v58, v76
	s_delay_alu instid0(VALU_DEP_1) | instskip(NEXT) | instid1(VALU_DEP_1)
	v_mov_b32_dpp v76, v58 row_shr:4 row_mask:0xf bank_mask:0xf
	v_cndmask_b32_e64 v76, 0, v76, s1
	s_delay_alu instid0(VALU_DEP_1) | instskip(NEXT) | instid1(VALU_DEP_1)
	v_add_nc_u32_e32 v58, v58, v76
	v_mov_b32_dpp v76, v58 row_shr:8 row_mask:0xf bank_mask:0xf
	s_delay_alu instid0(VALU_DEP_1) | instskip(SKIP_1) | instid1(VALU_DEP_2)
	v_cndmask_b32_e64 v75, 0, v76, s3
	v_bfe_i32 v76, v36, 4, 1
	v_add_nc_u32_e32 v58, v58, v75
	ds_swizzle_b32 v75, v58 offset:swizzle(BROADCAST,32,15)
	s_wait_dscnt 0x0
	v_and_b32_e32 v75, v76, v75
	v_lshrrev_b32_e32 v76, 5, v1
	s_delay_alu instid0(VALU_DEP_2)
	v_add_nc_u32_e32 v75, v58, v75
	v_cmpx_eq_u32_e32 31, v79
; %bb.186:
	s_delay_alu instid0(VALU_DEP_3)
	v_lshlrev_b32_e32 v58, 2, v76
	ds_store_b32 v58, v75
; %bb.187:
	s_or_b32 exec_lo, exec_lo, s6
	v_cmp_lt_u32_e64 s5, 31, v1
	v_lshlrev_b32_e32 v58, 2, v1
	s_mov_b32 s11, exec_lo
	s_wait_loadcnt_dscnt 0x0
	s_barrier_signal -1
	s_barrier_wait -1
	global_inv scope:SCOPE_SE
	v_cmpx_gt_u32_e32 32, v1
	s_cbranch_execz .LBB190_189
; %bb.188:
	ds_load_b32 v77, v58
	s_wait_dscnt 0x0
	v_mov_b32_dpp v79, v77 row_shr:1 row_mask:0xf bank_mask:0xf
	s_delay_alu instid0(VALU_DEP_1) | instskip(NEXT) | instid1(VALU_DEP_1)
	v_cndmask_b32_e64 v79, v79, 0, vcc_lo
	v_add_nc_u32_e32 v77, v79, v77
	s_delay_alu instid0(VALU_DEP_1) | instskip(NEXT) | instid1(VALU_DEP_1)
	v_mov_b32_dpp v79, v77 row_shr:2 row_mask:0xf bank_mask:0xf
	v_cndmask_b32_e64 v79, 0, v79, s0
	s_delay_alu instid0(VALU_DEP_1) | instskip(NEXT) | instid1(VALU_DEP_1)
	v_add_nc_u32_e32 v77, v77, v79
	v_mov_b32_dpp v79, v77 row_shr:4 row_mask:0xf bank_mask:0xf
	s_delay_alu instid0(VALU_DEP_1) | instskip(NEXT) | instid1(VALU_DEP_1)
	v_cndmask_b32_e64 v79, 0, v79, s1
	v_add_nc_u32_e32 v77, v77, v79
	s_delay_alu instid0(VALU_DEP_1) | instskip(NEXT) | instid1(VALU_DEP_1)
	v_mov_b32_dpp v79, v77 row_shr:8 row_mask:0xf bank_mask:0xf
	v_cndmask_b32_e64 v79, 0, v79, s3
	s_delay_alu instid0(VALU_DEP_1) | instskip(SKIP_3) | instid1(VALU_DEP_1)
	v_add_nc_u32_e32 v77, v77, v79
	ds_swizzle_b32 v79, v77 offset:swizzle(BROADCAST,32,15)
	s_wait_dscnt 0x0
	v_cndmask_b32_e64 v79, v79, 0, s4
	v_add_nc_u32_e32 v77, v77, v79
	ds_store_b32 v58, v77
.LBB190_189:
	s_wait_alu 0xfffe
	s_or_b32 exec_lo, exec_lo, s11
	v_mov_b32_e32 v77, 0
	s_wait_loadcnt_dscnt 0x0
	s_barrier_signal -1
	s_barrier_wait -1
	global_inv scope:SCOPE_SE
	s_and_saveexec_b32 s0, s5
; %bb.190:
	v_lshl_add_u32 v76, v76, 2, -4
	ds_load_b32 v77, v76
; %bb.191:
	s_wait_alu 0xfffe
	s_or_b32 exec_lo, exec_lo, s0
	v_sub_co_u32 v76, vcc_lo, v36, 1
	s_wait_dscnt 0x0
	v_add_nc_u32_e32 v75, v77, v75
	s_delay_alu instid0(VALU_DEP_2) | instskip(SKIP_1) | instid1(VALU_DEP_1)
	v_cmp_gt_i32_e64 s0, 0, v76
	s_wait_alu 0xf1ff
	v_cndmask_b32_e64 v76, v76, v36, s0
	v_cmp_lt_u32_e64 s0, 0xff, v1
	s_delay_alu instid0(VALU_DEP_2)
	v_lshlrev_b32_e32 v76, 2, v76
	ds_bpermute_b32 v75, v76, v75
	s_wait_dscnt 0x0
	s_wait_alu 0xfffd
	v_cndmask_b32_e32 v75, v75, v77, vcc_lo
	v_cmp_gt_u32_e32 vcc_lo, 0x100, v1
	s_delay_alu instid0(VALU_DEP_2) | instskip(NEXT) | instid1(VALU_DEP_1)
	v_cndmask_b32_e64 v75, v75, 0, s2
	v_add_nc_u32_e32 v8, v75, v8
	s_delay_alu instid0(VALU_DEP_1) | instskip(NEXT) | instid1(VALU_DEP_1)
	v_add_nc_u32_e32 v9, v8, v9
	v_add_nc_u32_e32 v6, v9, v6
	s_delay_alu instid0(VALU_DEP_1) | instskip(NEXT) | instid1(VALU_DEP_1)
	v_add_nc_u32_e32 v7, v6, v7
	;; [unrolled: 3-line block ×3, first 2 shown]
	v_add_nc_u32_e32 v2, v5, v2
	s_delay_alu instid0(VALU_DEP_1)
	v_add_nc_u32_e32 v3, v2, v3
	ds_store_2addr_b32 v29, v75, v8 offset0:32 offset1:33
	ds_store_2addr_b32 v29, v9, v6 offset0:34 offset1:35
	;; [unrolled: 1-line block ×4, first 2 shown]
	ds_store_b32 v29, v3 offset:160
	s_wait_loadcnt_dscnt 0x0
	s_barrier_signal -1
	s_barrier_wait -1
	global_inv scope:SCOPE_SE
	ds_load_b32 v8, v33 offset:128
	ds_load_b32 v9, v37 offset:128
	ds_load_b32 v29, v40 offset:128
	ds_load_b32 v33, v43 offset:128
	ds_load_b32 v75, v46 offset:128
	ds_load_b32 v76, v49 offset:128
	ds_load_b32 v77, v52 offset:128
	ds_load_b32 v79, v55 offset:128
	ds_load_b32 v43, v30 offset:128
	ds_load_b32 v30, v59 offset:128
	ds_load_b32 v59, v62 offset:128
	ds_load_b32 v55, v65 offset:128
	ds_load_b32 v52, v68 offset:128
	ds_load_b32 v49, v71 offset:128
	ds_load_b32 v46, v74 offset:128
	ds_load_b32 v62, v78 offset:128
                                        ; implicit-def: $vgpr37
                                        ; implicit-def: $vgpr40
	s_and_saveexec_b32 s2, vcc_lo
	s_cbranch_execz .LBB190_195
; %bb.192:
	v_mul_u32_u24_e32 v2, 0x84, v1
	v_add_nc_u32_e32 v3, 1, v1
	s_mov_b32 s3, exec_lo
	ds_load_b32 v37, v2 offset:128
	v_mov_b32_e32 v2, 0x4000
	v_cmpx_ne_u32_e32 0x100, v3
; %bb.193:
	v_mul_u32_u24_e32 v2, 0x84, v3
	ds_load_b32 v2, v2 offset:128
; %bb.194:
	s_wait_alu 0xfffe
	s_or_b32 exec_lo, exec_lo, s3
	s_wait_dscnt 0x0
	v_sub_nc_u32_e32 v40, v2, v37
.LBB190_195:
	s_wait_alu 0xfffe
	s_or_b32 exec_lo, exec_lo, s2
	v_mov_b32_e32 v3, 0
	s_wait_loadcnt_dscnt 0x0
	s_barrier_signal -1
	s_barrier_wait -1
	global_inv scope:SCOPE_SE
	s_and_saveexec_b32 s1, vcc_lo
	s_cbranch_execz .LBB190_205
; %bb.196:
	v_lshl_add_u32 v2, s25, 8, v1
	v_mov_b32_e32 v65, 0
	s_mov_b32 s2, 0
	s_mov_b32 s3, s25
                                        ; implicit-def: $sgpr4
	s_delay_alu instid0(VALU_DEP_2) | instskip(SKIP_1) | instid1(VALU_DEP_2)
	v_lshlrev_b64_e32 v[4:5], 2, v[2:3]
	v_or_b32_e32 v2, 2.0, v40
	v_add_co_u32 v4, vcc_lo, s26, v4
	s_wait_alu 0xfffd
	s_delay_alu instid0(VALU_DEP_3)
	v_add_co_ci_u32_e64 v5, null, s27, v5, vcc_lo
	global_store_b32 v[4:5], v2, off scope:SCOPE_DEV
	s_branch .LBB190_199
.LBB190_197:                            ;   in Loop: Header=BB190_199 Depth=1
	s_or_b32 exec_lo, exec_lo, s5
.LBB190_198:                            ;   in Loop: Header=BB190_199 Depth=1
	s_delay_alu instid0(SALU_CYCLE_1) | instskip(SKIP_2) | instid1(VALU_DEP_2)
	s_or_b32 exec_lo, exec_lo, s4
	v_and_b32_e32 v6, 0x3fffffff, v2
	v_cmp_gt_i32_e64 s4, -2.0, v2
	v_add_nc_u32_e32 v65, v6, v65
	s_and_b32 s5, exec_lo, s4
	s_wait_alu 0xfffe
	s_or_b32 s2, s5, s2
	s_wait_alu 0xfffe
	s_and_not1_b32 exec_lo, exec_lo, s2
	s_cbranch_execz .LBB190_204
.LBB190_199:                            ; =>This Loop Header: Depth=1
                                        ;     Child Loop BB190_202 Depth 2
	s_or_b32 s4, s4, exec_lo
	s_wait_alu 0xfffe
	s_cmp_eq_u32 s3, 0
	s_cbranch_scc1 .LBB190_203
; %bb.200:                              ;   in Loop: Header=BB190_199 Depth=1
	s_add_co_i32 s3, s3, -1
	s_mov_b32 s4, exec_lo
	s_wait_alu 0xfffe
	v_lshl_or_b32 v2, s3, 8, v1
	s_delay_alu instid0(VALU_DEP_1) | instskip(NEXT) | instid1(VALU_DEP_1)
	v_lshlrev_b64_e32 v[6:7], 2, v[2:3]
	v_add_co_u32 v6, vcc_lo, s26, v6
	s_wait_alu 0xfffd
	s_delay_alu instid0(VALU_DEP_2)
	v_add_co_ci_u32_e64 v7, null, s27, v7, vcc_lo
	global_load_b32 v2, v[6:7], off scope:SCOPE_DEV
	s_wait_loadcnt 0x0
	v_cmpx_gt_u32_e32 2.0, v2
	s_cbranch_execz .LBB190_198
; %bb.201:                              ;   in Loop: Header=BB190_199 Depth=1
	s_mov_b32 s5, 0
.LBB190_202:                            ;   Parent Loop BB190_199 Depth=1
                                        ; =>  This Inner Loop Header: Depth=2
	global_load_b32 v2, v[6:7], off scope:SCOPE_DEV
	s_wait_loadcnt 0x0
	v_cmp_lt_u32_e32 vcc_lo, 0x3fffffff, v2
	s_wait_alu 0xfffe
	s_or_b32 s5, vcc_lo, s5
	s_wait_alu 0xfffe
	s_and_not1_b32 exec_lo, exec_lo, s5
	s_cbranch_execnz .LBB190_202
	s_branch .LBB190_197
.LBB190_203:                            ;   in Loop: Header=BB190_199 Depth=1
                                        ; implicit-def: $sgpr3
	s_and_b32 s5, exec_lo, s4
	s_wait_alu 0xfffe
	s_or_b32 s2, s5, s2
	s_wait_alu 0xfffe
	s_and_not1_b32 exec_lo, exec_lo, s2
	s_cbranch_execnz .LBB190_199
.LBB190_204:
	s_or_b32 exec_lo, exec_lo, s2
	v_add_nc_u32_e32 v2, v65, v40
	v_sub_nc_u32_e32 v3, v65, v37
	s_delay_alu instid0(VALU_DEP_2)
	v_or_b32_e32 v2, 0x80000000, v2
	global_store_b32 v[4:5], v2, off scope:SCOPE_DEV
	global_load_b32 v2, v58, s[28:29]
	s_wait_loadcnt 0x0
	v_add_nc_u32_e32 v2, v3, v2
	ds_store_b32 v58, v2
.LBB190_205:
	s_wait_alu 0xfffe
	s_or_b32 exec_lo, exec_lo, s1
	v_dual_mov_b32 v3, 0 :: v_dual_add_nc_u32 v0, v43, v0
	v_or_b32_e32 v4, 0x1c00, v1
	v_add3_u32 v43, v73, v62, v72
	v_add3_u32 v46, v70, v46, v69
	;; [unrolled: 1-line block ×15, first 2 shown]
	s_mov_b32 s2, 32
	s_mov_b32 s3, 0
	s_mov_b32 s5, -1
	s_mov_b32 s4, 0
.LBB190_206:                            ; =>This Inner Loop Header: Depth=1
	s_wait_alu 0xfffe
	v_add_nc_u32_e32 v2, s4, v0
	v_add_nc_u32_e32 v5, s4, v45
	;; [unrolled: 1-line block ×16, first 2 shown]
	v_min_u32_e32 v2, 0x2000, v2
	v_min_u32_e32 v5, 0x2000, v5
	;; [unrolled: 1-line block ×16, first 2 shown]
	v_lshlrev_b32_e32 v2, 2, v2
	v_lshlrev_b32_e32 v5, 2, v5
	;; [unrolled: 1-line block ×16, first 2 shown]
	ds_store_b32 v2, v11 offset:1024
	ds_store_b32 v5, v12 offset:1024
	ds_store_b32 v6, v13 offset:1024
	ds_store_b32 v7, v14 offset:1024
	ds_store_b32 v8, v15 offset:1024
	ds_store_b32 v9, v16 offset:1024
	ds_store_b32 v27, v17 offset:1024
	ds_store_b32 v28, v18 offset:1024
	ds_store_b32 v29, v19 offset:1024
	ds_store_b32 v30, v20 offset:1024
	ds_store_b32 v31, v21 offset:1024
	ds_store_b32 v32, v22 offset:1024
	ds_store_b32 v33, v23 offset:1024
	ds_store_b32 v34, v24 offset:1024
	ds_store_b32 v35, v25 offset:1024
	ds_store_b32 v48, v26 offset:1024
	s_wait_storecnt 0x0
	s_wait_loadcnt_dscnt 0x0
	s_barrier_signal -1
	s_barrier_wait -1
	global_inv scope:SCOPE_SE
	ds_load_2addr_stride64_b32 v[31:32], v58 offset0:4 offset1:20
	ds_load_2addr_stride64_b32 v[33:34], v58 offset0:36 offset1:52
	;; [unrolled: 1-line block ×4, first 2 shown]
	s_addk_co_i32 s4, 0xe000
	s_and_b32 vcc_lo, exec_lo, s5
	s_mov_b32 s5, 0
	s_wait_dscnt 0x3
	v_lshrrev_b32_e32 v2, s44, v31
	v_lshrrev_b32_e32 v6, s44, v32
	s_wait_dscnt 0x2
	v_lshrrev_b32_e32 v7, s44, v33
	v_lshrrev_b32_e32 v8, s44, v34
	;; [unrolled: 3-line block ×4, first 2 shown]
	v_and_b32_e32 v5, s10, v2
	v_and_b32_e32 v6, s10, v6
	;; [unrolled: 1-line block ×8, first 2 shown]
	v_lshlrev_b32_e32 v2, 2, v5
	v_lshlrev_b32_e32 v9, 2, v6
	;; [unrolled: 1-line block ×5, first 2 shown]
	s_clause 0x1
	scratch_store_b128 off, v[5:8], s3
	scratch_store_b128 off, v[27:30], s3 offset:16
	v_lshlrev_b32_e32 v54, 2, v28
	v_lshlrev_b32_e32 v57, 2, v29
	;; [unrolled: 1-line block ×3, first 2 shown]
	ds_load_b32 v2, v2
	ds_load_b32 v7, v9
	;; [unrolled: 1-line block ×8, first 2 shown]
	s_mov_b32 s3, s2
	s_wait_dscnt 0x7
	v_add3_u32 v2, v4, v2, 0xffffe400
	s_delay_alu instid0(VALU_DEP_1) | instskip(SKIP_2) | instid1(VALU_DEP_1)
	v_lshlrev_b64_e32 v[5:6], 2, v[2:3]
	s_wait_dscnt 0x6
	v_add3_u32 v2, v4, v7, 0xffffe800
	v_lshlrev_b64_e32 v[7:8], 2, v[2:3]
	s_wait_dscnt 0x5
	v_add3_u32 v2, v4, v9, 0xffffec00
	v_add_co_u32 v5, s1, s38, v5
	s_wait_alu 0xf1ff
	v_add_co_ci_u32_e64 v6, null, s39, v6, s1
	s_delay_alu instid0(VALU_DEP_3)
	v_lshlrev_b64_e32 v[27:28], 2, v[2:3]
	s_wait_dscnt 0x4
	v_add3_u32 v2, v4, v29, 0xfffff000
	v_add_co_u32 v7, s1, s38, v7
	s_wait_alu 0xf1ff
	v_add_co_ci_u32_e64 v8, null, s39, v8, s1
	global_store_b32 v[5:6], v31, off
	v_lshlrev_b64_e32 v[5:6], 2, v[2:3]
	s_wait_dscnt 0x3
	v_add3_u32 v2, v4, v30, 0xfffff400
	global_store_b32 v[7:8], v32, off
	v_add_co_u32 v7, s1, s38, v27
	s_wait_alu 0xf1ff
	v_add_co_ci_u32_e64 v8, null, s39, v28, s1
	v_lshlrev_b64_e32 v[27:28], 2, v[2:3]
	s_wait_dscnt 0x2
	v_add3_u32 v2, v4, v35, 0xfffff800
	v_add_co_u32 v5, s1, s38, v5
	s_wait_alu 0xf1ff
	v_add_co_ci_u32_e64 v6, null, s39, v6, s1
	global_store_b32 v[7:8], v33, off
	v_lshlrev_b64_e32 v[7:8], 2, v[2:3]
	s_wait_dscnt 0x1
	v_add3_u32 v2, v4, v48, 0xfffffc00
	global_store_b32 v[5:6], v34, off
	v_add_co_u32 v5, s1, s38, v27
	s_wait_alu 0xf1ff
	v_add_co_ci_u32_e64 v6, null, s39, v28, s1
	v_lshlrev_b64_e32 v[27:28], 2, v[2:3]
	s_wait_dscnt 0x0
	v_add_nc_u32_e32 v2, v4, v51
	v_add_co_u32 v7, s1, s38, v7
	s_wait_alu 0xf1ff
	v_add_co_ci_u32_e64 v8, null, s39, v8, s1
	global_store_b32 v[5:6], v59, off
	v_lshlrev_b64_e32 v[5:6], 2, v[2:3]
	v_add_nc_u32_e32 v4, 0x2000, v4
	global_store_b32 v[7:8], v60, off
	v_add_co_u32 v7, s1, s38, v27
	s_wait_alu 0xf1ff
	v_add_co_ci_u32_e64 v8, null, s39, v28, s1
	v_add_co_u32 v5, s1, s38, v5
	s_wait_alu 0xf1ff
	v_add_co_ci_u32_e64 v6, null, s39, v6, s1
	s_clause 0x1
	global_store_b32 v[7:8], v61, off
	global_store_b32 v[5:6], v62, off
	s_wait_loadcnt 0x0
	s_wait_storecnt 0x0
	s_barrier_signal -1
	s_barrier_wait -1
	global_inv scope:SCOPE_SE
	s_wait_alu 0xfffe
	s_cbranch_vccnz .LBB190_206
; %bb.207:
	v_dual_mov_b32 v35, 0 :: v_dual_lshlrev_b32 v2, 3, v36
	s_lshl_b64 s[2:3], s[8:9], 3
	v_lshlrev_b32_e32 v3, 3, v10
	s_wait_alu 0xfffe
	s_add_nc_u64 s[2:3], s[40:41], s[2:3]
	v_lshlrev_b32_e32 v36, 3, v1
	s_wait_alu 0xfffe
	v_add_co_u32 v2, s1, s2, v2
	s_wait_alu 0xf1ff
	v_add_co_ci_u32_e64 v4, null, s3, 0, s1
	v_or_b32_e32 v1, 0xc00, v1
	s_delay_alu instid0(VALU_DEP_3) | instskip(SKIP_1) | instid1(VALU_DEP_3)
	v_add_co_u32 v32, vcc_lo, v2, v3
	s_wait_alu 0xfffd
	v_add_co_ci_u32_e64 v33, null, 0, v4, vcc_lo
	s_or_b32 s1, 0, 8
	s_mov_b32 s2, 0
	s_clause 0xf
	global_load_b64 v[2:3], v[32:33], off
	global_load_b64 v[4:5], v[32:33], off offset:256
	global_load_b64 v[6:7], v[32:33], off offset:512
	;; [unrolled: 1-line block ×15, first 2 shown]
.LBB190_208:                            ; =>This Inner Loop Header: Depth=1
	s_wait_alu 0xfffe
	v_add_nc_u32_e32 v34, s2, v0
	v_add_nc_u32_e32 v48, s2, v45
	v_add_nc_u32_e32 v51, s2, v42
	v_add_nc_u32_e32 v54, s2, v39
	v_add_nc_u32_e32 v57, s2, v38
	v_add_nc_u32_e32 v59, s2, v41
	v_add_nc_u32_e32 v60, s2, v44
	v_add_nc_u32_e32 v61, s2, v47
	v_add_nc_u32_e32 v62, s2, v50
	v_add_nc_u32_e32 v63, s2, v53
	v_add_nc_u32_e32 v64, s2, v56
	v_add_nc_u32_e32 v65, s2, v55
	v_add_nc_u32_e32 v66, s2, v52
	v_add_nc_u32_e32 v67, s2, v49
	v_add_nc_u32_e32 v68, s2, v46
	v_add_nc_u32_e32 v69, s2, v43
	v_min_u32_e32 v34, 0x1000, v34
	v_min_u32_e32 v48, 0x1000, v48
	;; [unrolled: 1-line block ×16, first 2 shown]
	v_lshlrev_b32_e32 v34, 3, v34
	v_lshlrev_b32_e32 v48, 3, v48
	;; [unrolled: 1-line block ×16, first 2 shown]
	s_wait_loadcnt 0xf
	ds_store_b64 v34, v[2:3] offset:1024
	s_wait_loadcnt 0xe
	ds_store_b64 v48, v[4:5] offset:1024
	;; [unrolled: 2-line block ×16, first 2 shown]
	s_wait_dscnt 0x0
	s_barrier_signal -1
	s_barrier_wait -1
	global_inv scope:SCOPE_SE
	scratch_load_b128 v[59:62], off, s1 offset:-8
	ds_load_2addr_stride64_b64 v[63:66], v36 offset0:2 offset1:18
	ds_load_2addr_stride64_b64 v[67:70], v36 offset0:34 offset1:50
	s_addk_co_i32 s2, 0xf000
	s_add_co_i32 s1, s1, 16
	s_wait_alu 0xfffe
	s_cmp_lg_u32 s2, 0xffffc000
	s_wait_loadcnt 0x0
	v_lshlrev_b32_e32 v34, 2, v59
	v_lshlrev_b32_e32 v48, 2, v60
	;; [unrolled: 1-line block ×4, first 2 shown]
	ds_load_b32 v34, v34
	ds_load_b32 v48, v48
	;; [unrolled: 1-line block ×4, first 2 shown]
	s_wait_dscnt 0x3
	v_add3_u32 v34, v1, v34, 0xfffff400
	s_delay_alu instid0(VALU_DEP_1) | instskip(SKIP_2) | instid1(VALU_DEP_1)
	v_lshlrev_b64_e32 v[59:60], 3, v[34:35]
	s_wait_dscnt 0x2
	v_add3_u32 v34, v1, v48, 0xfffff800
	v_lshlrev_b64_e32 v[61:62], 3, v[34:35]
	s_wait_dscnt 0x1
	v_add3_u32 v34, v1, v51, 0xfffffc00
	v_add_co_u32 v59, vcc_lo, s42, v59
	s_wait_alu 0xfffd
	v_add_co_ci_u32_e64 v60, null, s43, v60, vcc_lo
	s_delay_alu instid0(VALU_DEP_3)
	v_lshlrev_b64_e32 v[71:72], 3, v[34:35]
	s_wait_dscnt 0x0
	v_add_nc_u32_e32 v34, v1, v54
	v_add_co_u32 v61, vcc_lo, s42, v61
	s_wait_alu 0xfffd
	v_add_co_ci_u32_e64 v62, null, s43, v62, vcc_lo
	global_store_b64 v[59:60], v[63:64], off
	v_lshlrev_b64_e32 v[59:60], 3, v[34:35]
	v_add_nc_u32_e32 v1, 0x1000, v1
	global_store_b64 v[61:62], v[65:66], off
	v_add_co_u32 v61, vcc_lo, s42, v71
	s_wait_alu 0xfffd
	v_add_co_ci_u32_e64 v62, null, s43, v72, vcc_lo
	v_add_co_u32 v59, vcc_lo, s42, v59
	s_wait_alu 0xfffd
	v_add_co_ci_u32_e64 v60, null, s43, v60, vcc_lo
	s_clause 0x1
	global_store_b64 v[61:62], v[67:68], off
	global_store_b64 v[59:60], v[69:70], off
	s_wait_storecnt 0x0
	s_barrier_signal -1
	s_barrier_wait -1
	global_inv scope:SCOPE_SE
	s_cbranch_scc1 .LBB190_208
; %bb.209:
	s_add_co_i32 s7, s7, -1
	s_delay_alu instid0(SALU_CYCLE_1)
	s_cmp_eq_u32 s25, s7
	s_cselect_b32 s1, -1, 0
	s_xor_b32 s0, s0, -1
	s_wait_alu 0xfffe
	s_and_b32 s0, s0, s1
	s_wait_alu 0xfffe
	s_and_saveexec_b32 s1, s0
	s_cbranch_execz .LBB190_211
; %bb.210:
	ds_load_b32 v0, v58
	s_wait_dscnt 0x0
	v_add3_u32 v0, v37, v40, v0
	global_store_b32 v58, v0, s[30:31]
.LBB190_211:
	s_endpgm
	.section	.rodata,"a",@progbits
	.p2align	6, 0x0
	.amdhsa_kernel _ZN7rocprim17ROCPRIM_400000_NS6detail17trampoline_kernelINS0_14default_configENS1_35radix_sort_onesweep_config_selectorIjN6thrust23THRUST_200600_302600_NS5tupleIffNS6_9null_typeES8_S8_S8_S8_S8_S8_S8_EEEEZZNS1_29radix_sort_onesweep_iterationIS3_Lb0ENS6_6detail15normal_iteratorINS6_10device_ptrIjEEEESG_NSD_INSE_IS9_EEEESI_jNS0_19identity_decomposerENS1_16block_id_wrapperIjLb1EEEEE10hipError_tT1_PNSt15iterator_traitsISN_E10value_typeET2_T3_PNSO_IST_E10value_typeET4_T5_PSY_SZ_PNS1_23onesweep_lookback_stateEbbT6_jjT7_P12ihipStream_tbENKUlT_T0_SN_SS_E_clISG_PjSI_PS9_EEDaS16_S17_SN_SS_EUlS16_E_NS1_11comp_targetILNS1_3genE10ELNS1_11target_archE1201ELNS1_3gpuE5ELNS1_3repE0EEENS1_47radix_sort_onesweep_sort_config_static_selectorELNS0_4arch9wavefront6targetE0EEEvSN_
		.amdhsa_group_segment_fixed_size 37000
		.amdhsa_private_segment_fixed_size 80
		.amdhsa_kernarg_size 344
		.amdhsa_user_sgpr_count 2
		.amdhsa_user_sgpr_dispatch_ptr 0
		.amdhsa_user_sgpr_queue_ptr 0
		.amdhsa_user_sgpr_kernarg_segment_ptr 1
		.amdhsa_user_sgpr_dispatch_id 0
		.amdhsa_user_sgpr_private_segment_size 0
		.amdhsa_wavefront_size32 1
		.amdhsa_uses_dynamic_stack 0
		.amdhsa_enable_private_segment 1
		.amdhsa_system_sgpr_workgroup_id_x 1
		.amdhsa_system_sgpr_workgroup_id_y 0
		.amdhsa_system_sgpr_workgroup_id_z 0
		.amdhsa_system_sgpr_workgroup_info 0
		.amdhsa_system_vgpr_workitem_id 2
		.amdhsa_next_free_vgpr 82
		.amdhsa_next_free_sgpr 51
		.amdhsa_reserve_vcc 1
		.amdhsa_float_round_mode_32 0
		.amdhsa_float_round_mode_16_64 0
		.amdhsa_float_denorm_mode_32 3
		.amdhsa_float_denorm_mode_16_64 3
		.amdhsa_fp16_overflow 0
		.amdhsa_workgroup_processor_mode 1
		.amdhsa_memory_ordered 1
		.amdhsa_forward_progress 1
		.amdhsa_inst_pref_size 174
		.amdhsa_round_robin_scheduling 0
		.amdhsa_exception_fp_ieee_invalid_op 0
		.amdhsa_exception_fp_denorm_src 0
		.amdhsa_exception_fp_ieee_div_zero 0
		.amdhsa_exception_fp_ieee_overflow 0
		.amdhsa_exception_fp_ieee_underflow 0
		.amdhsa_exception_fp_ieee_inexact 0
		.amdhsa_exception_int_div_zero 0
	.end_amdhsa_kernel
	.section	.text._ZN7rocprim17ROCPRIM_400000_NS6detail17trampoline_kernelINS0_14default_configENS1_35radix_sort_onesweep_config_selectorIjN6thrust23THRUST_200600_302600_NS5tupleIffNS6_9null_typeES8_S8_S8_S8_S8_S8_S8_EEEEZZNS1_29radix_sort_onesweep_iterationIS3_Lb0ENS6_6detail15normal_iteratorINS6_10device_ptrIjEEEESG_NSD_INSE_IS9_EEEESI_jNS0_19identity_decomposerENS1_16block_id_wrapperIjLb1EEEEE10hipError_tT1_PNSt15iterator_traitsISN_E10value_typeET2_T3_PNSO_IST_E10value_typeET4_T5_PSY_SZ_PNS1_23onesweep_lookback_stateEbbT6_jjT7_P12ihipStream_tbENKUlT_T0_SN_SS_E_clISG_PjSI_PS9_EEDaS16_S17_SN_SS_EUlS16_E_NS1_11comp_targetILNS1_3genE10ELNS1_11target_archE1201ELNS1_3gpuE5ELNS1_3repE0EEENS1_47radix_sort_onesweep_sort_config_static_selectorELNS0_4arch9wavefront6targetE0EEEvSN_,"axG",@progbits,_ZN7rocprim17ROCPRIM_400000_NS6detail17trampoline_kernelINS0_14default_configENS1_35radix_sort_onesweep_config_selectorIjN6thrust23THRUST_200600_302600_NS5tupleIffNS6_9null_typeES8_S8_S8_S8_S8_S8_S8_EEEEZZNS1_29radix_sort_onesweep_iterationIS3_Lb0ENS6_6detail15normal_iteratorINS6_10device_ptrIjEEEESG_NSD_INSE_IS9_EEEESI_jNS0_19identity_decomposerENS1_16block_id_wrapperIjLb1EEEEE10hipError_tT1_PNSt15iterator_traitsISN_E10value_typeET2_T3_PNSO_IST_E10value_typeET4_T5_PSY_SZ_PNS1_23onesweep_lookback_stateEbbT6_jjT7_P12ihipStream_tbENKUlT_T0_SN_SS_E_clISG_PjSI_PS9_EEDaS16_S17_SN_SS_EUlS16_E_NS1_11comp_targetILNS1_3genE10ELNS1_11target_archE1201ELNS1_3gpuE5ELNS1_3repE0EEENS1_47radix_sort_onesweep_sort_config_static_selectorELNS0_4arch9wavefront6targetE0EEEvSN_,comdat
.Lfunc_end190:
	.size	_ZN7rocprim17ROCPRIM_400000_NS6detail17trampoline_kernelINS0_14default_configENS1_35radix_sort_onesweep_config_selectorIjN6thrust23THRUST_200600_302600_NS5tupleIffNS6_9null_typeES8_S8_S8_S8_S8_S8_S8_EEEEZZNS1_29radix_sort_onesweep_iterationIS3_Lb0ENS6_6detail15normal_iteratorINS6_10device_ptrIjEEEESG_NSD_INSE_IS9_EEEESI_jNS0_19identity_decomposerENS1_16block_id_wrapperIjLb1EEEEE10hipError_tT1_PNSt15iterator_traitsISN_E10value_typeET2_T3_PNSO_IST_E10value_typeET4_T5_PSY_SZ_PNS1_23onesweep_lookback_stateEbbT6_jjT7_P12ihipStream_tbENKUlT_T0_SN_SS_E_clISG_PjSI_PS9_EEDaS16_S17_SN_SS_EUlS16_E_NS1_11comp_targetILNS1_3genE10ELNS1_11target_archE1201ELNS1_3gpuE5ELNS1_3repE0EEENS1_47radix_sort_onesweep_sort_config_static_selectorELNS0_4arch9wavefront6targetE0EEEvSN_, .Lfunc_end190-_ZN7rocprim17ROCPRIM_400000_NS6detail17trampoline_kernelINS0_14default_configENS1_35radix_sort_onesweep_config_selectorIjN6thrust23THRUST_200600_302600_NS5tupleIffNS6_9null_typeES8_S8_S8_S8_S8_S8_S8_EEEEZZNS1_29radix_sort_onesweep_iterationIS3_Lb0ENS6_6detail15normal_iteratorINS6_10device_ptrIjEEEESG_NSD_INSE_IS9_EEEESI_jNS0_19identity_decomposerENS1_16block_id_wrapperIjLb1EEEEE10hipError_tT1_PNSt15iterator_traitsISN_E10value_typeET2_T3_PNSO_IST_E10value_typeET4_T5_PSY_SZ_PNS1_23onesweep_lookback_stateEbbT6_jjT7_P12ihipStream_tbENKUlT_T0_SN_SS_E_clISG_PjSI_PS9_EEDaS16_S17_SN_SS_EUlS16_E_NS1_11comp_targetILNS1_3genE10ELNS1_11target_archE1201ELNS1_3gpuE5ELNS1_3repE0EEENS1_47radix_sort_onesweep_sort_config_static_selectorELNS0_4arch9wavefront6targetE0EEEvSN_
                                        ; -- End function
	.set _ZN7rocprim17ROCPRIM_400000_NS6detail17trampoline_kernelINS0_14default_configENS1_35radix_sort_onesweep_config_selectorIjN6thrust23THRUST_200600_302600_NS5tupleIffNS6_9null_typeES8_S8_S8_S8_S8_S8_S8_EEEEZZNS1_29radix_sort_onesweep_iterationIS3_Lb0ENS6_6detail15normal_iteratorINS6_10device_ptrIjEEEESG_NSD_INSE_IS9_EEEESI_jNS0_19identity_decomposerENS1_16block_id_wrapperIjLb1EEEEE10hipError_tT1_PNSt15iterator_traitsISN_E10value_typeET2_T3_PNSO_IST_E10value_typeET4_T5_PSY_SZ_PNS1_23onesweep_lookback_stateEbbT6_jjT7_P12ihipStream_tbENKUlT_T0_SN_SS_E_clISG_PjSI_PS9_EEDaS16_S17_SN_SS_EUlS16_E_NS1_11comp_targetILNS1_3genE10ELNS1_11target_archE1201ELNS1_3gpuE5ELNS1_3repE0EEENS1_47radix_sort_onesweep_sort_config_static_selectorELNS0_4arch9wavefront6targetE0EEEvSN_.num_vgpr, 82
	.set _ZN7rocprim17ROCPRIM_400000_NS6detail17trampoline_kernelINS0_14default_configENS1_35radix_sort_onesweep_config_selectorIjN6thrust23THRUST_200600_302600_NS5tupleIffNS6_9null_typeES8_S8_S8_S8_S8_S8_S8_EEEEZZNS1_29radix_sort_onesweep_iterationIS3_Lb0ENS6_6detail15normal_iteratorINS6_10device_ptrIjEEEESG_NSD_INSE_IS9_EEEESI_jNS0_19identity_decomposerENS1_16block_id_wrapperIjLb1EEEEE10hipError_tT1_PNSt15iterator_traitsISN_E10value_typeET2_T3_PNSO_IST_E10value_typeET4_T5_PSY_SZ_PNS1_23onesweep_lookback_stateEbbT6_jjT7_P12ihipStream_tbENKUlT_T0_SN_SS_E_clISG_PjSI_PS9_EEDaS16_S17_SN_SS_EUlS16_E_NS1_11comp_targetILNS1_3genE10ELNS1_11target_archE1201ELNS1_3gpuE5ELNS1_3repE0EEENS1_47radix_sort_onesweep_sort_config_static_selectorELNS0_4arch9wavefront6targetE0EEEvSN_.num_agpr, 0
	.set _ZN7rocprim17ROCPRIM_400000_NS6detail17trampoline_kernelINS0_14default_configENS1_35radix_sort_onesweep_config_selectorIjN6thrust23THRUST_200600_302600_NS5tupleIffNS6_9null_typeES8_S8_S8_S8_S8_S8_S8_EEEEZZNS1_29radix_sort_onesweep_iterationIS3_Lb0ENS6_6detail15normal_iteratorINS6_10device_ptrIjEEEESG_NSD_INSE_IS9_EEEESI_jNS0_19identity_decomposerENS1_16block_id_wrapperIjLb1EEEEE10hipError_tT1_PNSt15iterator_traitsISN_E10value_typeET2_T3_PNSO_IST_E10value_typeET4_T5_PSY_SZ_PNS1_23onesweep_lookback_stateEbbT6_jjT7_P12ihipStream_tbENKUlT_T0_SN_SS_E_clISG_PjSI_PS9_EEDaS16_S17_SN_SS_EUlS16_E_NS1_11comp_targetILNS1_3genE10ELNS1_11target_archE1201ELNS1_3gpuE5ELNS1_3repE0EEENS1_47radix_sort_onesweep_sort_config_static_selectorELNS0_4arch9wavefront6targetE0EEEvSN_.numbered_sgpr, 51
	.set _ZN7rocprim17ROCPRIM_400000_NS6detail17trampoline_kernelINS0_14default_configENS1_35radix_sort_onesweep_config_selectorIjN6thrust23THRUST_200600_302600_NS5tupleIffNS6_9null_typeES8_S8_S8_S8_S8_S8_S8_EEEEZZNS1_29radix_sort_onesweep_iterationIS3_Lb0ENS6_6detail15normal_iteratorINS6_10device_ptrIjEEEESG_NSD_INSE_IS9_EEEESI_jNS0_19identity_decomposerENS1_16block_id_wrapperIjLb1EEEEE10hipError_tT1_PNSt15iterator_traitsISN_E10value_typeET2_T3_PNSO_IST_E10value_typeET4_T5_PSY_SZ_PNS1_23onesweep_lookback_stateEbbT6_jjT7_P12ihipStream_tbENKUlT_T0_SN_SS_E_clISG_PjSI_PS9_EEDaS16_S17_SN_SS_EUlS16_E_NS1_11comp_targetILNS1_3genE10ELNS1_11target_archE1201ELNS1_3gpuE5ELNS1_3repE0EEENS1_47radix_sort_onesweep_sort_config_static_selectorELNS0_4arch9wavefront6targetE0EEEvSN_.num_named_barrier, 0
	.set _ZN7rocprim17ROCPRIM_400000_NS6detail17trampoline_kernelINS0_14default_configENS1_35radix_sort_onesweep_config_selectorIjN6thrust23THRUST_200600_302600_NS5tupleIffNS6_9null_typeES8_S8_S8_S8_S8_S8_S8_EEEEZZNS1_29radix_sort_onesweep_iterationIS3_Lb0ENS6_6detail15normal_iteratorINS6_10device_ptrIjEEEESG_NSD_INSE_IS9_EEEESI_jNS0_19identity_decomposerENS1_16block_id_wrapperIjLb1EEEEE10hipError_tT1_PNSt15iterator_traitsISN_E10value_typeET2_T3_PNSO_IST_E10value_typeET4_T5_PSY_SZ_PNS1_23onesweep_lookback_stateEbbT6_jjT7_P12ihipStream_tbENKUlT_T0_SN_SS_E_clISG_PjSI_PS9_EEDaS16_S17_SN_SS_EUlS16_E_NS1_11comp_targetILNS1_3genE10ELNS1_11target_archE1201ELNS1_3gpuE5ELNS1_3repE0EEENS1_47radix_sort_onesweep_sort_config_static_selectorELNS0_4arch9wavefront6targetE0EEEvSN_.private_seg_size, 80
	.set _ZN7rocprim17ROCPRIM_400000_NS6detail17trampoline_kernelINS0_14default_configENS1_35radix_sort_onesweep_config_selectorIjN6thrust23THRUST_200600_302600_NS5tupleIffNS6_9null_typeES8_S8_S8_S8_S8_S8_S8_EEEEZZNS1_29radix_sort_onesweep_iterationIS3_Lb0ENS6_6detail15normal_iteratorINS6_10device_ptrIjEEEESG_NSD_INSE_IS9_EEEESI_jNS0_19identity_decomposerENS1_16block_id_wrapperIjLb1EEEEE10hipError_tT1_PNSt15iterator_traitsISN_E10value_typeET2_T3_PNSO_IST_E10value_typeET4_T5_PSY_SZ_PNS1_23onesweep_lookback_stateEbbT6_jjT7_P12ihipStream_tbENKUlT_T0_SN_SS_E_clISG_PjSI_PS9_EEDaS16_S17_SN_SS_EUlS16_E_NS1_11comp_targetILNS1_3genE10ELNS1_11target_archE1201ELNS1_3gpuE5ELNS1_3repE0EEENS1_47radix_sort_onesweep_sort_config_static_selectorELNS0_4arch9wavefront6targetE0EEEvSN_.uses_vcc, 1
	.set _ZN7rocprim17ROCPRIM_400000_NS6detail17trampoline_kernelINS0_14default_configENS1_35radix_sort_onesweep_config_selectorIjN6thrust23THRUST_200600_302600_NS5tupleIffNS6_9null_typeES8_S8_S8_S8_S8_S8_S8_EEEEZZNS1_29radix_sort_onesweep_iterationIS3_Lb0ENS6_6detail15normal_iteratorINS6_10device_ptrIjEEEESG_NSD_INSE_IS9_EEEESI_jNS0_19identity_decomposerENS1_16block_id_wrapperIjLb1EEEEE10hipError_tT1_PNSt15iterator_traitsISN_E10value_typeET2_T3_PNSO_IST_E10value_typeET4_T5_PSY_SZ_PNS1_23onesweep_lookback_stateEbbT6_jjT7_P12ihipStream_tbENKUlT_T0_SN_SS_E_clISG_PjSI_PS9_EEDaS16_S17_SN_SS_EUlS16_E_NS1_11comp_targetILNS1_3genE10ELNS1_11target_archE1201ELNS1_3gpuE5ELNS1_3repE0EEENS1_47radix_sort_onesweep_sort_config_static_selectorELNS0_4arch9wavefront6targetE0EEEvSN_.uses_flat_scratch, 1
	.set _ZN7rocprim17ROCPRIM_400000_NS6detail17trampoline_kernelINS0_14default_configENS1_35radix_sort_onesweep_config_selectorIjN6thrust23THRUST_200600_302600_NS5tupleIffNS6_9null_typeES8_S8_S8_S8_S8_S8_S8_EEEEZZNS1_29radix_sort_onesweep_iterationIS3_Lb0ENS6_6detail15normal_iteratorINS6_10device_ptrIjEEEESG_NSD_INSE_IS9_EEEESI_jNS0_19identity_decomposerENS1_16block_id_wrapperIjLb1EEEEE10hipError_tT1_PNSt15iterator_traitsISN_E10value_typeET2_T3_PNSO_IST_E10value_typeET4_T5_PSY_SZ_PNS1_23onesweep_lookback_stateEbbT6_jjT7_P12ihipStream_tbENKUlT_T0_SN_SS_E_clISG_PjSI_PS9_EEDaS16_S17_SN_SS_EUlS16_E_NS1_11comp_targetILNS1_3genE10ELNS1_11target_archE1201ELNS1_3gpuE5ELNS1_3repE0EEENS1_47radix_sort_onesweep_sort_config_static_selectorELNS0_4arch9wavefront6targetE0EEEvSN_.has_dyn_sized_stack, 0
	.set _ZN7rocprim17ROCPRIM_400000_NS6detail17trampoline_kernelINS0_14default_configENS1_35radix_sort_onesweep_config_selectorIjN6thrust23THRUST_200600_302600_NS5tupleIffNS6_9null_typeES8_S8_S8_S8_S8_S8_S8_EEEEZZNS1_29radix_sort_onesweep_iterationIS3_Lb0ENS6_6detail15normal_iteratorINS6_10device_ptrIjEEEESG_NSD_INSE_IS9_EEEESI_jNS0_19identity_decomposerENS1_16block_id_wrapperIjLb1EEEEE10hipError_tT1_PNSt15iterator_traitsISN_E10value_typeET2_T3_PNSO_IST_E10value_typeET4_T5_PSY_SZ_PNS1_23onesweep_lookback_stateEbbT6_jjT7_P12ihipStream_tbENKUlT_T0_SN_SS_E_clISG_PjSI_PS9_EEDaS16_S17_SN_SS_EUlS16_E_NS1_11comp_targetILNS1_3genE10ELNS1_11target_archE1201ELNS1_3gpuE5ELNS1_3repE0EEENS1_47radix_sort_onesweep_sort_config_static_selectorELNS0_4arch9wavefront6targetE0EEEvSN_.has_recursion, 0
	.set _ZN7rocprim17ROCPRIM_400000_NS6detail17trampoline_kernelINS0_14default_configENS1_35radix_sort_onesweep_config_selectorIjN6thrust23THRUST_200600_302600_NS5tupleIffNS6_9null_typeES8_S8_S8_S8_S8_S8_S8_EEEEZZNS1_29radix_sort_onesweep_iterationIS3_Lb0ENS6_6detail15normal_iteratorINS6_10device_ptrIjEEEESG_NSD_INSE_IS9_EEEESI_jNS0_19identity_decomposerENS1_16block_id_wrapperIjLb1EEEEE10hipError_tT1_PNSt15iterator_traitsISN_E10value_typeET2_T3_PNSO_IST_E10value_typeET4_T5_PSY_SZ_PNS1_23onesweep_lookback_stateEbbT6_jjT7_P12ihipStream_tbENKUlT_T0_SN_SS_E_clISG_PjSI_PS9_EEDaS16_S17_SN_SS_EUlS16_E_NS1_11comp_targetILNS1_3genE10ELNS1_11target_archE1201ELNS1_3gpuE5ELNS1_3repE0EEENS1_47radix_sort_onesweep_sort_config_static_selectorELNS0_4arch9wavefront6targetE0EEEvSN_.has_indirect_call, 0
	.section	.AMDGPU.csdata,"",@progbits
; Kernel info:
; codeLenInByte = 22180
; TotalNumSgprs: 53
; NumVgprs: 82
; ScratchSize: 80
; MemoryBound: 0
; FloatMode: 240
; IeeeMode: 1
; LDSByteSize: 37000 bytes/workgroup (compile time only)
; SGPRBlocks: 0
; VGPRBlocks: 10
; NumSGPRsForWavesPerEU: 53
; NumVGPRsForWavesPerEU: 82
; Occupancy: 16
; WaveLimiterHint : 1
; COMPUTE_PGM_RSRC2:SCRATCH_EN: 1
; COMPUTE_PGM_RSRC2:USER_SGPR: 2
; COMPUTE_PGM_RSRC2:TRAP_HANDLER: 0
; COMPUTE_PGM_RSRC2:TGID_X_EN: 1
; COMPUTE_PGM_RSRC2:TGID_Y_EN: 0
; COMPUTE_PGM_RSRC2:TGID_Z_EN: 0
; COMPUTE_PGM_RSRC2:TIDIG_COMP_CNT: 2
	.section	.text._ZN7rocprim17ROCPRIM_400000_NS6detail17trampoline_kernelINS0_14default_configENS1_35radix_sort_onesweep_config_selectorIjN6thrust23THRUST_200600_302600_NS5tupleIffNS6_9null_typeES8_S8_S8_S8_S8_S8_S8_EEEEZZNS1_29radix_sort_onesweep_iterationIS3_Lb0ENS6_6detail15normal_iteratorINS6_10device_ptrIjEEEESG_NSD_INSE_IS9_EEEESI_jNS0_19identity_decomposerENS1_16block_id_wrapperIjLb1EEEEE10hipError_tT1_PNSt15iterator_traitsISN_E10value_typeET2_T3_PNSO_IST_E10value_typeET4_T5_PSY_SZ_PNS1_23onesweep_lookback_stateEbbT6_jjT7_P12ihipStream_tbENKUlT_T0_SN_SS_E_clISG_PjSI_PS9_EEDaS16_S17_SN_SS_EUlS16_E_NS1_11comp_targetILNS1_3genE9ELNS1_11target_archE1100ELNS1_3gpuE3ELNS1_3repE0EEENS1_47radix_sort_onesweep_sort_config_static_selectorELNS0_4arch9wavefront6targetE0EEEvSN_,"axG",@progbits,_ZN7rocprim17ROCPRIM_400000_NS6detail17trampoline_kernelINS0_14default_configENS1_35radix_sort_onesweep_config_selectorIjN6thrust23THRUST_200600_302600_NS5tupleIffNS6_9null_typeES8_S8_S8_S8_S8_S8_S8_EEEEZZNS1_29radix_sort_onesweep_iterationIS3_Lb0ENS6_6detail15normal_iteratorINS6_10device_ptrIjEEEESG_NSD_INSE_IS9_EEEESI_jNS0_19identity_decomposerENS1_16block_id_wrapperIjLb1EEEEE10hipError_tT1_PNSt15iterator_traitsISN_E10value_typeET2_T3_PNSO_IST_E10value_typeET4_T5_PSY_SZ_PNS1_23onesweep_lookback_stateEbbT6_jjT7_P12ihipStream_tbENKUlT_T0_SN_SS_E_clISG_PjSI_PS9_EEDaS16_S17_SN_SS_EUlS16_E_NS1_11comp_targetILNS1_3genE9ELNS1_11target_archE1100ELNS1_3gpuE3ELNS1_3repE0EEENS1_47radix_sort_onesweep_sort_config_static_selectorELNS0_4arch9wavefront6targetE0EEEvSN_,comdat
	.protected	_ZN7rocprim17ROCPRIM_400000_NS6detail17trampoline_kernelINS0_14default_configENS1_35radix_sort_onesweep_config_selectorIjN6thrust23THRUST_200600_302600_NS5tupleIffNS6_9null_typeES8_S8_S8_S8_S8_S8_S8_EEEEZZNS1_29radix_sort_onesweep_iterationIS3_Lb0ENS6_6detail15normal_iteratorINS6_10device_ptrIjEEEESG_NSD_INSE_IS9_EEEESI_jNS0_19identity_decomposerENS1_16block_id_wrapperIjLb1EEEEE10hipError_tT1_PNSt15iterator_traitsISN_E10value_typeET2_T3_PNSO_IST_E10value_typeET4_T5_PSY_SZ_PNS1_23onesweep_lookback_stateEbbT6_jjT7_P12ihipStream_tbENKUlT_T0_SN_SS_E_clISG_PjSI_PS9_EEDaS16_S17_SN_SS_EUlS16_E_NS1_11comp_targetILNS1_3genE9ELNS1_11target_archE1100ELNS1_3gpuE3ELNS1_3repE0EEENS1_47radix_sort_onesweep_sort_config_static_selectorELNS0_4arch9wavefront6targetE0EEEvSN_ ; -- Begin function _ZN7rocprim17ROCPRIM_400000_NS6detail17trampoline_kernelINS0_14default_configENS1_35radix_sort_onesweep_config_selectorIjN6thrust23THRUST_200600_302600_NS5tupleIffNS6_9null_typeES8_S8_S8_S8_S8_S8_S8_EEEEZZNS1_29radix_sort_onesweep_iterationIS3_Lb0ENS6_6detail15normal_iteratorINS6_10device_ptrIjEEEESG_NSD_INSE_IS9_EEEESI_jNS0_19identity_decomposerENS1_16block_id_wrapperIjLb1EEEEE10hipError_tT1_PNSt15iterator_traitsISN_E10value_typeET2_T3_PNSO_IST_E10value_typeET4_T5_PSY_SZ_PNS1_23onesweep_lookback_stateEbbT6_jjT7_P12ihipStream_tbENKUlT_T0_SN_SS_E_clISG_PjSI_PS9_EEDaS16_S17_SN_SS_EUlS16_E_NS1_11comp_targetILNS1_3genE9ELNS1_11target_archE1100ELNS1_3gpuE3ELNS1_3repE0EEENS1_47radix_sort_onesweep_sort_config_static_selectorELNS0_4arch9wavefront6targetE0EEEvSN_
	.globl	_ZN7rocprim17ROCPRIM_400000_NS6detail17trampoline_kernelINS0_14default_configENS1_35radix_sort_onesweep_config_selectorIjN6thrust23THRUST_200600_302600_NS5tupleIffNS6_9null_typeES8_S8_S8_S8_S8_S8_S8_EEEEZZNS1_29radix_sort_onesweep_iterationIS3_Lb0ENS6_6detail15normal_iteratorINS6_10device_ptrIjEEEESG_NSD_INSE_IS9_EEEESI_jNS0_19identity_decomposerENS1_16block_id_wrapperIjLb1EEEEE10hipError_tT1_PNSt15iterator_traitsISN_E10value_typeET2_T3_PNSO_IST_E10value_typeET4_T5_PSY_SZ_PNS1_23onesweep_lookback_stateEbbT6_jjT7_P12ihipStream_tbENKUlT_T0_SN_SS_E_clISG_PjSI_PS9_EEDaS16_S17_SN_SS_EUlS16_E_NS1_11comp_targetILNS1_3genE9ELNS1_11target_archE1100ELNS1_3gpuE3ELNS1_3repE0EEENS1_47radix_sort_onesweep_sort_config_static_selectorELNS0_4arch9wavefront6targetE0EEEvSN_
	.p2align	8
	.type	_ZN7rocprim17ROCPRIM_400000_NS6detail17trampoline_kernelINS0_14default_configENS1_35radix_sort_onesweep_config_selectorIjN6thrust23THRUST_200600_302600_NS5tupleIffNS6_9null_typeES8_S8_S8_S8_S8_S8_S8_EEEEZZNS1_29radix_sort_onesweep_iterationIS3_Lb0ENS6_6detail15normal_iteratorINS6_10device_ptrIjEEEESG_NSD_INSE_IS9_EEEESI_jNS0_19identity_decomposerENS1_16block_id_wrapperIjLb1EEEEE10hipError_tT1_PNSt15iterator_traitsISN_E10value_typeET2_T3_PNSO_IST_E10value_typeET4_T5_PSY_SZ_PNS1_23onesweep_lookback_stateEbbT6_jjT7_P12ihipStream_tbENKUlT_T0_SN_SS_E_clISG_PjSI_PS9_EEDaS16_S17_SN_SS_EUlS16_E_NS1_11comp_targetILNS1_3genE9ELNS1_11target_archE1100ELNS1_3gpuE3ELNS1_3repE0EEENS1_47radix_sort_onesweep_sort_config_static_selectorELNS0_4arch9wavefront6targetE0EEEvSN_,@function
_ZN7rocprim17ROCPRIM_400000_NS6detail17trampoline_kernelINS0_14default_configENS1_35radix_sort_onesweep_config_selectorIjN6thrust23THRUST_200600_302600_NS5tupleIffNS6_9null_typeES8_S8_S8_S8_S8_S8_S8_EEEEZZNS1_29radix_sort_onesweep_iterationIS3_Lb0ENS6_6detail15normal_iteratorINS6_10device_ptrIjEEEESG_NSD_INSE_IS9_EEEESI_jNS0_19identity_decomposerENS1_16block_id_wrapperIjLb1EEEEE10hipError_tT1_PNSt15iterator_traitsISN_E10value_typeET2_T3_PNSO_IST_E10value_typeET4_T5_PSY_SZ_PNS1_23onesweep_lookback_stateEbbT6_jjT7_P12ihipStream_tbENKUlT_T0_SN_SS_E_clISG_PjSI_PS9_EEDaS16_S17_SN_SS_EUlS16_E_NS1_11comp_targetILNS1_3genE9ELNS1_11target_archE1100ELNS1_3gpuE3ELNS1_3repE0EEENS1_47radix_sort_onesweep_sort_config_static_selectorELNS0_4arch9wavefront6targetE0EEEvSN_: ; @_ZN7rocprim17ROCPRIM_400000_NS6detail17trampoline_kernelINS0_14default_configENS1_35radix_sort_onesweep_config_selectorIjN6thrust23THRUST_200600_302600_NS5tupleIffNS6_9null_typeES8_S8_S8_S8_S8_S8_S8_EEEEZZNS1_29radix_sort_onesweep_iterationIS3_Lb0ENS6_6detail15normal_iteratorINS6_10device_ptrIjEEEESG_NSD_INSE_IS9_EEEESI_jNS0_19identity_decomposerENS1_16block_id_wrapperIjLb1EEEEE10hipError_tT1_PNSt15iterator_traitsISN_E10value_typeET2_T3_PNSO_IST_E10value_typeET4_T5_PSY_SZ_PNS1_23onesweep_lookback_stateEbbT6_jjT7_P12ihipStream_tbENKUlT_T0_SN_SS_E_clISG_PjSI_PS9_EEDaS16_S17_SN_SS_EUlS16_E_NS1_11comp_targetILNS1_3genE9ELNS1_11target_archE1100ELNS1_3gpuE3ELNS1_3repE0EEENS1_47radix_sort_onesweep_sort_config_static_selectorELNS0_4arch9wavefront6targetE0EEEvSN_
; %bb.0:
	.section	.rodata,"a",@progbits
	.p2align	6, 0x0
	.amdhsa_kernel _ZN7rocprim17ROCPRIM_400000_NS6detail17trampoline_kernelINS0_14default_configENS1_35radix_sort_onesweep_config_selectorIjN6thrust23THRUST_200600_302600_NS5tupleIffNS6_9null_typeES8_S8_S8_S8_S8_S8_S8_EEEEZZNS1_29radix_sort_onesweep_iterationIS3_Lb0ENS6_6detail15normal_iteratorINS6_10device_ptrIjEEEESG_NSD_INSE_IS9_EEEESI_jNS0_19identity_decomposerENS1_16block_id_wrapperIjLb1EEEEE10hipError_tT1_PNSt15iterator_traitsISN_E10value_typeET2_T3_PNSO_IST_E10value_typeET4_T5_PSY_SZ_PNS1_23onesweep_lookback_stateEbbT6_jjT7_P12ihipStream_tbENKUlT_T0_SN_SS_E_clISG_PjSI_PS9_EEDaS16_S17_SN_SS_EUlS16_E_NS1_11comp_targetILNS1_3genE9ELNS1_11target_archE1100ELNS1_3gpuE3ELNS1_3repE0EEENS1_47radix_sort_onesweep_sort_config_static_selectorELNS0_4arch9wavefront6targetE0EEEvSN_
		.amdhsa_group_segment_fixed_size 0
		.amdhsa_private_segment_fixed_size 0
		.amdhsa_kernarg_size 88
		.amdhsa_user_sgpr_count 2
		.amdhsa_user_sgpr_dispatch_ptr 0
		.amdhsa_user_sgpr_queue_ptr 0
		.amdhsa_user_sgpr_kernarg_segment_ptr 1
		.amdhsa_user_sgpr_dispatch_id 0
		.amdhsa_user_sgpr_private_segment_size 0
		.amdhsa_wavefront_size32 1
		.amdhsa_uses_dynamic_stack 0
		.amdhsa_enable_private_segment 0
		.amdhsa_system_sgpr_workgroup_id_x 1
		.amdhsa_system_sgpr_workgroup_id_y 0
		.amdhsa_system_sgpr_workgroup_id_z 0
		.amdhsa_system_sgpr_workgroup_info 0
		.amdhsa_system_vgpr_workitem_id 0
		.amdhsa_next_free_vgpr 1
		.amdhsa_next_free_sgpr 1
		.amdhsa_reserve_vcc 0
		.amdhsa_float_round_mode_32 0
		.amdhsa_float_round_mode_16_64 0
		.amdhsa_float_denorm_mode_32 3
		.amdhsa_float_denorm_mode_16_64 3
		.amdhsa_fp16_overflow 0
		.amdhsa_workgroup_processor_mode 1
		.amdhsa_memory_ordered 1
		.amdhsa_forward_progress 1
		.amdhsa_inst_pref_size 0
		.amdhsa_round_robin_scheduling 0
		.amdhsa_exception_fp_ieee_invalid_op 0
		.amdhsa_exception_fp_denorm_src 0
		.amdhsa_exception_fp_ieee_div_zero 0
		.amdhsa_exception_fp_ieee_overflow 0
		.amdhsa_exception_fp_ieee_underflow 0
		.amdhsa_exception_fp_ieee_inexact 0
		.amdhsa_exception_int_div_zero 0
	.end_amdhsa_kernel
	.section	.text._ZN7rocprim17ROCPRIM_400000_NS6detail17trampoline_kernelINS0_14default_configENS1_35radix_sort_onesweep_config_selectorIjN6thrust23THRUST_200600_302600_NS5tupleIffNS6_9null_typeES8_S8_S8_S8_S8_S8_S8_EEEEZZNS1_29radix_sort_onesweep_iterationIS3_Lb0ENS6_6detail15normal_iteratorINS6_10device_ptrIjEEEESG_NSD_INSE_IS9_EEEESI_jNS0_19identity_decomposerENS1_16block_id_wrapperIjLb1EEEEE10hipError_tT1_PNSt15iterator_traitsISN_E10value_typeET2_T3_PNSO_IST_E10value_typeET4_T5_PSY_SZ_PNS1_23onesweep_lookback_stateEbbT6_jjT7_P12ihipStream_tbENKUlT_T0_SN_SS_E_clISG_PjSI_PS9_EEDaS16_S17_SN_SS_EUlS16_E_NS1_11comp_targetILNS1_3genE9ELNS1_11target_archE1100ELNS1_3gpuE3ELNS1_3repE0EEENS1_47radix_sort_onesweep_sort_config_static_selectorELNS0_4arch9wavefront6targetE0EEEvSN_,"axG",@progbits,_ZN7rocprim17ROCPRIM_400000_NS6detail17trampoline_kernelINS0_14default_configENS1_35radix_sort_onesweep_config_selectorIjN6thrust23THRUST_200600_302600_NS5tupleIffNS6_9null_typeES8_S8_S8_S8_S8_S8_S8_EEEEZZNS1_29radix_sort_onesweep_iterationIS3_Lb0ENS6_6detail15normal_iteratorINS6_10device_ptrIjEEEESG_NSD_INSE_IS9_EEEESI_jNS0_19identity_decomposerENS1_16block_id_wrapperIjLb1EEEEE10hipError_tT1_PNSt15iterator_traitsISN_E10value_typeET2_T3_PNSO_IST_E10value_typeET4_T5_PSY_SZ_PNS1_23onesweep_lookback_stateEbbT6_jjT7_P12ihipStream_tbENKUlT_T0_SN_SS_E_clISG_PjSI_PS9_EEDaS16_S17_SN_SS_EUlS16_E_NS1_11comp_targetILNS1_3genE9ELNS1_11target_archE1100ELNS1_3gpuE3ELNS1_3repE0EEENS1_47radix_sort_onesweep_sort_config_static_selectorELNS0_4arch9wavefront6targetE0EEEvSN_,comdat
.Lfunc_end191:
	.size	_ZN7rocprim17ROCPRIM_400000_NS6detail17trampoline_kernelINS0_14default_configENS1_35radix_sort_onesweep_config_selectorIjN6thrust23THRUST_200600_302600_NS5tupleIffNS6_9null_typeES8_S8_S8_S8_S8_S8_S8_EEEEZZNS1_29radix_sort_onesweep_iterationIS3_Lb0ENS6_6detail15normal_iteratorINS6_10device_ptrIjEEEESG_NSD_INSE_IS9_EEEESI_jNS0_19identity_decomposerENS1_16block_id_wrapperIjLb1EEEEE10hipError_tT1_PNSt15iterator_traitsISN_E10value_typeET2_T3_PNSO_IST_E10value_typeET4_T5_PSY_SZ_PNS1_23onesweep_lookback_stateEbbT6_jjT7_P12ihipStream_tbENKUlT_T0_SN_SS_E_clISG_PjSI_PS9_EEDaS16_S17_SN_SS_EUlS16_E_NS1_11comp_targetILNS1_3genE9ELNS1_11target_archE1100ELNS1_3gpuE3ELNS1_3repE0EEENS1_47radix_sort_onesweep_sort_config_static_selectorELNS0_4arch9wavefront6targetE0EEEvSN_, .Lfunc_end191-_ZN7rocprim17ROCPRIM_400000_NS6detail17trampoline_kernelINS0_14default_configENS1_35radix_sort_onesweep_config_selectorIjN6thrust23THRUST_200600_302600_NS5tupleIffNS6_9null_typeES8_S8_S8_S8_S8_S8_S8_EEEEZZNS1_29radix_sort_onesweep_iterationIS3_Lb0ENS6_6detail15normal_iteratorINS6_10device_ptrIjEEEESG_NSD_INSE_IS9_EEEESI_jNS0_19identity_decomposerENS1_16block_id_wrapperIjLb1EEEEE10hipError_tT1_PNSt15iterator_traitsISN_E10value_typeET2_T3_PNSO_IST_E10value_typeET4_T5_PSY_SZ_PNS1_23onesweep_lookback_stateEbbT6_jjT7_P12ihipStream_tbENKUlT_T0_SN_SS_E_clISG_PjSI_PS9_EEDaS16_S17_SN_SS_EUlS16_E_NS1_11comp_targetILNS1_3genE9ELNS1_11target_archE1100ELNS1_3gpuE3ELNS1_3repE0EEENS1_47radix_sort_onesweep_sort_config_static_selectorELNS0_4arch9wavefront6targetE0EEEvSN_
                                        ; -- End function
	.set _ZN7rocprim17ROCPRIM_400000_NS6detail17trampoline_kernelINS0_14default_configENS1_35radix_sort_onesweep_config_selectorIjN6thrust23THRUST_200600_302600_NS5tupleIffNS6_9null_typeES8_S8_S8_S8_S8_S8_S8_EEEEZZNS1_29radix_sort_onesweep_iterationIS3_Lb0ENS6_6detail15normal_iteratorINS6_10device_ptrIjEEEESG_NSD_INSE_IS9_EEEESI_jNS0_19identity_decomposerENS1_16block_id_wrapperIjLb1EEEEE10hipError_tT1_PNSt15iterator_traitsISN_E10value_typeET2_T3_PNSO_IST_E10value_typeET4_T5_PSY_SZ_PNS1_23onesweep_lookback_stateEbbT6_jjT7_P12ihipStream_tbENKUlT_T0_SN_SS_E_clISG_PjSI_PS9_EEDaS16_S17_SN_SS_EUlS16_E_NS1_11comp_targetILNS1_3genE9ELNS1_11target_archE1100ELNS1_3gpuE3ELNS1_3repE0EEENS1_47radix_sort_onesweep_sort_config_static_selectorELNS0_4arch9wavefront6targetE0EEEvSN_.num_vgpr, 0
	.set _ZN7rocprim17ROCPRIM_400000_NS6detail17trampoline_kernelINS0_14default_configENS1_35radix_sort_onesweep_config_selectorIjN6thrust23THRUST_200600_302600_NS5tupleIffNS6_9null_typeES8_S8_S8_S8_S8_S8_S8_EEEEZZNS1_29radix_sort_onesweep_iterationIS3_Lb0ENS6_6detail15normal_iteratorINS6_10device_ptrIjEEEESG_NSD_INSE_IS9_EEEESI_jNS0_19identity_decomposerENS1_16block_id_wrapperIjLb1EEEEE10hipError_tT1_PNSt15iterator_traitsISN_E10value_typeET2_T3_PNSO_IST_E10value_typeET4_T5_PSY_SZ_PNS1_23onesweep_lookback_stateEbbT6_jjT7_P12ihipStream_tbENKUlT_T0_SN_SS_E_clISG_PjSI_PS9_EEDaS16_S17_SN_SS_EUlS16_E_NS1_11comp_targetILNS1_3genE9ELNS1_11target_archE1100ELNS1_3gpuE3ELNS1_3repE0EEENS1_47radix_sort_onesweep_sort_config_static_selectorELNS0_4arch9wavefront6targetE0EEEvSN_.num_agpr, 0
	.set _ZN7rocprim17ROCPRIM_400000_NS6detail17trampoline_kernelINS0_14default_configENS1_35radix_sort_onesweep_config_selectorIjN6thrust23THRUST_200600_302600_NS5tupleIffNS6_9null_typeES8_S8_S8_S8_S8_S8_S8_EEEEZZNS1_29radix_sort_onesweep_iterationIS3_Lb0ENS6_6detail15normal_iteratorINS6_10device_ptrIjEEEESG_NSD_INSE_IS9_EEEESI_jNS0_19identity_decomposerENS1_16block_id_wrapperIjLb1EEEEE10hipError_tT1_PNSt15iterator_traitsISN_E10value_typeET2_T3_PNSO_IST_E10value_typeET4_T5_PSY_SZ_PNS1_23onesweep_lookback_stateEbbT6_jjT7_P12ihipStream_tbENKUlT_T0_SN_SS_E_clISG_PjSI_PS9_EEDaS16_S17_SN_SS_EUlS16_E_NS1_11comp_targetILNS1_3genE9ELNS1_11target_archE1100ELNS1_3gpuE3ELNS1_3repE0EEENS1_47radix_sort_onesweep_sort_config_static_selectorELNS0_4arch9wavefront6targetE0EEEvSN_.numbered_sgpr, 0
	.set _ZN7rocprim17ROCPRIM_400000_NS6detail17trampoline_kernelINS0_14default_configENS1_35radix_sort_onesweep_config_selectorIjN6thrust23THRUST_200600_302600_NS5tupleIffNS6_9null_typeES8_S8_S8_S8_S8_S8_S8_EEEEZZNS1_29radix_sort_onesweep_iterationIS3_Lb0ENS6_6detail15normal_iteratorINS6_10device_ptrIjEEEESG_NSD_INSE_IS9_EEEESI_jNS0_19identity_decomposerENS1_16block_id_wrapperIjLb1EEEEE10hipError_tT1_PNSt15iterator_traitsISN_E10value_typeET2_T3_PNSO_IST_E10value_typeET4_T5_PSY_SZ_PNS1_23onesweep_lookback_stateEbbT6_jjT7_P12ihipStream_tbENKUlT_T0_SN_SS_E_clISG_PjSI_PS9_EEDaS16_S17_SN_SS_EUlS16_E_NS1_11comp_targetILNS1_3genE9ELNS1_11target_archE1100ELNS1_3gpuE3ELNS1_3repE0EEENS1_47radix_sort_onesweep_sort_config_static_selectorELNS0_4arch9wavefront6targetE0EEEvSN_.num_named_barrier, 0
	.set _ZN7rocprim17ROCPRIM_400000_NS6detail17trampoline_kernelINS0_14default_configENS1_35radix_sort_onesweep_config_selectorIjN6thrust23THRUST_200600_302600_NS5tupleIffNS6_9null_typeES8_S8_S8_S8_S8_S8_S8_EEEEZZNS1_29radix_sort_onesweep_iterationIS3_Lb0ENS6_6detail15normal_iteratorINS6_10device_ptrIjEEEESG_NSD_INSE_IS9_EEEESI_jNS0_19identity_decomposerENS1_16block_id_wrapperIjLb1EEEEE10hipError_tT1_PNSt15iterator_traitsISN_E10value_typeET2_T3_PNSO_IST_E10value_typeET4_T5_PSY_SZ_PNS1_23onesweep_lookback_stateEbbT6_jjT7_P12ihipStream_tbENKUlT_T0_SN_SS_E_clISG_PjSI_PS9_EEDaS16_S17_SN_SS_EUlS16_E_NS1_11comp_targetILNS1_3genE9ELNS1_11target_archE1100ELNS1_3gpuE3ELNS1_3repE0EEENS1_47radix_sort_onesweep_sort_config_static_selectorELNS0_4arch9wavefront6targetE0EEEvSN_.private_seg_size, 0
	.set _ZN7rocprim17ROCPRIM_400000_NS6detail17trampoline_kernelINS0_14default_configENS1_35radix_sort_onesweep_config_selectorIjN6thrust23THRUST_200600_302600_NS5tupleIffNS6_9null_typeES8_S8_S8_S8_S8_S8_S8_EEEEZZNS1_29radix_sort_onesweep_iterationIS3_Lb0ENS6_6detail15normal_iteratorINS6_10device_ptrIjEEEESG_NSD_INSE_IS9_EEEESI_jNS0_19identity_decomposerENS1_16block_id_wrapperIjLb1EEEEE10hipError_tT1_PNSt15iterator_traitsISN_E10value_typeET2_T3_PNSO_IST_E10value_typeET4_T5_PSY_SZ_PNS1_23onesweep_lookback_stateEbbT6_jjT7_P12ihipStream_tbENKUlT_T0_SN_SS_E_clISG_PjSI_PS9_EEDaS16_S17_SN_SS_EUlS16_E_NS1_11comp_targetILNS1_3genE9ELNS1_11target_archE1100ELNS1_3gpuE3ELNS1_3repE0EEENS1_47radix_sort_onesweep_sort_config_static_selectorELNS0_4arch9wavefront6targetE0EEEvSN_.uses_vcc, 0
	.set _ZN7rocprim17ROCPRIM_400000_NS6detail17trampoline_kernelINS0_14default_configENS1_35radix_sort_onesweep_config_selectorIjN6thrust23THRUST_200600_302600_NS5tupleIffNS6_9null_typeES8_S8_S8_S8_S8_S8_S8_EEEEZZNS1_29radix_sort_onesweep_iterationIS3_Lb0ENS6_6detail15normal_iteratorINS6_10device_ptrIjEEEESG_NSD_INSE_IS9_EEEESI_jNS0_19identity_decomposerENS1_16block_id_wrapperIjLb1EEEEE10hipError_tT1_PNSt15iterator_traitsISN_E10value_typeET2_T3_PNSO_IST_E10value_typeET4_T5_PSY_SZ_PNS1_23onesweep_lookback_stateEbbT6_jjT7_P12ihipStream_tbENKUlT_T0_SN_SS_E_clISG_PjSI_PS9_EEDaS16_S17_SN_SS_EUlS16_E_NS1_11comp_targetILNS1_3genE9ELNS1_11target_archE1100ELNS1_3gpuE3ELNS1_3repE0EEENS1_47radix_sort_onesweep_sort_config_static_selectorELNS0_4arch9wavefront6targetE0EEEvSN_.uses_flat_scratch, 0
	.set _ZN7rocprim17ROCPRIM_400000_NS6detail17trampoline_kernelINS0_14default_configENS1_35radix_sort_onesweep_config_selectorIjN6thrust23THRUST_200600_302600_NS5tupleIffNS6_9null_typeES8_S8_S8_S8_S8_S8_S8_EEEEZZNS1_29radix_sort_onesweep_iterationIS3_Lb0ENS6_6detail15normal_iteratorINS6_10device_ptrIjEEEESG_NSD_INSE_IS9_EEEESI_jNS0_19identity_decomposerENS1_16block_id_wrapperIjLb1EEEEE10hipError_tT1_PNSt15iterator_traitsISN_E10value_typeET2_T3_PNSO_IST_E10value_typeET4_T5_PSY_SZ_PNS1_23onesweep_lookback_stateEbbT6_jjT7_P12ihipStream_tbENKUlT_T0_SN_SS_E_clISG_PjSI_PS9_EEDaS16_S17_SN_SS_EUlS16_E_NS1_11comp_targetILNS1_3genE9ELNS1_11target_archE1100ELNS1_3gpuE3ELNS1_3repE0EEENS1_47radix_sort_onesweep_sort_config_static_selectorELNS0_4arch9wavefront6targetE0EEEvSN_.has_dyn_sized_stack, 0
	.set _ZN7rocprim17ROCPRIM_400000_NS6detail17trampoline_kernelINS0_14default_configENS1_35radix_sort_onesweep_config_selectorIjN6thrust23THRUST_200600_302600_NS5tupleIffNS6_9null_typeES8_S8_S8_S8_S8_S8_S8_EEEEZZNS1_29radix_sort_onesweep_iterationIS3_Lb0ENS6_6detail15normal_iteratorINS6_10device_ptrIjEEEESG_NSD_INSE_IS9_EEEESI_jNS0_19identity_decomposerENS1_16block_id_wrapperIjLb1EEEEE10hipError_tT1_PNSt15iterator_traitsISN_E10value_typeET2_T3_PNSO_IST_E10value_typeET4_T5_PSY_SZ_PNS1_23onesweep_lookback_stateEbbT6_jjT7_P12ihipStream_tbENKUlT_T0_SN_SS_E_clISG_PjSI_PS9_EEDaS16_S17_SN_SS_EUlS16_E_NS1_11comp_targetILNS1_3genE9ELNS1_11target_archE1100ELNS1_3gpuE3ELNS1_3repE0EEENS1_47radix_sort_onesweep_sort_config_static_selectorELNS0_4arch9wavefront6targetE0EEEvSN_.has_recursion, 0
	.set _ZN7rocprim17ROCPRIM_400000_NS6detail17trampoline_kernelINS0_14default_configENS1_35radix_sort_onesweep_config_selectorIjN6thrust23THRUST_200600_302600_NS5tupleIffNS6_9null_typeES8_S8_S8_S8_S8_S8_S8_EEEEZZNS1_29radix_sort_onesweep_iterationIS3_Lb0ENS6_6detail15normal_iteratorINS6_10device_ptrIjEEEESG_NSD_INSE_IS9_EEEESI_jNS0_19identity_decomposerENS1_16block_id_wrapperIjLb1EEEEE10hipError_tT1_PNSt15iterator_traitsISN_E10value_typeET2_T3_PNSO_IST_E10value_typeET4_T5_PSY_SZ_PNS1_23onesweep_lookback_stateEbbT6_jjT7_P12ihipStream_tbENKUlT_T0_SN_SS_E_clISG_PjSI_PS9_EEDaS16_S17_SN_SS_EUlS16_E_NS1_11comp_targetILNS1_3genE9ELNS1_11target_archE1100ELNS1_3gpuE3ELNS1_3repE0EEENS1_47radix_sort_onesweep_sort_config_static_selectorELNS0_4arch9wavefront6targetE0EEEvSN_.has_indirect_call, 0
	.section	.AMDGPU.csdata,"",@progbits
; Kernel info:
; codeLenInByte = 0
; TotalNumSgprs: 0
; NumVgprs: 0
; ScratchSize: 0
; MemoryBound: 0
; FloatMode: 240
; IeeeMode: 1
; LDSByteSize: 0 bytes/workgroup (compile time only)
; SGPRBlocks: 0
; VGPRBlocks: 0
; NumSGPRsForWavesPerEU: 1
; NumVGPRsForWavesPerEU: 1
; Occupancy: 16
; WaveLimiterHint : 0
; COMPUTE_PGM_RSRC2:SCRATCH_EN: 0
; COMPUTE_PGM_RSRC2:USER_SGPR: 2
; COMPUTE_PGM_RSRC2:TRAP_HANDLER: 0
; COMPUTE_PGM_RSRC2:TGID_X_EN: 1
; COMPUTE_PGM_RSRC2:TGID_Y_EN: 0
; COMPUTE_PGM_RSRC2:TGID_Z_EN: 0
; COMPUTE_PGM_RSRC2:TIDIG_COMP_CNT: 0
	.section	.text._ZN7rocprim17ROCPRIM_400000_NS6detail17trampoline_kernelINS0_14default_configENS1_35radix_sort_onesweep_config_selectorIjN6thrust23THRUST_200600_302600_NS5tupleIffNS6_9null_typeES8_S8_S8_S8_S8_S8_S8_EEEEZZNS1_29radix_sort_onesweep_iterationIS3_Lb0ENS6_6detail15normal_iteratorINS6_10device_ptrIjEEEESG_NSD_INSE_IS9_EEEESI_jNS0_19identity_decomposerENS1_16block_id_wrapperIjLb1EEEEE10hipError_tT1_PNSt15iterator_traitsISN_E10value_typeET2_T3_PNSO_IST_E10value_typeET4_T5_PSY_SZ_PNS1_23onesweep_lookback_stateEbbT6_jjT7_P12ihipStream_tbENKUlT_T0_SN_SS_E_clISG_PjSI_PS9_EEDaS16_S17_SN_SS_EUlS16_E_NS1_11comp_targetILNS1_3genE8ELNS1_11target_archE1030ELNS1_3gpuE2ELNS1_3repE0EEENS1_47radix_sort_onesweep_sort_config_static_selectorELNS0_4arch9wavefront6targetE0EEEvSN_,"axG",@progbits,_ZN7rocprim17ROCPRIM_400000_NS6detail17trampoline_kernelINS0_14default_configENS1_35radix_sort_onesweep_config_selectorIjN6thrust23THRUST_200600_302600_NS5tupleIffNS6_9null_typeES8_S8_S8_S8_S8_S8_S8_EEEEZZNS1_29radix_sort_onesweep_iterationIS3_Lb0ENS6_6detail15normal_iteratorINS6_10device_ptrIjEEEESG_NSD_INSE_IS9_EEEESI_jNS0_19identity_decomposerENS1_16block_id_wrapperIjLb1EEEEE10hipError_tT1_PNSt15iterator_traitsISN_E10value_typeET2_T3_PNSO_IST_E10value_typeET4_T5_PSY_SZ_PNS1_23onesweep_lookback_stateEbbT6_jjT7_P12ihipStream_tbENKUlT_T0_SN_SS_E_clISG_PjSI_PS9_EEDaS16_S17_SN_SS_EUlS16_E_NS1_11comp_targetILNS1_3genE8ELNS1_11target_archE1030ELNS1_3gpuE2ELNS1_3repE0EEENS1_47radix_sort_onesweep_sort_config_static_selectorELNS0_4arch9wavefront6targetE0EEEvSN_,comdat
	.protected	_ZN7rocprim17ROCPRIM_400000_NS6detail17trampoline_kernelINS0_14default_configENS1_35radix_sort_onesweep_config_selectorIjN6thrust23THRUST_200600_302600_NS5tupleIffNS6_9null_typeES8_S8_S8_S8_S8_S8_S8_EEEEZZNS1_29radix_sort_onesweep_iterationIS3_Lb0ENS6_6detail15normal_iteratorINS6_10device_ptrIjEEEESG_NSD_INSE_IS9_EEEESI_jNS0_19identity_decomposerENS1_16block_id_wrapperIjLb1EEEEE10hipError_tT1_PNSt15iterator_traitsISN_E10value_typeET2_T3_PNSO_IST_E10value_typeET4_T5_PSY_SZ_PNS1_23onesweep_lookback_stateEbbT6_jjT7_P12ihipStream_tbENKUlT_T0_SN_SS_E_clISG_PjSI_PS9_EEDaS16_S17_SN_SS_EUlS16_E_NS1_11comp_targetILNS1_3genE8ELNS1_11target_archE1030ELNS1_3gpuE2ELNS1_3repE0EEENS1_47radix_sort_onesweep_sort_config_static_selectorELNS0_4arch9wavefront6targetE0EEEvSN_ ; -- Begin function _ZN7rocprim17ROCPRIM_400000_NS6detail17trampoline_kernelINS0_14default_configENS1_35radix_sort_onesweep_config_selectorIjN6thrust23THRUST_200600_302600_NS5tupleIffNS6_9null_typeES8_S8_S8_S8_S8_S8_S8_EEEEZZNS1_29radix_sort_onesweep_iterationIS3_Lb0ENS6_6detail15normal_iteratorINS6_10device_ptrIjEEEESG_NSD_INSE_IS9_EEEESI_jNS0_19identity_decomposerENS1_16block_id_wrapperIjLb1EEEEE10hipError_tT1_PNSt15iterator_traitsISN_E10value_typeET2_T3_PNSO_IST_E10value_typeET4_T5_PSY_SZ_PNS1_23onesweep_lookback_stateEbbT6_jjT7_P12ihipStream_tbENKUlT_T0_SN_SS_E_clISG_PjSI_PS9_EEDaS16_S17_SN_SS_EUlS16_E_NS1_11comp_targetILNS1_3genE8ELNS1_11target_archE1030ELNS1_3gpuE2ELNS1_3repE0EEENS1_47radix_sort_onesweep_sort_config_static_selectorELNS0_4arch9wavefront6targetE0EEEvSN_
	.globl	_ZN7rocprim17ROCPRIM_400000_NS6detail17trampoline_kernelINS0_14default_configENS1_35radix_sort_onesweep_config_selectorIjN6thrust23THRUST_200600_302600_NS5tupleIffNS6_9null_typeES8_S8_S8_S8_S8_S8_S8_EEEEZZNS1_29radix_sort_onesweep_iterationIS3_Lb0ENS6_6detail15normal_iteratorINS6_10device_ptrIjEEEESG_NSD_INSE_IS9_EEEESI_jNS0_19identity_decomposerENS1_16block_id_wrapperIjLb1EEEEE10hipError_tT1_PNSt15iterator_traitsISN_E10value_typeET2_T3_PNSO_IST_E10value_typeET4_T5_PSY_SZ_PNS1_23onesweep_lookback_stateEbbT6_jjT7_P12ihipStream_tbENKUlT_T0_SN_SS_E_clISG_PjSI_PS9_EEDaS16_S17_SN_SS_EUlS16_E_NS1_11comp_targetILNS1_3genE8ELNS1_11target_archE1030ELNS1_3gpuE2ELNS1_3repE0EEENS1_47radix_sort_onesweep_sort_config_static_selectorELNS0_4arch9wavefront6targetE0EEEvSN_
	.p2align	8
	.type	_ZN7rocprim17ROCPRIM_400000_NS6detail17trampoline_kernelINS0_14default_configENS1_35radix_sort_onesweep_config_selectorIjN6thrust23THRUST_200600_302600_NS5tupleIffNS6_9null_typeES8_S8_S8_S8_S8_S8_S8_EEEEZZNS1_29radix_sort_onesweep_iterationIS3_Lb0ENS6_6detail15normal_iteratorINS6_10device_ptrIjEEEESG_NSD_INSE_IS9_EEEESI_jNS0_19identity_decomposerENS1_16block_id_wrapperIjLb1EEEEE10hipError_tT1_PNSt15iterator_traitsISN_E10value_typeET2_T3_PNSO_IST_E10value_typeET4_T5_PSY_SZ_PNS1_23onesweep_lookback_stateEbbT6_jjT7_P12ihipStream_tbENKUlT_T0_SN_SS_E_clISG_PjSI_PS9_EEDaS16_S17_SN_SS_EUlS16_E_NS1_11comp_targetILNS1_3genE8ELNS1_11target_archE1030ELNS1_3gpuE2ELNS1_3repE0EEENS1_47radix_sort_onesweep_sort_config_static_selectorELNS0_4arch9wavefront6targetE0EEEvSN_,@function
_ZN7rocprim17ROCPRIM_400000_NS6detail17trampoline_kernelINS0_14default_configENS1_35radix_sort_onesweep_config_selectorIjN6thrust23THRUST_200600_302600_NS5tupleIffNS6_9null_typeES8_S8_S8_S8_S8_S8_S8_EEEEZZNS1_29radix_sort_onesweep_iterationIS3_Lb0ENS6_6detail15normal_iteratorINS6_10device_ptrIjEEEESG_NSD_INSE_IS9_EEEESI_jNS0_19identity_decomposerENS1_16block_id_wrapperIjLb1EEEEE10hipError_tT1_PNSt15iterator_traitsISN_E10value_typeET2_T3_PNSO_IST_E10value_typeET4_T5_PSY_SZ_PNS1_23onesweep_lookback_stateEbbT6_jjT7_P12ihipStream_tbENKUlT_T0_SN_SS_E_clISG_PjSI_PS9_EEDaS16_S17_SN_SS_EUlS16_E_NS1_11comp_targetILNS1_3genE8ELNS1_11target_archE1030ELNS1_3gpuE2ELNS1_3repE0EEENS1_47radix_sort_onesweep_sort_config_static_selectorELNS0_4arch9wavefront6targetE0EEEvSN_: ; @_ZN7rocprim17ROCPRIM_400000_NS6detail17trampoline_kernelINS0_14default_configENS1_35radix_sort_onesweep_config_selectorIjN6thrust23THRUST_200600_302600_NS5tupleIffNS6_9null_typeES8_S8_S8_S8_S8_S8_S8_EEEEZZNS1_29radix_sort_onesweep_iterationIS3_Lb0ENS6_6detail15normal_iteratorINS6_10device_ptrIjEEEESG_NSD_INSE_IS9_EEEESI_jNS0_19identity_decomposerENS1_16block_id_wrapperIjLb1EEEEE10hipError_tT1_PNSt15iterator_traitsISN_E10value_typeET2_T3_PNSO_IST_E10value_typeET4_T5_PSY_SZ_PNS1_23onesweep_lookback_stateEbbT6_jjT7_P12ihipStream_tbENKUlT_T0_SN_SS_E_clISG_PjSI_PS9_EEDaS16_S17_SN_SS_EUlS16_E_NS1_11comp_targetILNS1_3genE8ELNS1_11target_archE1030ELNS1_3gpuE2ELNS1_3repE0EEENS1_47radix_sort_onesweep_sort_config_static_selectorELNS0_4arch9wavefront6targetE0EEEvSN_
; %bb.0:
	.section	.rodata,"a",@progbits
	.p2align	6, 0x0
	.amdhsa_kernel _ZN7rocprim17ROCPRIM_400000_NS6detail17trampoline_kernelINS0_14default_configENS1_35radix_sort_onesweep_config_selectorIjN6thrust23THRUST_200600_302600_NS5tupleIffNS6_9null_typeES8_S8_S8_S8_S8_S8_S8_EEEEZZNS1_29radix_sort_onesweep_iterationIS3_Lb0ENS6_6detail15normal_iteratorINS6_10device_ptrIjEEEESG_NSD_INSE_IS9_EEEESI_jNS0_19identity_decomposerENS1_16block_id_wrapperIjLb1EEEEE10hipError_tT1_PNSt15iterator_traitsISN_E10value_typeET2_T3_PNSO_IST_E10value_typeET4_T5_PSY_SZ_PNS1_23onesweep_lookback_stateEbbT6_jjT7_P12ihipStream_tbENKUlT_T0_SN_SS_E_clISG_PjSI_PS9_EEDaS16_S17_SN_SS_EUlS16_E_NS1_11comp_targetILNS1_3genE8ELNS1_11target_archE1030ELNS1_3gpuE2ELNS1_3repE0EEENS1_47radix_sort_onesweep_sort_config_static_selectorELNS0_4arch9wavefront6targetE0EEEvSN_
		.amdhsa_group_segment_fixed_size 0
		.amdhsa_private_segment_fixed_size 0
		.amdhsa_kernarg_size 88
		.amdhsa_user_sgpr_count 2
		.amdhsa_user_sgpr_dispatch_ptr 0
		.amdhsa_user_sgpr_queue_ptr 0
		.amdhsa_user_sgpr_kernarg_segment_ptr 1
		.amdhsa_user_sgpr_dispatch_id 0
		.amdhsa_user_sgpr_private_segment_size 0
		.amdhsa_wavefront_size32 1
		.amdhsa_uses_dynamic_stack 0
		.amdhsa_enable_private_segment 0
		.amdhsa_system_sgpr_workgroup_id_x 1
		.amdhsa_system_sgpr_workgroup_id_y 0
		.amdhsa_system_sgpr_workgroup_id_z 0
		.amdhsa_system_sgpr_workgroup_info 0
		.amdhsa_system_vgpr_workitem_id 0
		.amdhsa_next_free_vgpr 1
		.amdhsa_next_free_sgpr 1
		.amdhsa_reserve_vcc 0
		.amdhsa_float_round_mode_32 0
		.amdhsa_float_round_mode_16_64 0
		.amdhsa_float_denorm_mode_32 3
		.amdhsa_float_denorm_mode_16_64 3
		.amdhsa_fp16_overflow 0
		.amdhsa_workgroup_processor_mode 1
		.amdhsa_memory_ordered 1
		.amdhsa_forward_progress 1
		.amdhsa_inst_pref_size 0
		.amdhsa_round_robin_scheduling 0
		.amdhsa_exception_fp_ieee_invalid_op 0
		.amdhsa_exception_fp_denorm_src 0
		.amdhsa_exception_fp_ieee_div_zero 0
		.amdhsa_exception_fp_ieee_overflow 0
		.amdhsa_exception_fp_ieee_underflow 0
		.amdhsa_exception_fp_ieee_inexact 0
		.amdhsa_exception_int_div_zero 0
	.end_amdhsa_kernel
	.section	.text._ZN7rocprim17ROCPRIM_400000_NS6detail17trampoline_kernelINS0_14default_configENS1_35radix_sort_onesweep_config_selectorIjN6thrust23THRUST_200600_302600_NS5tupleIffNS6_9null_typeES8_S8_S8_S8_S8_S8_S8_EEEEZZNS1_29radix_sort_onesweep_iterationIS3_Lb0ENS6_6detail15normal_iteratorINS6_10device_ptrIjEEEESG_NSD_INSE_IS9_EEEESI_jNS0_19identity_decomposerENS1_16block_id_wrapperIjLb1EEEEE10hipError_tT1_PNSt15iterator_traitsISN_E10value_typeET2_T3_PNSO_IST_E10value_typeET4_T5_PSY_SZ_PNS1_23onesweep_lookback_stateEbbT6_jjT7_P12ihipStream_tbENKUlT_T0_SN_SS_E_clISG_PjSI_PS9_EEDaS16_S17_SN_SS_EUlS16_E_NS1_11comp_targetILNS1_3genE8ELNS1_11target_archE1030ELNS1_3gpuE2ELNS1_3repE0EEENS1_47radix_sort_onesweep_sort_config_static_selectorELNS0_4arch9wavefront6targetE0EEEvSN_,"axG",@progbits,_ZN7rocprim17ROCPRIM_400000_NS6detail17trampoline_kernelINS0_14default_configENS1_35radix_sort_onesweep_config_selectorIjN6thrust23THRUST_200600_302600_NS5tupleIffNS6_9null_typeES8_S8_S8_S8_S8_S8_S8_EEEEZZNS1_29radix_sort_onesweep_iterationIS3_Lb0ENS6_6detail15normal_iteratorINS6_10device_ptrIjEEEESG_NSD_INSE_IS9_EEEESI_jNS0_19identity_decomposerENS1_16block_id_wrapperIjLb1EEEEE10hipError_tT1_PNSt15iterator_traitsISN_E10value_typeET2_T3_PNSO_IST_E10value_typeET4_T5_PSY_SZ_PNS1_23onesweep_lookback_stateEbbT6_jjT7_P12ihipStream_tbENKUlT_T0_SN_SS_E_clISG_PjSI_PS9_EEDaS16_S17_SN_SS_EUlS16_E_NS1_11comp_targetILNS1_3genE8ELNS1_11target_archE1030ELNS1_3gpuE2ELNS1_3repE0EEENS1_47radix_sort_onesweep_sort_config_static_selectorELNS0_4arch9wavefront6targetE0EEEvSN_,comdat
.Lfunc_end192:
	.size	_ZN7rocprim17ROCPRIM_400000_NS6detail17trampoline_kernelINS0_14default_configENS1_35radix_sort_onesweep_config_selectorIjN6thrust23THRUST_200600_302600_NS5tupleIffNS6_9null_typeES8_S8_S8_S8_S8_S8_S8_EEEEZZNS1_29radix_sort_onesweep_iterationIS3_Lb0ENS6_6detail15normal_iteratorINS6_10device_ptrIjEEEESG_NSD_INSE_IS9_EEEESI_jNS0_19identity_decomposerENS1_16block_id_wrapperIjLb1EEEEE10hipError_tT1_PNSt15iterator_traitsISN_E10value_typeET2_T3_PNSO_IST_E10value_typeET4_T5_PSY_SZ_PNS1_23onesweep_lookback_stateEbbT6_jjT7_P12ihipStream_tbENKUlT_T0_SN_SS_E_clISG_PjSI_PS9_EEDaS16_S17_SN_SS_EUlS16_E_NS1_11comp_targetILNS1_3genE8ELNS1_11target_archE1030ELNS1_3gpuE2ELNS1_3repE0EEENS1_47radix_sort_onesweep_sort_config_static_selectorELNS0_4arch9wavefront6targetE0EEEvSN_, .Lfunc_end192-_ZN7rocprim17ROCPRIM_400000_NS6detail17trampoline_kernelINS0_14default_configENS1_35radix_sort_onesweep_config_selectorIjN6thrust23THRUST_200600_302600_NS5tupleIffNS6_9null_typeES8_S8_S8_S8_S8_S8_S8_EEEEZZNS1_29radix_sort_onesweep_iterationIS3_Lb0ENS6_6detail15normal_iteratorINS6_10device_ptrIjEEEESG_NSD_INSE_IS9_EEEESI_jNS0_19identity_decomposerENS1_16block_id_wrapperIjLb1EEEEE10hipError_tT1_PNSt15iterator_traitsISN_E10value_typeET2_T3_PNSO_IST_E10value_typeET4_T5_PSY_SZ_PNS1_23onesweep_lookback_stateEbbT6_jjT7_P12ihipStream_tbENKUlT_T0_SN_SS_E_clISG_PjSI_PS9_EEDaS16_S17_SN_SS_EUlS16_E_NS1_11comp_targetILNS1_3genE8ELNS1_11target_archE1030ELNS1_3gpuE2ELNS1_3repE0EEENS1_47radix_sort_onesweep_sort_config_static_selectorELNS0_4arch9wavefront6targetE0EEEvSN_
                                        ; -- End function
	.set _ZN7rocprim17ROCPRIM_400000_NS6detail17trampoline_kernelINS0_14default_configENS1_35radix_sort_onesweep_config_selectorIjN6thrust23THRUST_200600_302600_NS5tupleIffNS6_9null_typeES8_S8_S8_S8_S8_S8_S8_EEEEZZNS1_29radix_sort_onesweep_iterationIS3_Lb0ENS6_6detail15normal_iteratorINS6_10device_ptrIjEEEESG_NSD_INSE_IS9_EEEESI_jNS0_19identity_decomposerENS1_16block_id_wrapperIjLb1EEEEE10hipError_tT1_PNSt15iterator_traitsISN_E10value_typeET2_T3_PNSO_IST_E10value_typeET4_T5_PSY_SZ_PNS1_23onesweep_lookback_stateEbbT6_jjT7_P12ihipStream_tbENKUlT_T0_SN_SS_E_clISG_PjSI_PS9_EEDaS16_S17_SN_SS_EUlS16_E_NS1_11comp_targetILNS1_3genE8ELNS1_11target_archE1030ELNS1_3gpuE2ELNS1_3repE0EEENS1_47radix_sort_onesweep_sort_config_static_selectorELNS0_4arch9wavefront6targetE0EEEvSN_.num_vgpr, 0
	.set _ZN7rocprim17ROCPRIM_400000_NS6detail17trampoline_kernelINS0_14default_configENS1_35radix_sort_onesweep_config_selectorIjN6thrust23THRUST_200600_302600_NS5tupleIffNS6_9null_typeES8_S8_S8_S8_S8_S8_S8_EEEEZZNS1_29radix_sort_onesweep_iterationIS3_Lb0ENS6_6detail15normal_iteratorINS6_10device_ptrIjEEEESG_NSD_INSE_IS9_EEEESI_jNS0_19identity_decomposerENS1_16block_id_wrapperIjLb1EEEEE10hipError_tT1_PNSt15iterator_traitsISN_E10value_typeET2_T3_PNSO_IST_E10value_typeET4_T5_PSY_SZ_PNS1_23onesweep_lookback_stateEbbT6_jjT7_P12ihipStream_tbENKUlT_T0_SN_SS_E_clISG_PjSI_PS9_EEDaS16_S17_SN_SS_EUlS16_E_NS1_11comp_targetILNS1_3genE8ELNS1_11target_archE1030ELNS1_3gpuE2ELNS1_3repE0EEENS1_47radix_sort_onesweep_sort_config_static_selectorELNS0_4arch9wavefront6targetE0EEEvSN_.num_agpr, 0
	.set _ZN7rocprim17ROCPRIM_400000_NS6detail17trampoline_kernelINS0_14default_configENS1_35radix_sort_onesweep_config_selectorIjN6thrust23THRUST_200600_302600_NS5tupleIffNS6_9null_typeES8_S8_S8_S8_S8_S8_S8_EEEEZZNS1_29radix_sort_onesweep_iterationIS3_Lb0ENS6_6detail15normal_iteratorINS6_10device_ptrIjEEEESG_NSD_INSE_IS9_EEEESI_jNS0_19identity_decomposerENS1_16block_id_wrapperIjLb1EEEEE10hipError_tT1_PNSt15iterator_traitsISN_E10value_typeET2_T3_PNSO_IST_E10value_typeET4_T5_PSY_SZ_PNS1_23onesweep_lookback_stateEbbT6_jjT7_P12ihipStream_tbENKUlT_T0_SN_SS_E_clISG_PjSI_PS9_EEDaS16_S17_SN_SS_EUlS16_E_NS1_11comp_targetILNS1_3genE8ELNS1_11target_archE1030ELNS1_3gpuE2ELNS1_3repE0EEENS1_47radix_sort_onesweep_sort_config_static_selectorELNS0_4arch9wavefront6targetE0EEEvSN_.numbered_sgpr, 0
	.set _ZN7rocprim17ROCPRIM_400000_NS6detail17trampoline_kernelINS0_14default_configENS1_35radix_sort_onesweep_config_selectorIjN6thrust23THRUST_200600_302600_NS5tupleIffNS6_9null_typeES8_S8_S8_S8_S8_S8_S8_EEEEZZNS1_29radix_sort_onesweep_iterationIS3_Lb0ENS6_6detail15normal_iteratorINS6_10device_ptrIjEEEESG_NSD_INSE_IS9_EEEESI_jNS0_19identity_decomposerENS1_16block_id_wrapperIjLb1EEEEE10hipError_tT1_PNSt15iterator_traitsISN_E10value_typeET2_T3_PNSO_IST_E10value_typeET4_T5_PSY_SZ_PNS1_23onesweep_lookback_stateEbbT6_jjT7_P12ihipStream_tbENKUlT_T0_SN_SS_E_clISG_PjSI_PS9_EEDaS16_S17_SN_SS_EUlS16_E_NS1_11comp_targetILNS1_3genE8ELNS1_11target_archE1030ELNS1_3gpuE2ELNS1_3repE0EEENS1_47radix_sort_onesweep_sort_config_static_selectorELNS0_4arch9wavefront6targetE0EEEvSN_.num_named_barrier, 0
	.set _ZN7rocprim17ROCPRIM_400000_NS6detail17trampoline_kernelINS0_14default_configENS1_35radix_sort_onesweep_config_selectorIjN6thrust23THRUST_200600_302600_NS5tupleIffNS6_9null_typeES8_S8_S8_S8_S8_S8_S8_EEEEZZNS1_29radix_sort_onesweep_iterationIS3_Lb0ENS6_6detail15normal_iteratorINS6_10device_ptrIjEEEESG_NSD_INSE_IS9_EEEESI_jNS0_19identity_decomposerENS1_16block_id_wrapperIjLb1EEEEE10hipError_tT1_PNSt15iterator_traitsISN_E10value_typeET2_T3_PNSO_IST_E10value_typeET4_T5_PSY_SZ_PNS1_23onesweep_lookback_stateEbbT6_jjT7_P12ihipStream_tbENKUlT_T0_SN_SS_E_clISG_PjSI_PS9_EEDaS16_S17_SN_SS_EUlS16_E_NS1_11comp_targetILNS1_3genE8ELNS1_11target_archE1030ELNS1_3gpuE2ELNS1_3repE0EEENS1_47radix_sort_onesweep_sort_config_static_selectorELNS0_4arch9wavefront6targetE0EEEvSN_.private_seg_size, 0
	.set _ZN7rocprim17ROCPRIM_400000_NS6detail17trampoline_kernelINS0_14default_configENS1_35radix_sort_onesweep_config_selectorIjN6thrust23THRUST_200600_302600_NS5tupleIffNS6_9null_typeES8_S8_S8_S8_S8_S8_S8_EEEEZZNS1_29radix_sort_onesweep_iterationIS3_Lb0ENS6_6detail15normal_iteratorINS6_10device_ptrIjEEEESG_NSD_INSE_IS9_EEEESI_jNS0_19identity_decomposerENS1_16block_id_wrapperIjLb1EEEEE10hipError_tT1_PNSt15iterator_traitsISN_E10value_typeET2_T3_PNSO_IST_E10value_typeET4_T5_PSY_SZ_PNS1_23onesweep_lookback_stateEbbT6_jjT7_P12ihipStream_tbENKUlT_T0_SN_SS_E_clISG_PjSI_PS9_EEDaS16_S17_SN_SS_EUlS16_E_NS1_11comp_targetILNS1_3genE8ELNS1_11target_archE1030ELNS1_3gpuE2ELNS1_3repE0EEENS1_47radix_sort_onesweep_sort_config_static_selectorELNS0_4arch9wavefront6targetE0EEEvSN_.uses_vcc, 0
	.set _ZN7rocprim17ROCPRIM_400000_NS6detail17trampoline_kernelINS0_14default_configENS1_35radix_sort_onesweep_config_selectorIjN6thrust23THRUST_200600_302600_NS5tupleIffNS6_9null_typeES8_S8_S8_S8_S8_S8_S8_EEEEZZNS1_29radix_sort_onesweep_iterationIS3_Lb0ENS6_6detail15normal_iteratorINS6_10device_ptrIjEEEESG_NSD_INSE_IS9_EEEESI_jNS0_19identity_decomposerENS1_16block_id_wrapperIjLb1EEEEE10hipError_tT1_PNSt15iterator_traitsISN_E10value_typeET2_T3_PNSO_IST_E10value_typeET4_T5_PSY_SZ_PNS1_23onesweep_lookback_stateEbbT6_jjT7_P12ihipStream_tbENKUlT_T0_SN_SS_E_clISG_PjSI_PS9_EEDaS16_S17_SN_SS_EUlS16_E_NS1_11comp_targetILNS1_3genE8ELNS1_11target_archE1030ELNS1_3gpuE2ELNS1_3repE0EEENS1_47radix_sort_onesweep_sort_config_static_selectorELNS0_4arch9wavefront6targetE0EEEvSN_.uses_flat_scratch, 0
	.set _ZN7rocprim17ROCPRIM_400000_NS6detail17trampoline_kernelINS0_14default_configENS1_35radix_sort_onesweep_config_selectorIjN6thrust23THRUST_200600_302600_NS5tupleIffNS6_9null_typeES8_S8_S8_S8_S8_S8_S8_EEEEZZNS1_29radix_sort_onesweep_iterationIS3_Lb0ENS6_6detail15normal_iteratorINS6_10device_ptrIjEEEESG_NSD_INSE_IS9_EEEESI_jNS0_19identity_decomposerENS1_16block_id_wrapperIjLb1EEEEE10hipError_tT1_PNSt15iterator_traitsISN_E10value_typeET2_T3_PNSO_IST_E10value_typeET4_T5_PSY_SZ_PNS1_23onesweep_lookback_stateEbbT6_jjT7_P12ihipStream_tbENKUlT_T0_SN_SS_E_clISG_PjSI_PS9_EEDaS16_S17_SN_SS_EUlS16_E_NS1_11comp_targetILNS1_3genE8ELNS1_11target_archE1030ELNS1_3gpuE2ELNS1_3repE0EEENS1_47radix_sort_onesweep_sort_config_static_selectorELNS0_4arch9wavefront6targetE0EEEvSN_.has_dyn_sized_stack, 0
	.set _ZN7rocprim17ROCPRIM_400000_NS6detail17trampoline_kernelINS0_14default_configENS1_35radix_sort_onesweep_config_selectorIjN6thrust23THRUST_200600_302600_NS5tupleIffNS6_9null_typeES8_S8_S8_S8_S8_S8_S8_EEEEZZNS1_29radix_sort_onesweep_iterationIS3_Lb0ENS6_6detail15normal_iteratorINS6_10device_ptrIjEEEESG_NSD_INSE_IS9_EEEESI_jNS0_19identity_decomposerENS1_16block_id_wrapperIjLb1EEEEE10hipError_tT1_PNSt15iterator_traitsISN_E10value_typeET2_T3_PNSO_IST_E10value_typeET4_T5_PSY_SZ_PNS1_23onesweep_lookback_stateEbbT6_jjT7_P12ihipStream_tbENKUlT_T0_SN_SS_E_clISG_PjSI_PS9_EEDaS16_S17_SN_SS_EUlS16_E_NS1_11comp_targetILNS1_3genE8ELNS1_11target_archE1030ELNS1_3gpuE2ELNS1_3repE0EEENS1_47radix_sort_onesweep_sort_config_static_selectorELNS0_4arch9wavefront6targetE0EEEvSN_.has_recursion, 0
	.set _ZN7rocprim17ROCPRIM_400000_NS6detail17trampoline_kernelINS0_14default_configENS1_35radix_sort_onesweep_config_selectorIjN6thrust23THRUST_200600_302600_NS5tupleIffNS6_9null_typeES8_S8_S8_S8_S8_S8_S8_EEEEZZNS1_29radix_sort_onesweep_iterationIS3_Lb0ENS6_6detail15normal_iteratorINS6_10device_ptrIjEEEESG_NSD_INSE_IS9_EEEESI_jNS0_19identity_decomposerENS1_16block_id_wrapperIjLb1EEEEE10hipError_tT1_PNSt15iterator_traitsISN_E10value_typeET2_T3_PNSO_IST_E10value_typeET4_T5_PSY_SZ_PNS1_23onesweep_lookback_stateEbbT6_jjT7_P12ihipStream_tbENKUlT_T0_SN_SS_E_clISG_PjSI_PS9_EEDaS16_S17_SN_SS_EUlS16_E_NS1_11comp_targetILNS1_3genE8ELNS1_11target_archE1030ELNS1_3gpuE2ELNS1_3repE0EEENS1_47radix_sort_onesweep_sort_config_static_selectorELNS0_4arch9wavefront6targetE0EEEvSN_.has_indirect_call, 0
	.section	.AMDGPU.csdata,"",@progbits
; Kernel info:
; codeLenInByte = 0
; TotalNumSgprs: 0
; NumVgprs: 0
; ScratchSize: 0
; MemoryBound: 0
; FloatMode: 240
; IeeeMode: 1
; LDSByteSize: 0 bytes/workgroup (compile time only)
; SGPRBlocks: 0
; VGPRBlocks: 0
; NumSGPRsForWavesPerEU: 1
; NumVGPRsForWavesPerEU: 1
; Occupancy: 16
; WaveLimiterHint : 0
; COMPUTE_PGM_RSRC2:SCRATCH_EN: 0
; COMPUTE_PGM_RSRC2:USER_SGPR: 2
; COMPUTE_PGM_RSRC2:TRAP_HANDLER: 0
; COMPUTE_PGM_RSRC2:TGID_X_EN: 1
; COMPUTE_PGM_RSRC2:TGID_Y_EN: 0
; COMPUTE_PGM_RSRC2:TGID_Z_EN: 0
; COMPUTE_PGM_RSRC2:TIDIG_COMP_CNT: 0
	.section	.text._ZN7rocprim17ROCPRIM_400000_NS6detail17trampoline_kernelINS0_14default_configENS1_35radix_sort_onesweep_config_selectorIjN6thrust23THRUST_200600_302600_NS5tupleIffNS6_9null_typeES8_S8_S8_S8_S8_S8_S8_EEEEZZNS1_29radix_sort_onesweep_iterationIS3_Lb0ENS6_6detail15normal_iteratorINS6_10device_ptrIjEEEESG_NSD_INSE_IS9_EEEESI_jNS0_19identity_decomposerENS1_16block_id_wrapperIjLb1EEEEE10hipError_tT1_PNSt15iterator_traitsISN_E10value_typeET2_T3_PNSO_IST_E10value_typeET4_T5_PSY_SZ_PNS1_23onesweep_lookback_stateEbbT6_jjT7_P12ihipStream_tbENKUlT_T0_SN_SS_E_clIPjSG_PS9_SI_EEDaS16_S17_SN_SS_EUlS16_E_NS1_11comp_targetILNS1_3genE0ELNS1_11target_archE4294967295ELNS1_3gpuE0ELNS1_3repE0EEENS1_47radix_sort_onesweep_sort_config_static_selectorELNS0_4arch9wavefront6targetE0EEEvSN_,"axG",@progbits,_ZN7rocprim17ROCPRIM_400000_NS6detail17trampoline_kernelINS0_14default_configENS1_35radix_sort_onesweep_config_selectorIjN6thrust23THRUST_200600_302600_NS5tupleIffNS6_9null_typeES8_S8_S8_S8_S8_S8_S8_EEEEZZNS1_29radix_sort_onesweep_iterationIS3_Lb0ENS6_6detail15normal_iteratorINS6_10device_ptrIjEEEESG_NSD_INSE_IS9_EEEESI_jNS0_19identity_decomposerENS1_16block_id_wrapperIjLb1EEEEE10hipError_tT1_PNSt15iterator_traitsISN_E10value_typeET2_T3_PNSO_IST_E10value_typeET4_T5_PSY_SZ_PNS1_23onesweep_lookback_stateEbbT6_jjT7_P12ihipStream_tbENKUlT_T0_SN_SS_E_clIPjSG_PS9_SI_EEDaS16_S17_SN_SS_EUlS16_E_NS1_11comp_targetILNS1_3genE0ELNS1_11target_archE4294967295ELNS1_3gpuE0ELNS1_3repE0EEENS1_47radix_sort_onesweep_sort_config_static_selectorELNS0_4arch9wavefront6targetE0EEEvSN_,comdat
	.protected	_ZN7rocprim17ROCPRIM_400000_NS6detail17trampoline_kernelINS0_14default_configENS1_35radix_sort_onesweep_config_selectorIjN6thrust23THRUST_200600_302600_NS5tupleIffNS6_9null_typeES8_S8_S8_S8_S8_S8_S8_EEEEZZNS1_29radix_sort_onesweep_iterationIS3_Lb0ENS6_6detail15normal_iteratorINS6_10device_ptrIjEEEESG_NSD_INSE_IS9_EEEESI_jNS0_19identity_decomposerENS1_16block_id_wrapperIjLb1EEEEE10hipError_tT1_PNSt15iterator_traitsISN_E10value_typeET2_T3_PNSO_IST_E10value_typeET4_T5_PSY_SZ_PNS1_23onesweep_lookback_stateEbbT6_jjT7_P12ihipStream_tbENKUlT_T0_SN_SS_E_clIPjSG_PS9_SI_EEDaS16_S17_SN_SS_EUlS16_E_NS1_11comp_targetILNS1_3genE0ELNS1_11target_archE4294967295ELNS1_3gpuE0ELNS1_3repE0EEENS1_47radix_sort_onesweep_sort_config_static_selectorELNS0_4arch9wavefront6targetE0EEEvSN_ ; -- Begin function _ZN7rocprim17ROCPRIM_400000_NS6detail17trampoline_kernelINS0_14default_configENS1_35radix_sort_onesweep_config_selectorIjN6thrust23THRUST_200600_302600_NS5tupleIffNS6_9null_typeES8_S8_S8_S8_S8_S8_S8_EEEEZZNS1_29radix_sort_onesweep_iterationIS3_Lb0ENS6_6detail15normal_iteratorINS6_10device_ptrIjEEEESG_NSD_INSE_IS9_EEEESI_jNS0_19identity_decomposerENS1_16block_id_wrapperIjLb1EEEEE10hipError_tT1_PNSt15iterator_traitsISN_E10value_typeET2_T3_PNSO_IST_E10value_typeET4_T5_PSY_SZ_PNS1_23onesweep_lookback_stateEbbT6_jjT7_P12ihipStream_tbENKUlT_T0_SN_SS_E_clIPjSG_PS9_SI_EEDaS16_S17_SN_SS_EUlS16_E_NS1_11comp_targetILNS1_3genE0ELNS1_11target_archE4294967295ELNS1_3gpuE0ELNS1_3repE0EEENS1_47radix_sort_onesweep_sort_config_static_selectorELNS0_4arch9wavefront6targetE0EEEvSN_
	.globl	_ZN7rocprim17ROCPRIM_400000_NS6detail17trampoline_kernelINS0_14default_configENS1_35radix_sort_onesweep_config_selectorIjN6thrust23THRUST_200600_302600_NS5tupleIffNS6_9null_typeES8_S8_S8_S8_S8_S8_S8_EEEEZZNS1_29radix_sort_onesweep_iterationIS3_Lb0ENS6_6detail15normal_iteratorINS6_10device_ptrIjEEEESG_NSD_INSE_IS9_EEEESI_jNS0_19identity_decomposerENS1_16block_id_wrapperIjLb1EEEEE10hipError_tT1_PNSt15iterator_traitsISN_E10value_typeET2_T3_PNSO_IST_E10value_typeET4_T5_PSY_SZ_PNS1_23onesweep_lookback_stateEbbT6_jjT7_P12ihipStream_tbENKUlT_T0_SN_SS_E_clIPjSG_PS9_SI_EEDaS16_S17_SN_SS_EUlS16_E_NS1_11comp_targetILNS1_3genE0ELNS1_11target_archE4294967295ELNS1_3gpuE0ELNS1_3repE0EEENS1_47radix_sort_onesweep_sort_config_static_selectorELNS0_4arch9wavefront6targetE0EEEvSN_
	.p2align	8
	.type	_ZN7rocprim17ROCPRIM_400000_NS6detail17trampoline_kernelINS0_14default_configENS1_35radix_sort_onesweep_config_selectorIjN6thrust23THRUST_200600_302600_NS5tupleIffNS6_9null_typeES8_S8_S8_S8_S8_S8_S8_EEEEZZNS1_29radix_sort_onesweep_iterationIS3_Lb0ENS6_6detail15normal_iteratorINS6_10device_ptrIjEEEESG_NSD_INSE_IS9_EEEESI_jNS0_19identity_decomposerENS1_16block_id_wrapperIjLb1EEEEE10hipError_tT1_PNSt15iterator_traitsISN_E10value_typeET2_T3_PNSO_IST_E10value_typeET4_T5_PSY_SZ_PNS1_23onesweep_lookback_stateEbbT6_jjT7_P12ihipStream_tbENKUlT_T0_SN_SS_E_clIPjSG_PS9_SI_EEDaS16_S17_SN_SS_EUlS16_E_NS1_11comp_targetILNS1_3genE0ELNS1_11target_archE4294967295ELNS1_3gpuE0ELNS1_3repE0EEENS1_47radix_sort_onesweep_sort_config_static_selectorELNS0_4arch9wavefront6targetE0EEEvSN_,@function
_ZN7rocprim17ROCPRIM_400000_NS6detail17trampoline_kernelINS0_14default_configENS1_35radix_sort_onesweep_config_selectorIjN6thrust23THRUST_200600_302600_NS5tupleIffNS6_9null_typeES8_S8_S8_S8_S8_S8_S8_EEEEZZNS1_29radix_sort_onesweep_iterationIS3_Lb0ENS6_6detail15normal_iteratorINS6_10device_ptrIjEEEESG_NSD_INSE_IS9_EEEESI_jNS0_19identity_decomposerENS1_16block_id_wrapperIjLb1EEEEE10hipError_tT1_PNSt15iterator_traitsISN_E10value_typeET2_T3_PNSO_IST_E10value_typeET4_T5_PSY_SZ_PNS1_23onesweep_lookback_stateEbbT6_jjT7_P12ihipStream_tbENKUlT_T0_SN_SS_E_clIPjSG_PS9_SI_EEDaS16_S17_SN_SS_EUlS16_E_NS1_11comp_targetILNS1_3genE0ELNS1_11target_archE4294967295ELNS1_3gpuE0ELNS1_3repE0EEENS1_47radix_sort_onesweep_sort_config_static_selectorELNS0_4arch9wavefront6targetE0EEEvSN_: ; @_ZN7rocprim17ROCPRIM_400000_NS6detail17trampoline_kernelINS0_14default_configENS1_35radix_sort_onesweep_config_selectorIjN6thrust23THRUST_200600_302600_NS5tupleIffNS6_9null_typeES8_S8_S8_S8_S8_S8_S8_EEEEZZNS1_29radix_sort_onesweep_iterationIS3_Lb0ENS6_6detail15normal_iteratorINS6_10device_ptrIjEEEESG_NSD_INSE_IS9_EEEESI_jNS0_19identity_decomposerENS1_16block_id_wrapperIjLb1EEEEE10hipError_tT1_PNSt15iterator_traitsISN_E10value_typeET2_T3_PNSO_IST_E10value_typeET4_T5_PSY_SZ_PNS1_23onesweep_lookback_stateEbbT6_jjT7_P12ihipStream_tbENKUlT_T0_SN_SS_E_clIPjSG_PS9_SI_EEDaS16_S17_SN_SS_EUlS16_E_NS1_11comp_targetILNS1_3genE0ELNS1_11target_archE4294967295ELNS1_3gpuE0ELNS1_3repE0EEENS1_47radix_sort_onesweep_sort_config_static_selectorELNS0_4arch9wavefront6targetE0EEEvSN_
; %bb.0:
	.section	.rodata,"a",@progbits
	.p2align	6, 0x0
	.amdhsa_kernel _ZN7rocprim17ROCPRIM_400000_NS6detail17trampoline_kernelINS0_14default_configENS1_35radix_sort_onesweep_config_selectorIjN6thrust23THRUST_200600_302600_NS5tupleIffNS6_9null_typeES8_S8_S8_S8_S8_S8_S8_EEEEZZNS1_29radix_sort_onesweep_iterationIS3_Lb0ENS6_6detail15normal_iteratorINS6_10device_ptrIjEEEESG_NSD_INSE_IS9_EEEESI_jNS0_19identity_decomposerENS1_16block_id_wrapperIjLb1EEEEE10hipError_tT1_PNSt15iterator_traitsISN_E10value_typeET2_T3_PNSO_IST_E10value_typeET4_T5_PSY_SZ_PNS1_23onesweep_lookback_stateEbbT6_jjT7_P12ihipStream_tbENKUlT_T0_SN_SS_E_clIPjSG_PS9_SI_EEDaS16_S17_SN_SS_EUlS16_E_NS1_11comp_targetILNS1_3genE0ELNS1_11target_archE4294967295ELNS1_3gpuE0ELNS1_3repE0EEENS1_47radix_sort_onesweep_sort_config_static_selectorELNS0_4arch9wavefront6targetE0EEEvSN_
		.amdhsa_group_segment_fixed_size 0
		.amdhsa_private_segment_fixed_size 0
		.amdhsa_kernarg_size 88
		.amdhsa_user_sgpr_count 2
		.amdhsa_user_sgpr_dispatch_ptr 0
		.amdhsa_user_sgpr_queue_ptr 0
		.amdhsa_user_sgpr_kernarg_segment_ptr 1
		.amdhsa_user_sgpr_dispatch_id 0
		.amdhsa_user_sgpr_private_segment_size 0
		.amdhsa_wavefront_size32 1
		.amdhsa_uses_dynamic_stack 0
		.amdhsa_enable_private_segment 0
		.amdhsa_system_sgpr_workgroup_id_x 1
		.amdhsa_system_sgpr_workgroup_id_y 0
		.amdhsa_system_sgpr_workgroup_id_z 0
		.amdhsa_system_sgpr_workgroup_info 0
		.amdhsa_system_vgpr_workitem_id 0
		.amdhsa_next_free_vgpr 1
		.amdhsa_next_free_sgpr 1
		.amdhsa_reserve_vcc 0
		.amdhsa_float_round_mode_32 0
		.amdhsa_float_round_mode_16_64 0
		.amdhsa_float_denorm_mode_32 3
		.amdhsa_float_denorm_mode_16_64 3
		.amdhsa_fp16_overflow 0
		.amdhsa_workgroup_processor_mode 1
		.amdhsa_memory_ordered 1
		.amdhsa_forward_progress 1
		.amdhsa_inst_pref_size 0
		.amdhsa_round_robin_scheduling 0
		.amdhsa_exception_fp_ieee_invalid_op 0
		.amdhsa_exception_fp_denorm_src 0
		.amdhsa_exception_fp_ieee_div_zero 0
		.amdhsa_exception_fp_ieee_overflow 0
		.amdhsa_exception_fp_ieee_underflow 0
		.amdhsa_exception_fp_ieee_inexact 0
		.amdhsa_exception_int_div_zero 0
	.end_amdhsa_kernel
	.section	.text._ZN7rocprim17ROCPRIM_400000_NS6detail17trampoline_kernelINS0_14default_configENS1_35radix_sort_onesweep_config_selectorIjN6thrust23THRUST_200600_302600_NS5tupleIffNS6_9null_typeES8_S8_S8_S8_S8_S8_S8_EEEEZZNS1_29radix_sort_onesweep_iterationIS3_Lb0ENS6_6detail15normal_iteratorINS6_10device_ptrIjEEEESG_NSD_INSE_IS9_EEEESI_jNS0_19identity_decomposerENS1_16block_id_wrapperIjLb1EEEEE10hipError_tT1_PNSt15iterator_traitsISN_E10value_typeET2_T3_PNSO_IST_E10value_typeET4_T5_PSY_SZ_PNS1_23onesweep_lookback_stateEbbT6_jjT7_P12ihipStream_tbENKUlT_T0_SN_SS_E_clIPjSG_PS9_SI_EEDaS16_S17_SN_SS_EUlS16_E_NS1_11comp_targetILNS1_3genE0ELNS1_11target_archE4294967295ELNS1_3gpuE0ELNS1_3repE0EEENS1_47radix_sort_onesweep_sort_config_static_selectorELNS0_4arch9wavefront6targetE0EEEvSN_,"axG",@progbits,_ZN7rocprim17ROCPRIM_400000_NS6detail17trampoline_kernelINS0_14default_configENS1_35radix_sort_onesweep_config_selectorIjN6thrust23THRUST_200600_302600_NS5tupleIffNS6_9null_typeES8_S8_S8_S8_S8_S8_S8_EEEEZZNS1_29radix_sort_onesweep_iterationIS3_Lb0ENS6_6detail15normal_iteratorINS6_10device_ptrIjEEEESG_NSD_INSE_IS9_EEEESI_jNS0_19identity_decomposerENS1_16block_id_wrapperIjLb1EEEEE10hipError_tT1_PNSt15iterator_traitsISN_E10value_typeET2_T3_PNSO_IST_E10value_typeET4_T5_PSY_SZ_PNS1_23onesweep_lookback_stateEbbT6_jjT7_P12ihipStream_tbENKUlT_T0_SN_SS_E_clIPjSG_PS9_SI_EEDaS16_S17_SN_SS_EUlS16_E_NS1_11comp_targetILNS1_3genE0ELNS1_11target_archE4294967295ELNS1_3gpuE0ELNS1_3repE0EEENS1_47radix_sort_onesweep_sort_config_static_selectorELNS0_4arch9wavefront6targetE0EEEvSN_,comdat
.Lfunc_end193:
	.size	_ZN7rocprim17ROCPRIM_400000_NS6detail17trampoline_kernelINS0_14default_configENS1_35radix_sort_onesweep_config_selectorIjN6thrust23THRUST_200600_302600_NS5tupleIffNS6_9null_typeES8_S8_S8_S8_S8_S8_S8_EEEEZZNS1_29radix_sort_onesweep_iterationIS3_Lb0ENS6_6detail15normal_iteratorINS6_10device_ptrIjEEEESG_NSD_INSE_IS9_EEEESI_jNS0_19identity_decomposerENS1_16block_id_wrapperIjLb1EEEEE10hipError_tT1_PNSt15iterator_traitsISN_E10value_typeET2_T3_PNSO_IST_E10value_typeET4_T5_PSY_SZ_PNS1_23onesweep_lookback_stateEbbT6_jjT7_P12ihipStream_tbENKUlT_T0_SN_SS_E_clIPjSG_PS9_SI_EEDaS16_S17_SN_SS_EUlS16_E_NS1_11comp_targetILNS1_3genE0ELNS1_11target_archE4294967295ELNS1_3gpuE0ELNS1_3repE0EEENS1_47radix_sort_onesweep_sort_config_static_selectorELNS0_4arch9wavefront6targetE0EEEvSN_, .Lfunc_end193-_ZN7rocprim17ROCPRIM_400000_NS6detail17trampoline_kernelINS0_14default_configENS1_35radix_sort_onesweep_config_selectorIjN6thrust23THRUST_200600_302600_NS5tupleIffNS6_9null_typeES8_S8_S8_S8_S8_S8_S8_EEEEZZNS1_29radix_sort_onesweep_iterationIS3_Lb0ENS6_6detail15normal_iteratorINS6_10device_ptrIjEEEESG_NSD_INSE_IS9_EEEESI_jNS0_19identity_decomposerENS1_16block_id_wrapperIjLb1EEEEE10hipError_tT1_PNSt15iterator_traitsISN_E10value_typeET2_T3_PNSO_IST_E10value_typeET4_T5_PSY_SZ_PNS1_23onesweep_lookback_stateEbbT6_jjT7_P12ihipStream_tbENKUlT_T0_SN_SS_E_clIPjSG_PS9_SI_EEDaS16_S17_SN_SS_EUlS16_E_NS1_11comp_targetILNS1_3genE0ELNS1_11target_archE4294967295ELNS1_3gpuE0ELNS1_3repE0EEENS1_47radix_sort_onesweep_sort_config_static_selectorELNS0_4arch9wavefront6targetE0EEEvSN_
                                        ; -- End function
	.set _ZN7rocprim17ROCPRIM_400000_NS6detail17trampoline_kernelINS0_14default_configENS1_35radix_sort_onesweep_config_selectorIjN6thrust23THRUST_200600_302600_NS5tupleIffNS6_9null_typeES8_S8_S8_S8_S8_S8_S8_EEEEZZNS1_29radix_sort_onesweep_iterationIS3_Lb0ENS6_6detail15normal_iteratorINS6_10device_ptrIjEEEESG_NSD_INSE_IS9_EEEESI_jNS0_19identity_decomposerENS1_16block_id_wrapperIjLb1EEEEE10hipError_tT1_PNSt15iterator_traitsISN_E10value_typeET2_T3_PNSO_IST_E10value_typeET4_T5_PSY_SZ_PNS1_23onesweep_lookback_stateEbbT6_jjT7_P12ihipStream_tbENKUlT_T0_SN_SS_E_clIPjSG_PS9_SI_EEDaS16_S17_SN_SS_EUlS16_E_NS1_11comp_targetILNS1_3genE0ELNS1_11target_archE4294967295ELNS1_3gpuE0ELNS1_3repE0EEENS1_47radix_sort_onesweep_sort_config_static_selectorELNS0_4arch9wavefront6targetE0EEEvSN_.num_vgpr, 0
	.set _ZN7rocprim17ROCPRIM_400000_NS6detail17trampoline_kernelINS0_14default_configENS1_35radix_sort_onesweep_config_selectorIjN6thrust23THRUST_200600_302600_NS5tupleIffNS6_9null_typeES8_S8_S8_S8_S8_S8_S8_EEEEZZNS1_29radix_sort_onesweep_iterationIS3_Lb0ENS6_6detail15normal_iteratorINS6_10device_ptrIjEEEESG_NSD_INSE_IS9_EEEESI_jNS0_19identity_decomposerENS1_16block_id_wrapperIjLb1EEEEE10hipError_tT1_PNSt15iterator_traitsISN_E10value_typeET2_T3_PNSO_IST_E10value_typeET4_T5_PSY_SZ_PNS1_23onesweep_lookback_stateEbbT6_jjT7_P12ihipStream_tbENKUlT_T0_SN_SS_E_clIPjSG_PS9_SI_EEDaS16_S17_SN_SS_EUlS16_E_NS1_11comp_targetILNS1_3genE0ELNS1_11target_archE4294967295ELNS1_3gpuE0ELNS1_3repE0EEENS1_47radix_sort_onesweep_sort_config_static_selectorELNS0_4arch9wavefront6targetE0EEEvSN_.num_agpr, 0
	.set _ZN7rocprim17ROCPRIM_400000_NS6detail17trampoline_kernelINS0_14default_configENS1_35radix_sort_onesweep_config_selectorIjN6thrust23THRUST_200600_302600_NS5tupleIffNS6_9null_typeES8_S8_S8_S8_S8_S8_S8_EEEEZZNS1_29radix_sort_onesweep_iterationIS3_Lb0ENS6_6detail15normal_iteratorINS6_10device_ptrIjEEEESG_NSD_INSE_IS9_EEEESI_jNS0_19identity_decomposerENS1_16block_id_wrapperIjLb1EEEEE10hipError_tT1_PNSt15iterator_traitsISN_E10value_typeET2_T3_PNSO_IST_E10value_typeET4_T5_PSY_SZ_PNS1_23onesweep_lookback_stateEbbT6_jjT7_P12ihipStream_tbENKUlT_T0_SN_SS_E_clIPjSG_PS9_SI_EEDaS16_S17_SN_SS_EUlS16_E_NS1_11comp_targetILNS1_3genE0ELNS1_11target_archE4294967295ELNS1_3gpuE0ELNS1_3repE0EEENS1_47radix_sort_onesweep_sort_config_static_selectorELNS0_4arch9wavefront6targetE0EEEvSN_.numbered_sgpr, 0
	.set _ZN7rocprim17ROCPRIM_400000_NS6detail17trampoline_kernelINS0_14default_configENS1_35radix_sort_onesweep_config_selectorIjN6thrust23THRUST_200600_302600_NS5tupleIffNS6_9null_typeES8_S8_S8_S8_S8_S8_S8_EEEEZZNS1_29radix_sort_onesweep_iterationIS3_Lb0ENS6_6detail15normal_iteratorINS6_10device_ptrIjEEEESG_NSD_INSE_IS9_EEEESI_jNS0_19identity_decomposerENS1_16block_id_wrapperIjLb1EEEEE10hipError_tT1_PNSt15iterator_traitsISN_E10value_typeET2_T3_PNSO_IST_E10value_typeET4_T5_PSY_SZ_PNS1_23onesweep_lookback_stateEbbT6_jjT7_P12ihipStream_tbENKUlT_T0_SN_SS_E_clIPjSG_PS9_SI_EEDaS16_S17_SN_SS_EUlS16_E_NS1_11comp_targetILNS1_3genE0ELNS1_11target_archE4294967295ELNS1_3gpuE0ELNS1_3repE0EEENS1_47radix_sort_onesweep_sort_config_static_selectorELNS0_4arch9wavefront6targetE0EEEvSN_.num_named_barrier, 0
	.set _ZN7rocprim17ROCPRIM_400000_NS6detail17trampoline_kernelINS0_14default_configENS1_35radix_sort_onesweep_config_selectorIjN6thrust23THRUST_200600_302600_NS5tupleIffNS6_9null_typeES8_S8_S8_S8_S8_S8_S8_EEEEZZNS1_29radix_sort_onesweep_iterationIS3_Lb0ENS6_6detail15normal_iteratorINS6_10device_ptrIjEEEESG_NSD_INSE_IS9_EEEESI_jNS0_19identity_decomposerENS1_16block_id_wrapperIjLb1EEEEE10hipError_tT1_PNSt15iterator_traitsISN_E10value_typeET2_T3_PNSO_IST_E10value_typeET4_T5_PSY_SZ_PNS1_23onesweep_lookback_stateEbbT6_jjT7_P12ihipStream_tbENKUlT_T0_SN_SS_E_clIPjSG_PS9_SI_EEDaS16_S17_SN_SS_EUlS16_E_NS1_11comp_targetILNS1_3genE0ELNS1_11target_archE4294967295ELNS1_3gpuE0ELNS1_3repE0EEENS1_47radix_sort_onesweep_sort_config_static_selectorELNS0_4arch9wavefront6targetE0EEEvSN_.private_seg_size, 0
	.set _ZN7rocprim17ROCPRIM_400000_NS6detail17trampoline_kernelINS0_14default_configENS1_35radix_sort_onesweep_config_selectorIjN6thrust23THRUST_200600_302600_NS5tupleIffNS6_9null_typeES8_S8_S8_S8_S8_S8_S8_EEEEZZNS1_29radix_sort_onesweep_iterationIS3_Lb0ENS6_6detail15normal_iteratorINS6_10device_ptrIjEEEESG_NSD_INSE_IS9_EEEESI_jNS0_19identity_decomposerENS1_16block_id_wrapperIjLb1EEEEE10hipError_tT1_PNSt15iterator_traitsISN_E10value_typeET2_T3_PNSO_IST_E10value_typeET4_T5_PSY_SZ_PNS1_23onesweep_lookback_stateEbbT6_jjT7_P12ihipStream_tbENKUlT_T0_SN_SS_E_clIPjSG_PS9_SI_EEDaS16_S17_SN_SS_EUlS16_E_NS1_11comp_targetILNS1_3genE0ELNS1_11target_archE4294967295ELNS1_3gpuE0ELNS1_3repE0EEENS1_47radix_sort_onesweep_sort_config_static_selectorELNS0_4arch9wavefront6targetE0EEEvSN_.uses_vcc, 0
	.set _ZN7rocprim17ROCPRIM_400000_NS6detail17trampoline_kernelINS0_14default_configENS1_35radix_sort_onesweep_config_selectorIjN6thrust23THRUST_200600_302600_NS5tupleIffNS6_9null_typeES8_S8_S8_S8_S8_S8_S8_EEEEZZNS1_29radix_sort_onesweep_iterationIS3_Lb0ENS6_6detail15normal_iteratorINS6_10device_ptrIjEEEESG_NSD_INSE_IS9_EEEESI_jNS0_19identity_decomposerENS1_16block_id_wrapperIjLb1EEEEE10hipError_tT1_PNSt15iterator_traitsISN_E10value_typeET2_T3_PNSO_IST_E10value_typeET4_T5_PSY_SZ_PNS1_23onesweep_lookback_stateEbbT6_jjT7_P12ihipStream_tbENKUlT_T0_SN_SS_E_clIPjSG_PS9_SI_EEDaS16_S17_SN_SS_EUlS16_E_NS1_11comp_targetILNS1_3genE0ELNS1_11target_archE4294967295ELNS1_3gpuE0ELNS1_3repE0EEENS1_47radix_sort_onesweep_sort_config_static_selectorELNS0_4arch9wavefront6targetE0EEEvSN_.uses_flat_scratch, 0
	.set _ZN7rocprim17ROCPRIM_400000_NS6detail17trampoline_kernelINS0_14default_configENS1_35radix_sort_onesweep_config_selectorIjN6thrust23THRUST_200600_302600_NS5tupleIffNS6_9null_typeES8_S8_S8_S8_S8_S8_S8_EEEEZZNS1_29radix_sort_onesweep_iterationIS3_Lb0ENS6_6detail15normal_iteratorINS6_10device_ptrIjEEEESG_NSD_INSE_IS9_EEEESI_jNS0_19identity_decomposerENS1_16block_id_wrapperIjLb1EEEEE10hipError_tT1_PNSt15iterator_traitsISN_E10value_typeET2_T3_PNSO_IST_E10value_typeET4_T5_PSY_SZ_PNS1_23onesweep_lookback_stateEbbT6_jjT7_P12ihipStream_tbENKUlT_T0_SN_SS_E_clIPjSG_PS9_SI_EEDaS16_S17_SN_SS_EUlS16_E_NS1_11comp_targetILNS1_3genE0ELNS1_11target_archE4294967295ELNS1_3gpuE0ELNS1_3repE0EEENS1_47radix_sort_onesweep_sort_config_static_selectorELNS0_4arch9wavefront6targetE0EEEvSN_.has_dyn_sized_stack, 0
	.set _ZN7rocprim17ROCPRIM_400000_NS6detail17trampoline_kernelINS0_14default_configENS1_35radix_sort_onesweep_config_selectorIjN6thrust23THRUST_200600_302600_NS5tupleIffNS6_9null_typeES8_S8_S8_S8_S8_S8_S8_EEEEZZNS1_29radix_sort_onesweep_iterationIS3_Lb0ENS6_6detail15normal_iteratorINS6_10device_ptrIjEEEESG_NSD_INSE_IS9_EEEESI_jNS0_19identity_decomposerENS1_16block_id_wrapperIjLb1EEEEE10hipError_tT1_PNSt15iterator_traitsISN_E10value_typeET2_T3_PNSO_IST_E10value_typeET4_T5_PSY_SZ_PNS1_23onesweep_lookback_stateEbbT6_jjT7_P12ihipStream_tbENKUlT_T0_SN_SS_E_clIPjSG_PS9_SI_EEDaS16_S17_SN_SS_EUlS16_E_NS1_11comp_targetILNS1_3genE0ELNS1_11target_archE4294967295ELNS1_3gpuE0ELNS1_3repE0EEENS1_47radix_sort_onesweep_sort_config_static_selectorELNS0_4arch9wavefront6targetE0EEEvSN_.has_recursion, 0
	.set _ZN7rocprim17ROCPRIM_400000_NS6detail17trampoline_kernelINS0_14default_configENS1_35radix_sort_onesweep_config_selectorIjN6thrust23THRUST_200600_302600_NS5tupleIffNS6_9null_typeES8_S8_S8_S8_S8_S8_S8_EEEEZZNS1_29radix_sort_onesweep_iterationIS3_Lb0ENS6_6detail15normal_iteratorINS6_10device_ptrIjEEEESG_NSD_INSE_IS9_EEEESI_jNS0_19identity_decomposerENS1_16block_id_wrapperIjLb1EEEEE10hipError_tT1_PNSt15iterator_traitsISN_E10value_typeET2_T3_PNSO_IST_E10value_typeET4_T5_PSY_SZ_PNS1_23onesweep_lookback_stateEbbT6_jjT7_P12ihipStream_tbENKUlT_T0_SN_SS_E_clIPjSG_PS9_SI_EEDaS16_S17_SN_SS_EUlS16_E_NS1_11comp_targetILNS1_3genE0ELNS1_11target_archE4294967295ELNS1_3gpuE0ELNS1_3repE0EEENS1_47radix_sort_onesweep_sort_config_static_selectorELNS0_4arch9wavefront6targetE0EEEvSN_.has_indirect_call, 0
	.section	.AMDGPU.csdata,"",@progbits
; Kernel info:
; codeLenInByte = 0
; TotalNumSgprs: 0
; NumVgprs: 0
; ScratchSize: 0
; MemoryBound: 0
; FloatMode: 240
; IeeeMode: 1
; LDSByteSize: 0 bytes/workgroup (compile time only)
; SGPRBlocks: 0
; VGPRBlocks: 0
; NumSGPRsForWavesPerEU: 1
; NumVGPRsForWavesPerEU: 1
; Occupancy: 16
; WaveLimiterHint : 0
; COMPUTE_PGM_RSRC2:SCRATCH_EN: 0
; COMPUTE_PGM_RSRC2:USER_SGPR: 2
; COMPUTE_PGM_RSRC2:TRAP_HANDLER: 0
; COMPUTE_PGM_RSRC2:TGID_X_EN: 1
; COMPUTE_PGM_RSRC2:TGID_Y_EN: 0
; COMPUTE_PGM_RSRC2:TGID_Z_EN: 0
; COMPUTE_PGM_RSRC2:TIDIG_COMP_CNT: 0
	.section	.text._ZN7rocprim17ROCPRIM_400000_NS6detail17trampoline_kernelINS0_14default_configENS1_35radix_sort_onesweep_config_selectorIjN6thrust23THRUST_200600_302600_NS5tupleIffNS6_9null_typeES8_S8_S8_S8_S8_S8_S8_EEEEZZNS1_29radix_sort_onesweep_iterationIS3_Lb0ENS6_6detail15normal_iteratorINS6_10device_ptrIjEEEESG_NSD_INSE_IS9_EEEESI_jNS0_19identity_decomposerENS1_16block_id_wrapperIjLb1EEEEE10hipError_tT1_PNSt15iterator_traitsISN_E10value_typeET2_T3_PNSO_IST_E10value_typeET4_T5_PSY_SZ_PNS1_23onesweep_lookback_stateEbbT6_jjT7_P12ihipStream_tbENKUlT_T0_SN_SS_E_clIPjSG_PS9_SI_EEDaS16_S17_SN_SS_EUlS16_E_NS1_11comp_targetILNS1_3genE6ELNS1_11target_archE950ELNS1_3gpuE13ELNS1_3repE0EEENS1_47radix_sort_onesweep_sort_config_static_selectorELNS0_4arch9wavefront6targetE0EEEvSN_,"axG",@progbits,_ZN7rocprim17ROCPRIM_400000_NS6detail17trampoline_kernelINS0_14default_configENS1_35radix_sort_onesweep_config_selectorIjN6thrust23THRUST_200600_302600_NS5tupleIffNS6_9null_typeES8_S8_S8_S8_S8_S8_S8_EEEEZZNS1_29radix_sort_onesweep_iterationIS3_Lb0ENS6_6detail15normal_iteratorINS6_10device_ptrIjEEEESG_NSD_INSE_IS9_EEEESI_jNS0_19identity_decomposerENS1_16block_id_wrapperIjLb1EEEEE10hipError_tT1_PNSt15iterator_traitsISN_E10value_typeET2_T3_PNSO_IST_E10value_typeET4_T5_PSY_SZ_PNS1_23onesweep_lookback_stateEbbT6_jjT7_P12ihipStream_tbENKUlT_T0_SN_SS_E_clIPjSG_PS9_SI_EEDaS16_S17_SN_SS_EUlS16_E_NS1_11comp_targetILNS1_3genE6ELNS1_11target_archE950ELNS1_3gpuE13ELNS1_3repE0EEENS1_47radix_sort_onesweep_sort_config_static_selectorELNS0_4arch9wavefront6targetE0EEEvSN_,comdat
	.protected	_ZN7rocprim17ROCPRIM_400000_NS6detail17trampoline_kernelINS0_14default_configENS1_35radix_sort_onesweep_config_selectorIjN6thrust23THRUST_200600_302600_NS5tupleIffNS6_9null_typeES8_S8_S8_S8_S8_S8_S8_EEEEZZNS1_29radix_sort_onesweep_iterationIS3_Lb0ENS6_6detail15normal_iteratorINS6_10device_ptrIjEEEESG_NSD_INSE_IS9_EEEESI_jNS0_19identity_decomposerENS1_16block_id_wrapperIjLb1EEEEE10hipError_tT1_PNSt15iterator_traitsISN_E10value_typeET2_T3_PNSO_IST_E10value_typeET4_T5_PSY_SZ_PNS1_23onesweep_lookback_stateEbbT6_jjT7_P12ihipStream_tbENKUlT_T0_SN_SS_E_clIPjSG_PS9_SI_EEDaS16_S17_SN_SS_EUlS16_E_NS1_11comp_targetILNS1_3genE6ELNS1_11target_archE950ELNS1_3gpuE13ELNS1_3repE0EEENS1_47radix_sort_onesweep_sort_config_static_selectorELNS0_4arch9wavefront6targetE0EEEvSN_ ; -- Begin function _ZN7rocprim17ROCPRIM_400000_NS6detail17trampoline_kernelINS0_14default_configENS1_35radix_sort_onesweep_config_selectorIjN6thrust23THRUST_200600_302600_NS5tupleIffNS6_9null_typeES8_S8_S8_S8_S8_S8_S8_EEEEZZNS1_29radix_sort_onesweep_iterationIS3_Lb0ENS6_6detail15normal_iteratorINS6_10device_ptrIjEEEESG_NSD_INSE_IS9_EEEESI_jNS0_19identity_decomposerENS1_16block_id_wrapperIjLb1EEEEE10hipError_tT1_PNSt15iterator_traitsISN_E10value_typeET2_T3_PNSO_IST_E10value_typeET4_T5_PSY_SZ_PNS1_23onesweep_lookback_stateEbbT6_jjT7_P12ihipStream_tbENKUlT_T0_SN_SS_E_clIPjSG_PS9_SI_EEDaS16_S17_SN_SS_EUlS16_E_NS1_11comp_targetILNS1_3genE6ELNS1_11target_archE950ELNS1_3gpuE13ELNS1_3repE0EEENS1_47radix_sort_onesweep_sort_config_static_selectorELNS0_4arch9wavefront6targetE0EEEvSN_
	.globl	_ZN7rocprim17ROCPRIM_400000_NS6detail17trampoline_kernelINS0_14default_configENS1_35radix_sort_onesweep_config_selectorIjN6thrust23THRUST_200600_302600_NS5tupleIffNS6_9null_typeES8_S8_S8_S8_S8_S8_S8_EEEEZZNS1_29radix_sort_onesweep_iterationIS3_Lb0ENS6_6detail15normal_iteratorINS6_10device_ptrIjEEEESG_NSD_INSE_IS9_EEEESI_jNS0_19identity_decomposerENS1_16block_id_wrapperIjLb1EEEEE10hipError_tT1_PNSt15iterator_traitsISN_E10value_typeET2_T3_PNSO_IST_E10value_typeET4_T5_PSY_SZ_PNS1_23onesweep_lookback_stateEbbT6_jjT7_P12ihipStream_tbENKUlT_T0_SN_SS_E_clIPjSG_PS9_SI_EEDaS16_S17_SN_SS_EUlS16_E_NS1_11comp_targetILNS1_3genE6ELNS1_11target_archE950ELNS1_3gpuE13ELNS1_3repE0EEENS1_47radix_sort_onesweep_sort_config_static_selectorELNS0_4arch9wavefront6targetE0EEEvSN_
	.p2align	8
	.type	_ZN7rocprim17ROCPRIM_400000_NS6detail17trampoline_kernelINS0_14default_configENS1_35radix_sort_onesweep_config_selectorIjN6thrust23THRUST_200600_302600_NS5tupleIffNS6_9null_typeES8_S8_S8_S8_S8_S8_S8_EEEEZZNS1_29radix_sort_onesweep_iterationIS3_Lb0ENS6_6detail15normal_iteratorINS6_10device_ptrIjEEEESG_NSD_INSE_IS9_EEEESI_jNS0_19identity_decomposerENS1_16block_id_wrapperIjLb1EEEEE10hipError_tT1_PNSt15iterator_traitsISN_E10value_typeET2_T3_PNSO_IST_E10value_typeET4_T5_PSY_SZ_PNS1_23onesweep_lookback_stateEbbT6_jjT7_P12ihipStream_tbENKUlT_T0_SN_SS_E_clIPjSG_PS9_SI_EEDaS16_S17_SN_SS_EUlS16_E_NS1_11comp_targetILNS1_3genE6ELNS1_11target_archE950ELNS1_3gpuE13ELNS1_3repE0EEENS1_47radix_sort_onesweep_sort_config_static_selectorELNS0_4arch9wavefront6targetE0EEEvSN_,@function
_ZN7rocprim17ROCPRIM_400000_NS6detail17trampoline_kernelINS0_14default_configENS1_35radix_sort_onesweep_config_selectorIjN6thrust23THRUST_200600_302600_NS5tupleIffNS6_9null_typeES8_S8_S8_S8_S8_S8_S8_EEEEZZNS1_29radix_sort_onesweep_iterationIS3_Lb0ENS6_6detail15normal_iteratorINS6_10device_ptrIjEEEESG_NSD_INSE_IS9_EEEESI_jNS0_19identity_decomposerENS1_16block_id_wrapperIjLb1EEEEE10hipError_tT1_PNSt15iterator_traitsISN_E10value_typeET2_T3_PNSO_IST_E10value_typeET4_T5_PSY_SZ_PNS1_23onesweep_lookback_stateEbbT6_jjT7_P12ihipStream_tbENKUlT_T0_SN_SS_E_clIPjSG_PS9_SI_EEDaS16_S17_SN_SS_EUlS16_E_NS1_11comp_targetILNS1_3genE6ELNS1_11target_archE950ELNS1_3gpuE13ELNS1_3repE0EEENS1_47radix_sort_onesweep_sort_config_static_selectorELNS0_4arch9wavefront6targetE0EEEvSN_: ; @_ZN7rocprim17ROCPRIM_400000_NS6detail17trampoline_kernelINS0_14default_configENS1_35radix_sort_onesweep_config_selectorIjN6thrust23THRUST_200600_302600_NS5tupleIffNS6_9null_typeES8_S8_S8_S8_S8_S8_S8_EEEEZZNS1_29radix_sort_onesweep_iterationIS3_Lb0ENS6_6detail15normal_iteratorINS6_10device_ptrIjEEEESG_NSD_INSE_IS9_EEEESI_jNS0_19identity_decomposerENS1_16block_id_wrapperIjLb1EEEEE10hipError_tT1_PNSt15iterator_traitsISN_E10value_typeET2_T3_PNSO_IST_E10value_typeET4_T5_PSY_SZ_PNS1_23onesweep_lookback_stateEbbT6_jjT7_P12ihipStream_tbENKUlT_T0_SN_SS_E_clIPjSG_PS9_SI_EEDaS16_S17_SN_SS_EUlS16_E_NS1_11comp_targetILNS1_3genE6ELNS1_11target_archE950ELNS1_3gpuE13ELNS1_3repE0EEENS1_47radix_sort_onesweep_sort_config_static_selectorELNS0_4arch9wavefront6targetE0EEEvSN_
; %bb.0:
	.section	.rodata,"a",@progbits
	.p2align	6, 0x0
	.amdhsa_kernel _ZN7rocprim17ROCPRIM_400000_NS6detail17trampoline_kernelINS0_14default_configENS1_35radix_sort_onesweep_config_selectorIjN6thrust23THRUST_200600_302600_NS5tupleIffNS6_9null_typeES8_S8_S8_S8_S8_S8_S8_EEEEZZNS1_29radix_sort_onesweep_iterationIS3_Lb0ENS6_6detail15normal_iteratorINS6_10device_ptrIjEEEESG_NSD_INSE_IS9_EEEESI_jNS0_19identity_decomposerENS1_16block_id_wrapperIjLb1EEEEE10hipError_tT1_PNSt15iterator_traitsISN_E10value_typeET2_T3_PNSO_IST_E10value_typeET4_T5_PSY_SZ_PNS1_23onesweep_lookback_stateEbbT6_jjT7_P12ihipStream_tbENKUlT_T0_SN_SS_E_clIPjSG_PS9_SI_EEDaS16_S17_SN_SS_EUlS16_E_NS1_11comp_targetILNS1_3genE6ELNS1_11target_archE950ELNS1_3gpuE13ELNS1_3repE0EEENS1_47radix_sort_onesweep_sort_config_static_selectorELNS0_4arch9wavefront6targetE0EEEvSN_
		.amdhsa_group_segment_fixed_size 0
		.amdhsa_private_segment_fixed_size 0
		.amdhsa_kernarg_size 88
		.amdhsa_user_sgpr_count 2
		.amdhsa_user_sgpr_dispatch_ptr 0
		.amdhsa_user_sgpr_queue_ptr 0
		.amdhsa_user_sgpr_kernarg_segment_ptr 1
		.amdhsa_user_sgpr_dispatch_id 0
		.amdhsa_user_sgpr_private_segment_size 0
		.amdhsa_wavefront_size32 1
		.amdhsa_uses_dynamic_stack 0
		.amdhsa_enable_private_segment 0
		.amdhsa_system_sgpr_workgroup_id_x 1
		.amdhsa_system_sgpr_workgroup_id_y 0
		.amdhsa_system_sgpr_workgroup_id_z 0
		.amdhsa_system_sgpr_workgroup_info 0
		.amdhsa_system_vgpr_workitem_id 0
		.amdhsa_next_free_vgpr 1
		.amdhsa_next_free_sgpr 1
		.amdhsa_reserve_vcc 0
		.amdhsa_float_round_mode_32 0
		.amdhsa_float_round_mode_16_64 0
		.amdhsa_float_denorm_mode_32 3
		.amdhsa_float_denorm_mode_16_64 3
		.amdhsa_fp16_overflow 0
		.amdhsa_workgroup_processor_mode 1
		.amdhsa_memory_ordered 1
		.amdhsa_forward_progress 1
		.amdhsa_inst_pref_size 0
		.amdhsa_round_robin_scheduling 0
		.amdhsa_exception_fp_ieee_invalid_op 0
		.amdhsa_exception_fp_denorm_src 0
		.amdhsa_exception_fp_ieee_div_zero 0
		.amdhsa_exception_fp_ieee_overflow 0
		.amdhsa_exception_fp_ieee_underflow 0
		.amdhsa_exception_fp_ieee_inexact 0
		.amdhsa_exception_int_div_zero 0
	.end_amdhsa_kernel
	.section	.text._ZN7rocprim17ROCPRIM_400000_NS6detail17trampoline_kernelINS0_14default_configENS1_35radix_sort_onesweep_config_selectorIjN6thrust23THRUST_200600_302600_NS5tupleIffNS6_9null_typeES8_S8_S8_S8_S8_S8_S8_EEEEZZNS1_29radix_sort_onesweep_iterationIS3_Lb0ENS6_6detail15normal_iteratorINS6_10device_ptrIjEEEESG_NSD_INSE_IS9_EEEESI_jNS0_19identity_decomposerENS1_16block_id_wrapperIjLb1EEEEE10hipError_tT1_PNSt15iterator_traitsISN_E10value_typeET2_T3_PNSO_IST_E10value_typeET4_T5_PSY_SZ_PNS1_23onesweep_lookback_stateEbbT6_jjT7_P12ihipStream_tbENKUlT_T0_SN_SS_E_clIPjSG_PS9_SI_EEDaS16_S17_SN_SS_EUlS16_E_NS1_11comp_targetILNS1_3genE6ELNS1_11target_archE950ELNS1_3gpuE13ELNS1_3repE0EEENS1_47radix_sort_onesweep_sort_config_static_selectorELNS0_4arch9wavefront6targetE0EEEvSN_,"axG",@progbits,_ZN7rocprim17ROCPRIM_400000_NS6detail17trampoline_kernelINS0_14default_configENS1_35radix_sort_onesweep_config_selectorIjN6thrust23THRUST_200600_302600_NS5tupleIffNS6_9null_typeES8_S8_S8_S8_S8_S8_S8_EEEEZZNS1_29radix_sort_onesweep_iterationIS3_Lb0ENS6_6detail15normal_iteratorINS6_10device_ptrIjEEEESG_NSD_INSE_IS9_EEEESI_jNS0_19identity_decomposerENS1_16block_id_wrapperIjLb1EEEEE10hipError_tT1_PNSt15iterator_traitsISN_E10value_typeET2_T3_PNSO_IST_E10value_typeET4_T5_PSY_SZ_PNS1_23onesweep_lookback_stateEbbT6_jjT7_P12ihipStream_tbENKUlT_T0_SN_SS_E_clIPjSG_PS9_SI_EEDaS16_S17_SN_SS_EUlS16_E_NS1_11comp_targetILNS1_3genE6ELNS1_11target_archE950ELNS1_3gpuE13ELNS1_3repE0EEENS1_47radix_sort_onesweep_sort_config_static_selectorELNS0_4arch9wavefront6targetE0EEEvSN_,comdat
.Lfunc_end194:
	.size	_ZN7rocprim17ROCPRIM_400000_NS6detail17trampoline_kernelINS0_14default_configENS1_35radix_sort_onesweep_config_selectorIjN6thrust23THRUST_200600_302600_NS5tupleIffNS6_9null_typeES8_S8_S8_S8_S8_S8_S8_EEEEZZNS1_29radix_sort_onesweep_iterationIS3_Lb0ENS6_6detail15normal_iteratorINS6_10device_ptrIjEEEESG_NSD_INSE_IS9_EEEESI_jNS0_19identity_decomposerENS1_16block_id_wrapperIjLb1EEEEE10hipError_tT1_PNSt15iterator_traitsISN_E10value_typeET2_T3_PNSO_IST_E10value_typeET4_T5_PSY_SZ_PNS1_23onesweep_lookback_stateEbbT6_jjT7_P12ihipStream_tbENKUlT_T0_SN_SS_E_clIPjSG_PS9_SI_EEDaS16_S17_SN_SS_EUlS16_E_NS1_11comp_targetILNS1_3genE6ELNS1_11target_archE950ELNS1_3gpuE13ELNS1_3repE0EEENS1_47radix_sort_onesweep_sort_config_static_selectorELNS0_4arch9wavefront6targetE0EEEvSN_, .Lfunc_end194-_ZN7rocprim17ROCPRIM_400000_NS6detail17trampoline_kernelINS0_14default_configENS1_35radix_sort_onesweep_config_selectorIjN6thrust23THRUST_200600_302600_NS5tupleIffNS6_9null_typeES8_S8_S8_S8_S8_S8_S8_EEEEZZNS1_29radix_sort_onesweep_iterationIS3_Lb0ENS6_6detail15normal_iteratorINS6_10device_ptrIjEEEESG_NSD_INSE_IS9_EEEESI_jNS0_19identity_decomposerENS1_16block_id_wrapperIjLb1EEEEE10hipError_tT1_PNSt15iterator_traitsISN_E10value_typeET2_T3_PNSO_IST_E10value_typeET4_T5_PSY_SZ_PNS1_23onesweep_lookback_stateEbbT6_jjT7_P12ihipStream_tbENKUlT_T0_SN_SS_E_clIPjSG_PS9_SI_EEDaS16_S17_SN_SS_EUlS16_E_NS1_11comp_targetILNS1_3genE6ELNS1_11target_archE950ELNS1_3gpuE13ELNS1_3repE0EEENS1_47radix_sort_onesweep_sort_config_static_selectorELNS0_4arch9wavefront6targetE0EEEvSN_
                                        ; -- End function
	.set _ZN7rocprim17ROCPRIM_400000_NS6detail17trampoline_kernelINS0_14default_configENS1_35radix_sort_onesweep_config_selectorIjN6thrust23THRUST_200600_302600_NS5tupleIffNS6_9null_typeES8_S8_S8_S8_S8_S8_S8_EEEEZZNS1_29radix_sort_onesweep_iterationIS3_Lb0ENS6_6detail15normal_iteratorINS6_10device_ptrIjEEEESG_NSD_INSE_IS9_EEEESI_jNS0_19identity_decomposerENS1_16block_id_wrapperIjLb1EEEEE10hipError_tT1_PNSt15iterator_traitsISN_E10value_typeET2_T3_PNSO_IST_E10value_typeET4_T5_PSY_SZ_PNS1_23onesweep_lookback_stateEbbT6_jjT7_P12ihipStream_tbENKUlT_T0_SN_SS_E_clIPjSG_PS9_SI_EEDaS16_S17_SN_SS_EUlS16_E_NS1_11comp_targetILNS1_3genE6ELNS1_11target_archE950ELNS1_3gpuE13ELNS1_3repE0EEENS1_47radix_sort_onesweep_sort_config_static_selectorELNS0_4arch9wavefront6targetE0EEEvSN_.num_vgpr, 0
	.set _ZN7rocprim17ROCPRIM_400000_NS6detail17trampoline_kernelINS0_14default_configENS1_35radix_sort_onesweep_config_selectorIjN6thrust23THRUST_200600_302600_NS5tupleIffNS6_9null_typeES8_S8_S8_S8_S8_S8_S8_EEEEZZNS1_29radix_sort_onesweep_iterationIS3_Lb0ENS6_6detail15normal_iteratorINS6_10device_ptrIjEEEESG_NSD_INSE_IS9_EEEESI_jNS0_19identity_decomposerENS1_16block_id_wrapperIjLb1EEEEE10hipError_tT1_PNSt15iterator_traitsISN_E10value_typeET2_T3_PNSO_IST_E10value_typeET4_T5_PSY_SZ_PNS1_23onesweep_lookback_stateEbbT6_jjT7_P12ihipStream_tbENKUlT_T0_SN_SS_E_clIPjSG_PS9_SI_EEDaS16_S17_SN_SS_EUlS16_E_NS1_11comp_targetILNS1_3genE6ELNS1_11target_archE950ELNS1_3gpuE13ELNS1_3repE0EEENS1_47radix_sort_onesweep_sort_config_static_selectorELNS0_4arch9wavefront6targetE0EEEvSN_.num_agpr, 0
	.set _ZN7rocprim17ROCPRIM_400000_NS6detail17trampoline_kernelINS0_14default_configENS1_35radix_sort_onesweep_config_selectorIjN6thrust23THRUST_200600_302600_NS5tupleIffNS6_9null_typeES8_S8_S8_S8_S8_S8_S8_EEEEZZNS1_29radix_sort_onesweep_iterationIS3_Lb0ENS6_6detail15normal_iteratorINS6_10device_ptrIjEEEESG_NSD_INSE_IS9_EEEESI_jNS0_19identity_decomposerENS1_16block_id_wrapperIjLb1EEEEE10hipError_tT1_PNSt15iterator_traitsISN_E10value_typeET2_T3_PNSO_IST_E10value_typeET4_T5_PSY_SZ_PNS1_23onesweep_lookback_stateEbbT6_jjT7_P12ihipStream_tbENKUlT_T0_SN_SS_E_clIPjSG_PS9_SI_EEDaS16_S17_SN_SS_EUlS16_E_NS1_11comp_targetILNS1_3genE6ELNS1_11target_archE950ELNS1_3gpuE13ELNS1_3repE0EEENS1_47radix_sort_onesweep_sort_config_static_selectorELNS0_4arch9wavefront6targetE0EEEvSN_.numbered_sgpr, 0
	.set _ZN7rocprim17ROCPRIM_400000_NS6detail17trampoline_kernelINS0_14default_configENS1_35radix_sort_onesweep_config_selectorIjN6thrust23THRUST_200600_302600_NS5tupleIffNS6_9null_typeES8_S8_S8_S8_S8_S8_S8_EEEEZZNS1_29radix_sort_onesweep_iterationIS3_Lb0ENS6_6detail15normal_iteratorINS6_10device_ptrIjEEEESG_NSD_INSE_IS9_EEEESI_jNS0_19identity_decomposerENS1_16block_id_wrapperIjLb1EEEEE10hipError_tT1_PNSt15iterator_traitsISN_E10value_typeET2_T3_PNSO_IST_E10value_typeET4_T5_PSY_SZ_PNS1_23onesweep_lookback_stateEbbT6_jjT7_P12ihipStream_tbENKUlT_T0_SN_SS_E_clIPjSG_PS9_SI_EEDaS16_S17_SN_SS_EUlS16_E_NS1_11comp_targetILNS1_3genE6ELNS1_11target_archE950ELNS1_3gpuE13ELNS1_3repE0EEENS1_47radix_sort_onesweep_sort_config_static_selectorELNS0_4arch9wavefront6targetE0EEEvSN_.num_named_barrier, 0
	.set _ZN7rocprim17ROCPRIM_400000_NS6detail17trampoline_kernelINS0_14default_configENS1_35radix_sort_onesweep_config_selectorIjN6thrust23THRUST_200600_302600_NS5tupleIffNS6_9null_typeES8_S8_S8_S8_S8_S8_S8_EEEEZZNS1_29radix_sort_onesweep_iterationIS3_Lb0ENS6_6detail15normal_iteratorINS6_10device_ptrIjEEEESG_NSD_INSE_IS9_EEEESI_jNS0_19identity_decomposerENS1_16block_id_wrapperIjLb1EEEEE10hipError_tT1_PNSt15iterator_traitsISN_E10value_typeET2_T3_PNSO_IST_E10value_typeET4_T5_PSY_SZ_PNS1_23onesweep_lookback_stateEbbT6_jjT7_P12ihipStream_tbENKUlT_T0_SN_SS_E_clIPjSG_PS9_SI_EEDaS16_S17_SN_SS_EUlS16_E_NS1_11comp_targetILNS1_3genE6ELNS1_11target_archE950ELNS1_3gpuE13ELNS1_3repE0EEENS1_47radix_sort_onesweep_sort_config_static_selectorELNS0_4arch9wavefront6targetE0EEEvSN_.private_seg_size, 0
	.set _ZN7rocprim17ROCPRIM_400000_NS6detail17trampoline_kernelINS0_14default_configENS1_35radix_sort_onesweep_config_selectorIjN6thrust23THRUST_200600_302600_NS5tupleIffNS6_9null_typeES8_S8_S8_S8_S8_S8_S8_EEEEZZNS1_29radix_sort_onesweep_iterationIS3_Lb0ENS6_6detail15normal_iteratorINS6_10device_ptrIjEEEESG_NSD_INSE_IS9_EEEESI_jNS0_19identity_decomposerENS1_16block_id_wrapperIjLb1EEEEE10hipError_tT1_PNSt15iterator_traitsISN_E10value_typeET2_T3_PNSO_IST_E10value_typeET4_T5_PSY_SZ_PNS1_23onesweep_lookback_stateEbbT6_jjT7_P12ihipStream_tbENKUlT_T0_SN_SS_E_clIPjSG_PS9_SI_EEDaS16_S17_SN_SS_EUlS16_E_NS1_11comp_targetILNS1_3genE6ELNS1_11target_archE950ELNS1_3gpuE13ELNS1_3repE0EEENS1_47radix_sort_onesweep_sort_config_static_selectorELNS0_4arch9wavefront6targetE0EEEvSN_.uses_vcc, 0
	.set _ZN7rocprim17ROCPRIM_400000_NS6detail17trampoline_kernelINS0_14default_configENS1_35radix_sort_onesweep_config_selectorIjN6thrust23THRUST_200600_302600_NS5tupleIffNS6_9null_typeES8_S8_S8_S8_S8_S8_S8_EEEEZZNS1_29radix_sort_onesweep_iterationIS3_Lb0ENS6_6detail15normal_iteratorINS6_10device_ptrIjEEEESG_NSD_INSE_IS9_EEEESI_jNS0_19identity_decomposerENS1_16block_id_wrapperIjLb1EEEEE10hipError_tT1_PNSt15iterator_traitsISN_E10value_typeET2_T3_PNSO_IST_E10value_typeET4_T5_PSY_SZ_PNS1_23onesweep_lookback_stateEbbT6_jjT7_P12ihipStream_tbENKUlT_T0_SN_SS_E_clIPjSG_PS9_SI_EEDaS16_S17_SN_SS_EUlS16_E_NS1_11comp_targetILNS1_3genE6ELNS1_11target_archE950ELNS1_3gpuE13ELNS1_3repE0EEENS1_47radix_sort_onesweep_sort_config_static_selectorELNS0_4arch9wavefront6targetE0EEEvSN_.uses_flat_scratch, 0
	.set _ZN7rocprim17ROCPRIM_400000_NS6detail17trampoline_kernelINS0_14default_configENS1_35radix_sort_onesweep_config_selectorIjN6thrust23THRUST_200600_302600_NS5tupleIffNS6_9null_typeES8_S8_S8_S8_S8_S8_S8_EEEEZZNS1_29radix_sort_onesweep_iterationIS3_Lb0ENS6_6detail15normal_iteratorINS6_10device_ptrIjEEEESG_NSD_INSE_IS9_EEEESI_jNS0_19identity_decomposerENS1_16block_id_wrapperIjLb1EEEEE10hipError_tT1_PNSt15iterator_traitsISN_E10value_typeET2_T3_PNSO_IST_E10value_typeET4_T5_PSY_SZ_PNS1_23onesweep_lookback_stateEbbT6_jjT7_P12ihipStream_tbENKUlT_T0_SN_SS_E_clIPjSG_PS9_SI_EEDaS16_S17_SN_SS_EUlS16_E_NS1_11comp_targetILNS1_3genE6ELNS1_11target_archE950ELNS1_3gpuE13ELNS1_3repE0EEENS1_47radix_sort_onesweep_sort_config_static_selectorELNS0_4arch9wavefront6targetE0EEEvSN_.has_dyn_sized_stack, 0
	.set _ZN7rocprim17ROCPRIM_400000_NS6detail17trampoline_kernelINS0_14default_configENS1_35radix_sort_onesweep_config_selectorIjN6thrust23THRUST_200600_302600_NS5tupleIffNS6_9null_typeES8_S8_S8_S8_S8_S8_S8_EEEEZZNS1_29radix_sort_onesweep_iterationIS3_Lb0ENS6_6detail15normal_iteratorINS6_10device_ptrIjEEEESG_NSD_INSE_IS9_EEEESI_jNS0_19identity_decomposerENS1_16block_id_wrapperIjLb1EEEEE10hipError_tT1_PNSt15iterator_traitsISN_E10value_typeET2_T3_PNSO_IST_E10value_typeET4_T5_PSY_SZ_PNS1_23onesweep_lookback_stateEbbT6_jjT7_P12ihipStream_tbENKUlT_T0_SN_SS_E_clIPjSG_PS9_SI_EEDaS16_S17_SN_SS_EUlS16_E_NS1_11comp_targetILNS1_3genE6ELNS1_11target_archE950ELNS1_3gpuE13ELNS1_3repE0EEENS1_47radix_sort_onesweep_sort_config_static_selectorELNS0_4arch9wavefront6targetE0EEEvSN_.has_recursion, 0
	.set _ZN7rocprim17ROCPRIM_400000_NS6detail17trampoline_kernelINS0_14default_configENS1_35radix_sort_onesweep_config_selectorIjN6thrust23THRUST_200600_302600_NS5tupleIffNS6_9null_typeES8_S8_S8_S8_S8_S8_S8_EEEEZZNS1_29radix_sort_onesweep_iterationIS3_Lb0ENS6_6detail15normal_iteratorINS6_10device_ptrIjEEEESG_NSD_INSE_IS9_EEEESI_jNS0_19identity_decomposerENS1_16block_id_wrapperIjLb1EEEEE10hipError_tT1_PNSt15iterator_traitsISN_E10value_typeET2_T3_PNSO_IST_E10value_typeET4_T5_PSY_SZ_PNS1_23onesweep_lookback_stateEbbT6_jjT7_P12ihipStream_tbENKUlT_T0_SN_SS_E_clIPjSG_PS9_SI_EEDaS16_S17_SN_SS_EUlS16_E_NS1_11comp_targetILNS1_3genE6ELNS1_11target_archE950ELNS1_3gpuE13ELNS1_3repE0EEENS1_47radix_sort_onesweep_sort_config_static_selectorELNS0_4arch9wavefront6targetE0EEEvSN_.has_indirect_call, 0
	.section	.AMDGPU.csdata,"",@progbits
; Kernel info:
; codeLenInByte = 0
; TotalNumSgprs: 0
; NumVgprs: 0
; ScratchSize: 0
; MemoryBound: 0
; FloatMode: 240
; IeeeMode: 1
; LDSByteSize: 0 bytes/workgroup (compile time only)
; SGPRBlocks: 0
; VGPRBlocks: 0
; NumSGPRsForWavesPerEU: 1
; NumVGPRsForWavesPerEU: 1
; Occupancy: 16
; WaveLimiterHint : 0
; COMPUTE_PGM_RSRC2:SCRATCH_EN: 0
; COMPUTE_PGM_RSRC2:USER_SGPR: 2
; COMPUTE_PGM_RSRC2:TRAP_HANDLER: 0
; COMPUTE_PGM_RSRC2:TGID_X_EN: 1
; COMPUTE_PGM_RSRC2:TGID_Y_EN: 0
; COMPUTE_PGM_RSRC2:TGID_Z_EN: 0
; COMPUTE_PGM_RSRC2:TIDIG_COMP_CNT: 0
	.section	.text._ZN7rocprim17ROCPRIM_400000_NS6detail17trampoline_kernelINS0_14default_configENS1_35radix_sort_onesweep_config_selectorIjN6thrust23THRUST_200600_302600_NS5tupleIffNS6_9null_typeES8_S8_S8_S8_S8_S8_S8_EEEEZZNS1_29radix_sort_onesweep_iterationIS3_Lb0ENS6_6detail15normal_iteratorINS6_10device_ptrIjEEEESG_NSD_INSE_IS9_EEEESI_jNS0_19identity_decomposerENS1_16block_id_wrapperIjLb1EEEEE10hipError_tT1_PNSt15iterator_traitsISN_E10value_typeET2_T3_PNSO_IST_E10value_typeET4_T5_PSY_SZ_PNS1_23onesweep_lookback_stateEbbT6_jjT7_P12ihipStream_tbENKUlT_T0_SN_SS_E_clIPjSG_PS9_SI_EEDaS16_S17_SN_SS_EUlS16_E_NS1_11comp_targetILNS1_3genE5ELNS1_11target_archE942ELNS1_3gpuE9ELNS1_3repE0EEENS1_47radix_sort_onesweep_sort_config_static_selectorELNS0_4arch9wavefront6targetE0EEEvSN_,"axG",@progbits,_ZN7rocprim17ROCPRIM_400000_NS6detail17trampoline_kernelINS0_14default_configENS1_35radix_sort_onesweep_config_selectorIjN6thrust23THRUST_200600_302600_NS5tupleIffNS6_9null_typeES8_S8_S8_S8_S8_S8_S8_EEEEZZNS1_29radix_sort_onesweep_iterationIS3_Lb0ENS6_6detail15normal_iteratorINS6_10device_ptrIjEEEESG_NSD_INSE_IS9_EEEESI_jNS0_19identity_decomposerENS1_16block_id_wrapperIjLb1EEEEE10hipError_tT1_PNSt15iterator_traitsISN_E10value_typeET2_T3_PNSO_IST_E10value_typeET4_T5_PSY_SZ_PNS1_23onesweep_lookback_stateEbbT6_jjT7_P12ihipStream_tbENKUlT_T0_SN_SS_E_clIPjSG_PS9_SI_EEDaS16_S17_SN_SS_EUlS16_E_NS1_11comp_targetILNS1_3genE5ELNS1_11target_archE942ELNS1_3gpuE9ELNS1_3repE0EEENS1_47radix_sort_onesweep_sort_config_static_selectorELNS0_4arch9wavefront6targetE0EEEvSN_,comdat
	.protected	_ZN7rocprim17ROCPRIM_400000_NS6detail17trampoline_kernelINS0_14default_configENS1_35radix_sort_onesweep_config_selectorIjN6thrust23THRUST_200600_302600_NS5tupleIffNS6_9null_typeES8_S8_S8_S8_S8_S8_S8_EEEEZZNS1_29radix_sort_onesweep_iterationIS3_Lb0ENS6_6detail15normal_iteratorINS6_10device_ptrIjEEEESG_NSD_INSE_IS9_EEEESI_jNS0_19identity_decomposerENS1_16block_id_wrapperIjLb1EEEEE10hipError_tT1_PNSt15iterator_traitsISN_E10value_typeET2_T3_PNSO_IST_E10value_typeET4_T5_PSY_SZ_PNS1_23onesweep_lookback_stateEbbT6_jjT7_P12ihipStream_tbENKUlT_T0_SN_SS_E_clIPjSG_PS9_SI_EEDaS16_S17_SN_SS_EUlS16_E_NS1_11comp_targetILNS1_3genE5ELNS1_11target_archE942ELNS1_3gpuE9ELNS1_3repE0EEENS1_47radix_sort_onesweep_sort_config_static_selectorELNS0_4arch9wavefront6targetE0EEEvSN_ ; -- Begin function _ZN7rocprim17ROCPRIM_400000_NS6detail17trampoline_kernelINS0_14default_configENS1_35radix_sort_onesweep_config_selectorIjN6thrust23THRUST_200600_302600_NS5tupleIffNS6_9null_typeES8_S8_S8_S8_S8_S8_S8_EEEEZZNS1_29radix_sort_onesweep_iterationIS3_Lb0ENS6_6detail15normal_iteratorINS6_10device_ptrIjEEEESG_NSD_INSE_IS9_EEEESI_jNS0_19identity_decomposerENS1_16block_id_wrapperIjLb1EEEEE10hipError_tT1_PNSt15iterator_traitsISN_E10value_typeET2_T3_PNSO_IST_E10value_typeET4_T5_PSY_SZ_PNS1_23onesweep_lookback_stateEbbT6_jjT7_P12ihipStream_tbENKUlT_T0_SN_SS_E_clIPjSG_PS9_SI_EEDaS16_S17_SN_SS_EUlS16_E_NS1_11comp_targetILNS1_3genE5ELNS1_11target_archE942ELNS1_3gpuE9ELNS1_3repE0EEENS1_47radix_sort_onesweep_sort_config_static_selectorELNS0_4arch9wavefront6targetE0EEEvSN_
	.globl	_ZN7rocprim17ROCPRIM_400000_NS6detail17trampoline_kernelINS0_14default_configENS1_35radix_sort_onesweep_config_selectorIjN6thrust23THRUST_200600_302600_NS5tupleIffNS6_9null_typeES8_S8_S8_S8_S8_S8_S8_EEEEZZNS1_29radix_sort_onesweep_iterationIS3_Lb0ENS6_6detail15normal_iteratorINS6_10device_ptrIjEEEESG_NSD_INSE_IS9_EEEESI_jNS0_19identity_decomposerENS1_16block_id_wrapperIjLb1EEEEE10hipError_tT1_PNSt15iterator_traitsISN_E10value_typeET2_T3_PNSO_IST_E10value_typeET4_T5_PSY_SZ_PNS1_23onesweep_lookback_stateEbbT6_jjT7_P12ihipStream_tbENKUlT_T0_SN_SS_E_clIPjSG_PS9_SI_EEDaS16_S17_SN_SS_EUlS16_E_NS1_11comp_targetILNS1_3genE5ELNS1_11target_archE942ELNS1_3gpuE9ELNS1_3repE0EEENS1_47radix_sort_onesweep_sort_config_static_selectorELNS0_4arch9wavefront6targetE0EEEvSN_
	.p2align	8
	.type	_ZN7rocprim17ROCPRIM_400000_NS6detail17trampoline_kernelINS0_14default_configENS1_35radix_sort_onesweep_config_selectorIjN6thrust23THRUST_200600_302600_NS5tupleIffNS6_9null_typeES8_S8_S8_S8_S8_S8_S8_EEEEZZNS1_29radix_sort_onesweep_iterationIS3_Lb0ENS6_6detail15normal_iteratorINS6_10device_ptrIjEEEESG_NSD_INSE_IS9_EEEESI_jNS0_19identity_decomposerENS1_16block_id_wrapperIjLb1EEEEE10hipError_tT1_PNSt15iterator_traitsISN_E10value_typeET2_T3_PNSO_IST_E10value_typeET4_T5_PSY_SZ_PNS1_23onesweep_lookback_stateEbbT6_jjT7_P12ihipStream_tbENKUlT_T0_SN_SS_E_clIPjSG_PS9_SI_EEDaS16_S17_SN_SS_EUlS16_E_NS1_11comp_targetILNS1_3genE5ELNS1_11target_archE942ELNS1_3gpuE9ELNS1_3repE0EEENS1_47radix_sort_onesweep_sort_config_static_selectorELNS0_4arch9wavefront6targetE0EEEvSN_,@function
_ZN7rocprim17ROCPRIM_400000_NS6detail17trampoline_kernelINS0_14default_configENS1_35radix_sort_onesweep_config_selectorIjN6thrust23THRUST_200600_302600_NS5tupleIffNS6_9null_typeES8_S8_S8_S8_S8_S8_S8_EEEEZZNS1_29radix_sort_onesweep_iterationIS3_Lb0ENS6_6detail15normal_iteratorINS6_10device_ptrIjEEEESG_NSD_INSE_IS9_EEEESI_jNS0_19identity_decomposerENS1_16block_id_wrapperIjLb1EEEEE10hipError_tT1_PNSt15iterator_traitsISN_E10value_typeET2_T3_PNSO_IST_E10value_typeET4_T5_PSY_SZ_PNS1_23onesweep_lookback_stateEbbT6_jjT7_P12ihipStream_tbENKUlT_T0_SN_SS_E_clIPjSG_PS9_SI_EEDaS16_S17_SN_SS_EUlS16_E_NS1_11comp_targetILNS1_3genE5ELNS1_11target_archE942ELNS1_3gpuE9ELNS1_3repE0EEENS1_47radix_sort_onesweep_sort_config_static_selectorELNS0_4arch9wavefront6targetE0EEEvSN_: ; @_ZN7rocprim17ROCPRIM_400000_NS6detail17trampoline_kernelINS0_14default_configENS1_35radix_sort_onesweep_config_selectorIjN6thrust23THRUST_200600_302600_NS5tupleIffNS6_9null_typeES8_S8_S8_S8_S8_S8_S8_EEEEZZNS1_29radix_sort_onesweep_iterationIS3_Lb0ENS6_6detail15normal_iteratorINS6_10device_ptrIjEEEESG_NSD_INSE_IS9_EEEESI_jNS0_19identity_decomposerENS1_16block_id_wrapperIjLb1EEEEE10hipError_tT1_PNSt15iterator_traitsISN_E10value_typeET2_T3_PNSO_IST_E10value_typeET4_T5_PSY_SZ_PNS1_23onesweep_lookback_stateEbbT6_jjT7_P12ihipStream_tbENKUlT_T0_SN_SS_E_clIPjSG_PS9_SI_EEDaS16_S17_SN_SS_EUlS16_E_NS1_11comp_targetILNS1_3genE5ELNS1_11target_archE942ELNS1_3gpuE9ELNS1_3repE0EEENS1_47radix_sort_onesweep_sort_config_static_selectorELNS0_4arch9wavefront6targetE0EEEvSN_
; %bb.0:
	.section	.rodata,"a",@progbits
	.p2align	6, 0x0
	.amdhsa_kernel _ZN7rocprim17ROCPRIM_400000_NS6detail17trampoline_kernelINS0_14default_configENS1_35radix_sort_onesweep_config_selectorIjN6thrust23THRUST_200600_302600_NS5tupleIffNS6_9null_typeES8_S8_S8_S8_S8_S8_S8_EEEEZZNS1_29radix_sort_onesweep_iterationIS3_Lb0ENS6_6detail15normal_iteratorINS6_10device_ptrIjEEEESG_NSD_INSE_IS9_EEEESI_jNS0_19identity_decomposerENS1_16block_id_wrapperIjLb1EEEEE10hipError_tT1_PNSt15iterator_traitsISN_E10value_typeET2_T3_PNSO_IST_E10value_typeET4_T5_PSY_SZ_PNS1_23onesweep_lookback_stateEbbT6_jjT7_P12ihipStream_tbENKUlT_T0_SN_SS_E_clIPjSG_PS9_SI_EEDaS16_S17_SN_SS_EUlS16_E_NS1_11comp_targetILNS1_3genE5ELNS1_11target_archE942ELNS1_3gpuE9ELNS1_3repE0EEENS1_47radix_sort_onesweep_sort_config_static_selectorELNS0_4arch9wavefront6targetE0EEEvSN_
		.amdhsa_group_segment_fixed_size 0
		.amdhsa_private_segment_fixed_size 0
		.amdhsa_kernarg_size 88
		.amdhsa_user_sgpr_count 2
		.amdhsa_user_sgpr_dispatch_ptr 0
		.amdhsa_user_sgpr_queue_ptr 0
		.amdhsa_user_sgpr_kernarg_segment_ptr 1
		.amdhsa_user_sgpr_dispatch_id 0
		.amdhsa_user_sgpr_private_segment_size 0
		.amdhsa_wavefront_size32 1
		.amdhsa_uses_dynamic_stack 0
		.amdhsa_enable_private_segment 0
		.amdhsa_system_sgpr_workgroup_id_x 1
		.amdhsa_system_sgpr_workgroup_id_y 0
		.amdhsa_system_sgpr_workgroup_id_z 0
		.amdhsa_system_sgpr_workgroup_info 0
		.amdhsa_system_vgpr_workitem_id 0
		.amdhsa_next_free_vgpr 1
		.amdhsa_next_free_sgpr 1
		.amdhsa_reserve_vcc 0
		.amdhsa_float_round_mode_32 0
		.amdhsa_float_round_mode_16_64 0
		.amdhsa_float_denorm_mode_32 3
		.amdhsa_float_denorm_mode_16_64 3
		.amdhsa_fp16_overflow 0
		.amdhsa_workgroup_processor_mode 1
		.amdhsa_memory_ordered 1
		.amdhsa_forward_progress 1
		.amdhsa_inst_pref_size 0
		.amdhsa_round_robin_scheduling 0
		.amdhsa_exception_fp_ieee_invalid_op 0
		.amdhsa_exception_fp_denorm_src 0
		.amdhsa_exception_fp_ieee_div_zero 0
		.amdhsa_exception_fp_ieee_overflow 0
		.amdhsa_exception_fp_ieee_underflow 0
		.amdhsa_exception_fp_ieee_inexact 0
		.amdhsa_exception_int_div_zero 0
	.end_amdhsa_kernel
	.section	.text._ZN7rocprim17ROCPRIM_400000_NS6detail17trampoline_kernelINS0_14default_configENS1_35radix_sort_onesweep_config_selectorIjN6thrust23THRUST_200600_302600_NS5tupleIffNS6_9null_typeES8_S8_S8_S8_S8_S8_S8_EEEEZZNS1_29radix_sort_onesweep_iterationIS3_Lb0ENS6_6detail15normal_iteratorINS6_10device_ptrIjEEEESG_NSD_INSE_IS9_EEEESI_jNS0_19identity_decomposerENS1_16block_id_wrapperIjLb1EEEEE10hipError_tT1_PNSt15iterator_traitsISN_E10value_typeET2_T3_PNSO_IST_E10value_typeET4_T5_PSY_SZ_PNS1_23onesweep_lookback_stateEbbT6_jjT7_P12ihipStream_tbENKUlT_T0_SN_SS_E_clIPjSG_PS9_SI_EEDaS16_S17_SN_SS_EUlS16_E_NS1_11comp_targetILNS1_3genE5ELNS1_11target_archE942ELNS1_3gpuE9ELNS1_3repE0EEENS1_47radix_sort_onesweep_sort_config_static_selectorELNS0_4arch9wavefront6targetE0EEEvSN_,"axG",@progbits,_ZN7rocprim17ROCPRIM_400000_NS6detail17trampoline_kernelINS0_14default_configENS1_35radix_sort_onesweep_config_selectorIjN6thrust23THRUST_200600_302600_NS5tupleIffNS6_9null_typeES8_S8_S8_S8_S8_S8_S8_EEEEZZNS1_29radix_sort_onesweep_iterationIS3_Lb0ENS6_6detail15normal_iteratorINS6_10device_ptrIjEEEESG_NSD_INSE_IS9_EEEESI_jNS0_19identity_decomposerENS1_16block_id_wrapperIjLb1EEEEE10hipError_tT1_PNSt15iterator_traitsISN_E10value_typeET2_T3_PNSO_IST_E10value_typeET4_T5_PSY_SZ_PNS1_23onesweep_lookback_stateEbbT6_jjT7_P12ihipStream_tbENKUlT_T0_SN_SS_E_clIPjSG_PS9_SI_EEDaS16_S17_SN_SS_EUlS16_E_NS1_11comp_targetILNS1_3genE5ELNS1_11target_archE942ELNS1_3gpuE9ELNS1_3repE0EEENS1_47radix_sort_onesweep_sort_config_static_selectorELNS0_4arch9wavefront6targetE0EEEvSN_,comdat
.Lfunc_end195:
	.size	_ZN7rocprim17ROCPRIM_400000_NS6detail17trampoline_kernelINS0_14default_configENS1_35radix_sort_onesweep_config_selectorIjN6thrust23THRUST_200600_302600_NS5tupleIffNS6_9null_typeES8_S8_S8_S8_S8_S8_S8_EEEEZZNS1_29radix_sort_onesweep_iterationIS3_Lb0ENS6_6detail15normal_iteratorINS6_10device_ptrIjEEEESG_NSD_INSE_IS9_EEEESI_jNS0_19identity_decomposerENS1_16block_id_wrapperIjLb1EEEEE10hipError_tT1_PNSt15iterator_traitsISN_E10value_typeET2_T3_PNSO_IST_E10value_typeET4_T5_PSY_SZ_PNS1_23onesweep_lookback_stateEbbT6_jjT7_P12ihipStream_tbENKUlT_T0_SN_SS_E_clIPjSG_PS9_SI_EEDaS16_S17_SN_SS_EUlS16_E_NS1_11comp_targetILNS1_3genE5ELNS1_11target_archE942ELNS1_3gpuE9ELNS1_3repE0EEENS1_47radix_sort_onesweep_sort_config_static_selectorELNS0_4arch9wavefront6targetE0EEEvSN_, .Lfunc_end195-_ZN7rocprim17ROCPRIM_400000_NS6detail17trampoline_kernelINS0_14default_configENS1_35radix_sort_onesweep_config_selectorIjN6thrust23THRUST_200600_302600_NS5tupleIffNS6_9null_typeES8_S8_S8_S8_S8_S8_S8_EEEEZZNS1_29radix_sort_onesweep_iterationIS3_Lb0ENS6_6detail15normal_iteratorINS6_10device_ptrIjEEEESG_NSD_INSE_IS9_EEEESI_jNS0_19identity_decomposerENS1_16block_id_wrapperIjLb1EEEEE10hipError_tT1_PNSt15iterator_traitsISN_E10value_typeET2_T3_PNSO_IST_E10value_typeET4_T5_PSY_SZ_PNS1_23onesweep_lookback_stateEbbT6_jjT7_P12ihipStream_tbENKUlT_T0_SN_SS_E_clIPjSG_PS9_SI_EEDaS16_S17_SN_SS_EUlS16_E_NS1_11comp_targetILNS1_3genE5ELNS1_11target_archE942ELNS1_3gpuE9ELNS1_3repE0EEENS1_47radix_sort_onesweep_sort_config_static_selectorELNS0_4arch9wavefront6targetE0EEEvSN_
                                        ; -- End function
	.set _ZN7rocprim17ROCPRIM_400000_NS6detail17trampoline_kernelINS0_14default_configENS1_35radix_sort_onesweep_config_selectorIjN6thrust23THRUST_200600_302600_NS5tupleIffNS6_9null_typeES8_S8_S8_S8_S8_S8_S8_EEEEZZNS1_29radix_sort_onesweep_iterationIS3_Lb0ENS6_6detail15normal_iteratorINS6_10device_ptrIjEEEESG_NSD_INSE_IS9_EEEESI_jNS0_19identity_decomposerENS1_16block_id_wrapperIjLb1EEEEE10hipError_tT1_PNSt15iterator_traitsISN_E10value_typeET2_T3_PNSO_IST_E10value_typeET4_T5_PSY_SZ_PNS1_23onesweep_lookback_stateEbbT6_jjT7_P12ihipStream_tbENKUlT_T0_SN_SS_E_clIPjSG_PS9_SI_EEDaS16_S17_SN_SS_EUlS16_E_NS1_11comp_targetILNS1_3genE5ELNS1_11target_archE942ELNS1_3gpuE9ELNS1_3repE0EEENS1_47radix_sort_onesweep_sort_config_static_selectorELNS0_4arch9wavefront6targetE0EEEvSN_.num_vgpr, 0
	.set _ZN7rocprim17ROCPRIM_400000_NS6detail17trampoline_kernelINS0_14default_configENS1_35radix_sort_onesweep_config_selectorIjN6thrust23THRUST_200600_302600_NS5tupleIffNS6_9null_typeES8_S8_S8_S8_S8_S8_S8_EEEEZZNS1_29radix_sort_onesweep_iterationIS3_Lb0ENS6_6detail15normal_iteratorINS6_10device_ptrIjEEEESG_NSD_INSE_IS9_EEEESI_jNS0_19identity_decomposerENS1_16block_id_wrapperIjLb1EEEEE10hipError_tT1_PNSt15iterator_traitsISN_E10value_typeET2_T3_PNSO_IST_E10value_typeET4_T5_PSY_SZ_PNS1_23onesweep_lookback_stateEbbT6_jjT7_P12ihipStream_tbENKUlT_T0_SN_SS_E_clIPjSG_PS9_SI_EEDaS16_S17_SN_SS_EUlS16_E_NS1_11comp_targetILNS1_3genE5ELNS1_11target_archE942ELNS1_3gpuE9ELNS1_3repE0EEENS1_47radix_sort_onesweep_sort_config_static_selectorELNS0_4arch9wavefront6targetE0EEEvSN_.num_agpr, 0
	.set _ZN7rocprim17ROCPRIM_400000_NS6detail17trampoline_kernelINS0_14default_configENS1_35radix_sort_onesweep_config_selectorIjN6thrust23THRUST_200600_302600_NS5tupleIffNS6_9null_typeES8_S8_S8_S8_S8_S8_S8_EEEEZZNS1_29radix_sort_onesweep_iterationIS3_Lb0ENS6_6detail15normal_iteratorINS6_10device_ptrIjEEEESG_NSD_INSE_IS9_EEEESI_jNS0_19identity_decomposerENS1_16block_id_wrapperIjLb1EEEEE10hipError_tT1_PNSt15iterator_traitsISN_E10value_typeET2_T3_PNSO_IST_E10value_typeET4_T5_PSY_SZ_PNS1_23onesweep_lookback_stateEbbT6_jjT7_P12ihipStream_tbENKUlT_T0_SN_SS_E_clIPjSG_PS9_SI_EEDaS16_S17_SN_SS_EUlS16_E_NS1_11comp_targetILNS1_3genE5ELNS1_11target_archE942ELNS1_3gpuE9ELNS1_3repE0EEENS1_47radix_sort_onesweep_sort_config_static_selectorELNS0_4arch9wavefront6targetE0EEEvSN_.numbered_sgpr, 0
	.set _ZN7rocprim17ROCPRIM_400000_NS6detail17trampoline_kernelINS0_14default_configENS1_35radix_sort_onesweep_config_selectorIjN6thrust23THRUST_200600_302600_NS5tupleIffNS6_9null_typeES8_S8_S8_S8_S8_S8_S8_EEEEZZNS1_29radix_sort_onesweep_iterationIS3_Lb0ENS6_6detail15normal_iteratorINS6_10device_ptrIjEEEESG_NSD_INSE_IS9_EEEESI_jNS0_19identity_decomposerENS1_16block_id_wrapperIjLb1EEEEE10hipError_tT1_PNSt15iterator_traitsISN_E10value_typeET2_T3_PNSO_IST_E10value_typeET4_T5_PSY_SZ_PNS1_23onesweep_lookback_stateEbbT6_jjT7_P12ihipStream_tbENKUlT_T0_SN_SS_E_clIPjSG_PS9_SI_EEDaS16_S17_SN_SS_EUlS16_E_NS1_11comp_targetILNS1_3genE5ELNS1_11target_archE942ELNS1_3gpuE9ELNS1_3repE0EEENS1_47radix_sort_onesweep_sort_config_static_selectorELNS0_4arch9wavefront6targetE0EEEvSN_.num_named_barrier, 0
	.set _ZN7rocprim17ROCPRIM_400000_NS6detail17trampoline_kernelINS0_14default_configENS1_35radix_sort_onesweep_config_selectorIjN6thrust23THRUST_200600_302600_NS5tupleIffNS6_9null_typeES8_S8_S8_S8_S8_S8_S8_EEEEZZNS1_29radix_sort_onesweep_iterationIS3_Lb0ENS6_6detail15normal_iteratorINS6_10device_ptrIjEEEESG_NSD_INSE_IS9_EEEESI_jNS0_19identity_decomposerENS1_16block_id_wrapperIjLb1EEEEE10hipError_tT1_PNSt15iterator_traitsISN_E10value_typeET2_T3_PNSO_IST_E10value_typeET4_T5_PSY_SZ_PNS1_23onesweep_lookback_stateEbbT6_jjT7_P12ihipStream_tbENKUlT_T0_SN_SS_E_clIPjSG_PS9_SI_EEDaS16_S17_SN_SS_EUlS16_E_NS1_11comp_targetILNS1_3genE5ELNS1_11target_archE942ELNS1_3gpuE9ELNS1_3repE0EEENS1_47radix_sort_onesweep_sort_config_static_selectorELNS0_4arch9wavefront6targetE0EEEvSN_.private_seg_size, 0
	.set _ZN7rocprim17ROCPRIM_400000_NS6detail17trampoline_kernelINS0_14default_configENS1_35radix_sort_onesweep_config_selectorIjN6thrust23THRUST_200600_302600_NS5tupleIffNS6_9null_typeES8_S8_S8_S8_S8_S8_S8_EEEEZZNS1_29radix_sort_onesweep_iterationIS3_Lb0ENS6_6detail15normal_iteratorINS6_10device_ptrIjEEEESG_NSD_INSE_IS9_EEEESI_jNS0_19identity_decomposerENS1_16block_id_wrapperIjLb1EEEEE10hipError_tT1_PNSt15iterator_traitsISN_E10value_typeET2_T3_PNSO_IST_E10value_typeET4_T5_PSY_SZ_PNS1_23onesweep_lookback_stateEbbT6_jjT7_P12ihipStream_tbENKUlT_T0_SN_SS_E_clIPjSG_PS9_SI_EEDaS16_S17_SN_SS_EUlS16_E_NS1_11comp_targetILNS1_3genE5ELNS1_11target_archE942ELNS1_3gpuE9ELNS1_3repE0EEENS1_47radix_sort_onesweep_sort_config_static_selectorELNS0_4arch9wavefront6targetE0EEEvSN_.uses_vcc, 0
	.set _ZN7rocprim17ROCPRIM_400000_NS6detail17trampoline_kernelINS0_14default_configENS1_35radix_sort_onesweep_config_selectorIjN6thrust23THRUST_200600_302600_NS5tupleIffNS6_9null_typeES8_S8_S8_S8_S8_S8_S8_EEEEZZNS1_29radix_sort_onesweep_iterationIS3_Lb0ENS6_6detail15normal_iteratorINS6_10device_ptrIjEEEESG_NSD_INSE_IS9_EEEESI_jNS0_19identity_decomposerENS1_16block_id_wrapperIjLb1EEEEE10hipError_tT1_PNSt15iterator_traitsISN_E10value_typeET2_T3_PNSO_IST_E10value_typeET4_T5_PSY_SZ_PNS1_23onesweep_lookback_stateEbbT6_jjT7_P12ihipStream_tbENKUlT_T0_SN_SS_E_clIPjSG_PS9_SI_EEDaS16_S17_SN_SS_EUlS16_E_NS1_11comp_targetILNS1_3genE5ELNS1_11target_archE942ELNS1_3gpuE9ELNS1_3repE0EEENS1_47radix_sort_onesweep_sort_config_static_selectorELNS0_4arch9wavefront6targetE0EEEvSN_.uses_flat_scratch, 0
	.set _ZN7rocprim17ROCPRIM_400000_NS6detail17trampoline_kernelINS0_14default_configENS1_35radix_sort_onesweep_config_selectorIjN6thrust23THRUST_200600_302600_NS5tupleIffNS6_9null_typeES8_S8_S8_S8_S8_S8_S8_EEEEZZNS1_29radix_sort_onesweep_iterationIS3_Lb0ENS6_6detail15normal_iteratorINS6_10device_ptrIjEEEESG_NSD_INSE_IS9_EEEESI_jNS0_19identity_decomposerENS1_16block_id_wrapperIjLb1EEEEE10hipError_tT1_PNSt15iterator_traitsISN_E10value_typeET2_T3_PNSO_IST_E10value_typeET4_T5_PSY_SZ_PNS1_23onesweep_lookback_stateEbbT6_jjT7_P12ihipStream_tbENKUlT_T0_SN_SS_E_clIPjSG_PS9_SI_EEDaS16_S17_SN_SS_EUlS16_E_NS1_11comp_targetILNS1_3genE5ELNS1_11target_archE942ELNS1_3gpuE9ELNS1_3repE0EEENS1_47radix_sort_onesweep_sort_config_static_selectorELNS0_4arch9wavefront6targetE0EEEvSN_.has_dyn_sized_stack, 0
	.set _ZN7rocprim17ROCPRIM_400000_NS6detail17trampoline_kernelINS0_14default_configENS1_35radix_sort_onesweep_config_selectorIjN6thrust23THRUST_200600_302600_NS5tupleIffNS6_9null_typeES8_S8_S8_S8_S8_S8_S8_EEEEZZNS1_29radix_sort_onesweep_iterationIS3_Lb0ENS6_6detail15normal_iteratorINS6_10device_ptrIjEEEESG_NSD_INSE_IS9_EEEESI_jNS0_19identity_decomposerENS1_16block_id_wrapperIjLb1EEEEE10hipError_tT1_PNSt15iterator_traitsISN_E10value_typeET2_T3_PNSO_IST_E10value_typeET4_T5_PSY_SZ_PNS1_23onesweep_lookback_stateEbbT6_jjT7_P12ihipStream_tbENKUlT_T0_SN_SS_E_clIPjSG_PS9_SI_EEDaS16_S17_SN_SS_EUlS16_E_NS1_11comp_targetILNS1_3genE5ELNS1_11target_archE942ELNS1_3gpuE9ELNS1_3repE0EEENS1_47radix_sort_onesweep_sort_config_static_selectorELNS0_4arch9wavefront6targetE0EEEvSN_.has_recursion, 0
	.set _ZN7rocprim17ROCPRIM_400000_NS6detail17trampoline_kernelINS0_14default_configENS1_35radix_sort_onesweep_config_selectorIjN6thrust23THRUST_200600_302600_NS5tupleIffNS6_9null_typeES8_S8_S8_S8_S8_S8_S8_EEEEZZNS1_29radix_sort_onesweep_iterationIS3_Lb0ENS6_6detail15normal_iteratorINS6_10device_ptrIjEEEESG_NSD_INSE_IS9_EEEESI_jNS0_19identity_decomposerENS1_16block_id_wrapperIjLb1EEEEE10hipError_tT1_PNSt15iterator_traitsISN_E10value_typeET2_T3_PNSO_IST_E10value_typeET4_T5_PSY_SZ_PNS1_23onesweep_lookback_stateEbbT6_jjT7_P12ihipStream_tbENKUlT_T0_SN_SS_E_clIPjSG_PS9_SI_EEDaS16_S17_SN_SS_EUlS16_E_NS1_11comp_targetILNS1_3genE5ELNS1_11target_archE942ELNS1_3gpuE9ELNS1_3repE0EEENS1_47radix_sort_onesweep_sort_config_static_selectorELNS0_4arch9wavefront6targetE0EEEvSN_.has_indirect_call, 0
	.section	.AMDGPU.csdata,"",@progbits
; Kernel info:
; codeLenInByte = 0
; TotalNumSgprs: 0
; NumVgprs: 0
; ScratchSize: 0
; MemoryBound: 0
; FloatMode: 240
; IeeeMode: 1
; LDSByteSize: 0 bytes/workgroup (compile time only)
; SGPRBlocks: 0
; VGPRBlocks: 0
; NumSGPRsForWavesPerEU: 1
; NumVGPRsForWavesPerEU: 1
; Occupancy: 16
; WaveLimiterHint : 0
; COMPUTE_PGM_RSRC2:SCRATCH_EN: 0
; COMPUTE_PGM_RSRC2:USER_SGPR: 2
; COMPUTE_PGM_RSRC2:TRAP_HANDLER: 0
; COMPUTE_PGM_RSRC2:TGID_X_EN: 1
; COMPUTE_PGM_RSRC2:TGID_Y_EN: 0
; COMPUTE_PGM_RSRC2:TGID_Z_EN: 0
; COMPUTE_PGM_RSRC2:TIDIG_COMP_CNT: 0
	.section	.text._ZN7rocprim17ROCPRIM_400000_NS6detail17trampoline_kernelINS0_14default_configENS1_35radix_sort_onesweep_config_selectorIjN6thrust23THRUST_200600_302600_NS5tupleIffNS6_9null_typeES8_S8_S8_S8_S8_S8_S8_EEEEZZNS1_29radix_sort_onesweep_iterationIS3_Lb0ENS6_6detail15normal_iteratorINS6_10device_ptrIjEEEESG_NSD_INSE_IS9_EEEESI_jNS0_19identity_decomposerENS1_16block_id_wrapperIjLb1EEEEE10hipError_tT1_PNSt15iterator_traitsISN_E10value_typeET2_T3_PNSO_IST_E10value_typeET4_T5_PSY_SZ_PNS1_23onesweep_lookback_stateEbbT6_jjT7_P12ihipStream_tbENKUlT_T0_SN_SS_E_clIPjSG_PS9_SI_EEDaS16_S17_SN_SS_EUlS16_E_NS1_11comp_targetILNS1_3genE2ELNS1_11target_archE906ELNS1_3gpuE6ELNS1_3repE0EEENS1_47radix_sort_onesweep_sort_config_static_selectorELNS0_4arch9wavefront6targetE0EEEvSN_,"axG",@progbits,_ZN7rocprim17ROCPRIM_400000_NS6detail17trampoline_kernelINS0_14default_configENS1_35radix_sort_onesweep_config_selectorIjN6thrust23THRUST_200600_302600_NS5tupleIffNS6_9null_typeES8_S8_S8_S8_S8_S8_S8_EEEEZZNS1_29radix_sort_onesweep_iterationIS3_Lb0ENS6_6detail15normal_iteratorINS6_10device_ptrIjEEEESG_NSD_INSE_IS9_EEEESI_jNS0_19identity_decomposerENS1_16block_id_wrapperIjLb1EEEEE10hipError_tT1_PNSt15iterator_traitsISN_E10value_typeET2_T3_PNSO_IST_E10value_typeET4_T5_PSY_SZ_PNS1_23onesweep_lookback_stateEbbT6_jjT7_P12ihipStream_tbENKUlT_T0_SN_SS_E_clIPjSG_PS9_SI_EEDaS16_S17_SN_SS_EUlS16_E_NS1_11comp_targetILNS1_3genE2ELNS1_11target_archE906ELNS1_3gpuE6ELNS1_3repE0EEENS1_47radix_sort_onesweep_sort_config_static_selectorELNS0_4arch9wavefront6targetE0EEEvSN_,comdat
	.protected	_ZN7rocprim17ROCPRIM_400000_NS6detail17trampoline_kernelINS0_14default_configENS1_35radix_sort_onesweep_config_selectorIjN6thrust23THRUST_200600_302600_NS5tupleIffNS6_9null_typeES8_S8_S8_S8_S8_S8_S8_EEEEZZNS1_29radix_sort_onesweep_iterationIS3_Lb0ENS6_6detail15normal_iteratorINS6_10device_ptrIjEEEESG_NSD_INSE_IS9_EEEESI_jNS0_19identity_decomposerENS1_16block_id_wrapperIjLb1EEEEE10hipError_tT1_PNSt15iterator_traitsISN_E10value_typeET2_T3_PNSO_IST_E10value_typeET4_T5_PSY_SZ_PNS1_23onesweep_lookback_stateEbbT6_jjT7_P12ihipStream_tbENKUlT_T0_SN_SS_E_clIPjSG_PS9_SI_EEDaS16_S17_SN_SS_EUlS16_E_NS1_11comp_targetILNS1_3genE2ELNS1_11target_archE906ELNS1_3gpuE6ELNS1_3repE0EEENS1_47radix_sort_onesweep_sort_config_static_selectorELNS0_4arch9wavefront6targetE0EEEvSN_ ; -- Begin function _ZN7rocprim17ROCPRIM_400000_NS6detail17trampoline_kernelINS0_14default_configENS1_35radix_sort_onesweep_config_selectorIjN6thrust23THRUST_200600_302600_NS5tupleIffNS6_9null_typeES8_S8_S8_S8_S8_S8_S8_EEEEZZNS1_29radix_sort_onesweep_iterationIS3_Lb0ENS6_6detail15normal_iteratorINS6_10device_ptrIjEEEESG_NSD_INSE_IS9_EEEESI_jNS0_19identity_decomposerENS1_16block_id_wrapperIjLb1EEEEE10hipError_tT1_PNSt15iterator_traitsISN_E10value_typeET2_T3_PNSO_IST_E10value_typeET4_T5_PSY_SZ_PNS1_23onesweep_lookback_stateEbbT6_jjT7_P12ihipStream_tbENKUlT_T0_SN_SS_E_clIPjSG_PS9_SI_EEDaS16_S17_SN_SS_EUlS16_E_NS1_11comp_targetILNS1_3genE2ELNS1_11target_archE906ELNS1_3gpuE6ELNS1_3repE0EEENS1_47radix_sort_onesweep_sort_config_static_selectorELNS0_4arch9wavefront6targetE0EEEvSN_
	.globl	_ZN7rocprim17ROCPRIM_400000_NS6detail17trampoline_kernelINS0_14default_configENS1_35radix_sort_onesweep_config_selectorIjN6thrust23THRUST_200600_302600_NS5tupleIffNS6_9null_typeES8_S8_S8_S8_S8_S8_S8_EEEEZZNS1_29radix_sort_onesweep_iterationIS3_Lb0ENS6_6detail15normal_iteratorINS6_10device_ptrIjEEEESG_NSD_INSE_IS9_EEEESI_jNS0_19identity_decomposerENS1_16block_id_wrapperIjLb1EEEEE10hipError_tT1_PNSt15iterator_traitsISN_E10value_typeET2_T3_PNSO_IST_E10value_typeET4_T5_PSY_SZ_PNS1_23onesweep_lookback_stateEbbT6_jjT7_P12ihipStream_tbENKUlT_T0_SN_SS_E_clIPjSG_PS9_SI_EEDaS16_S17_SN_SS_EUlS16_E_NS1_11comp_targetILNS1_3genE2ELNS1_11target_archE906ELNS1_3gpuE6ELNS1_3repE0EEENS1_47radix_sort_onesweep_sort_config_static_selectorELNS0_4arch9wavefront6targetE0EEEvSN_
	.p2align	8
	.type	_ZN7rocprim17ROCPRIM_400000_NS6detail17trampoline_kernelINS0_14default_configENS1_35radix_sort_onesweep_config_selectorIjN6thrust23THRUST_200600_302600_NS5tupleIffNS6_9null_typeES8_S8_S8_S8_S8_S8_S8_EEEEZZNS1_29radix_sort_onesweep_iterationIS3_Lb0ENS6_6detail15normal_iteratorINS6_10device_ptrIjEEEESG_NSD_INSE_IS9_EEEESI_jNS0_19identity_decomposerENS1_16block_id_wrapperIjLb1EEEEE10hipError_tT1_PNSt15iterator_traitsISN_E10value_typeET2_T3_PNSO_IST_E10value_typeET4_T5_PSY_SZ_PNS1_23onesweep_lookback_stateEbbT6_jjT7_P12ihipStream_tbENKUlT_T0_SN_SS_E_clIPjSG_PS9_SI_EEDaS16_S17_SN_SS_EUlS16_E_NS1_11comp_targetILNS1_3genE2ELNS1_11target_archE906ELNS1_3gpuE6ELNS1_3repE0EEENS1_47radix_sort_onesweep_sort_config_static_selectorELNS0_4arch9wavefront6targetE0EEEvSN_,@function
_ZN7rocprim17ROCPRIM_400000_NS6detail17trampoline_kernelINS0_14default_configENS1_35radix_sort_onesweep_config_selectorIjN6thrust23THRUST_200600_302600_NS5tupleIffNS6_9null_typeES8_S8_S8_S8_S8_S8_S8_EEEEZZNS1_29radix_sort_onesweep_iterationIS3_Lb0ENS6_6detail15normal_iteratorINS6_10device_ptrIjEEEESG_NSD_INSE_IS9_EEEESI_jNS0_19identity_decomposerENS1_16block_id_wrapperIjLb1EEEEE10hipError_tT1_PNSt15iterator_traitsISN_E10value_typeET2_T3_PNSO_IST_E10value_typeET4_T5_PSY_SZ_PNS1_23onesweep_lookback_stateEbbT6_jjT7_P12ihipStream_tbENKUlT_T0_SN_SS_E_clIPjSG_PS9_SI_EEDaS16_S17_SN_SS_EUlS16_E_NS1_11comp_targetILNS1_3genE2ELNS1_11target_archE906ELNS1_3gpuE6ELNS1_3repE0EEENS1_47radix_sort_onesweep_sort_config_static_selectorELNS0_4arch9wavefront6targetE0EEEvSN_: ; @_ZN7rocprim17ROCPRIM_400000_NS6detail17trampoline_kernelINS0_14default_configENS1_35radix_sort_onesweep_config_selectorIjN6thrust23THRUST_200600_302600_NS5tupleIffNS6_9null_typeES8_S8_S8_S8_S8_S8_S8_EEEEZZNS1_29radix_sort_onesweep_iterationIS3_Lb0ENS6_6detail15normal_iteratorINS6_10device_ptrIjEEEESG_NSD_INSE_IS9_EEEESI_jNS0_19identity_decomposerENS1_16block_id_wrapperIjLb1EEEEE10hipError_tT1_PNSt15iterator_traitsISN_E10value_typeET2_T3_PNSO_IST_E10value_typeET4_T5_PSY_SZ_PNS1_23onesweep_lookback_stateEbbT6_jjT7_P12ihipStream_tbENKUlT_T0_SN_SS_E_clIPjSG_PS9_SI_EEDaS16_S17_SN_SS_EUlS16_E_NS1_11comp_targetILNS1_3genE2ELNS1_11target_archE906ELNS1_3gpuE6ELNS1_3repE0EEENS1_47radix_sort_onesweep_sort_config_static_selectorELNS0_4arch9wavefront6targetE0EEEvSN_
; %bb.0:
	.section	.rodata,"a",@progbits
	.p2align	6, 0x0
	.amdhsa_kernel _ZN7rocprim17ROCPRIM_400000_NS6detail17trampoline_kernelINS0_14default_configENS1_35radix_sort_onesweep_config_selectorIjN6thrust23THRUST_200600_302600_NS5tupleIffNS6_9null_typeES8_S8_S8_S8_S8_S8_S8_EEEEZZNS1_29radix_sort_onesweep_iterationIS3_Lb0ENS6_6detail15normal_iteratorINS6_10device_ptrIjEEEESG_NSD_INSE_IS9_EEEESI_jNS0_19identity_decomposerENS1_16block_id_wrapperIjLb1EEEEE10hipError_tT1_PNSt15iterator_traitsISN_E10value_typeET2_T3_PNSO_IST_E10value_typeET4_T5_PSY_SZ_PNS1_23onesweep_lookback_stateEbbT6_jjT7_P12ihipStream_tbENKUlT_T0_SN_SS_E_clIPjSG_PS9_SI_EEDaS16_S17_SN_SS_EUlS16_E_NS1_11comp_targetILNS1_3genE2ELNS1_11target_archE906ELNS1_3gpuE6ELNS1_3repE0EEENS1_47radix_sort_onesweep_sort_config_static_selectorELNS0_4arch9wavefront6targetE0EEEvSN_
		.amdhsa_group_segment_fixed_size 0
		.amdhsa_private_segment_fixed_size 0
		.amdhsa_kernarg_size 88
		.amdhsa_user_sgpr_count 2
		.amdhsa_user_sgpr_dispatch_ptr 0
		.amdhsa_user_sgpr_queue_ptr 0
		.amdhsa_user_sgpr_kernarg_segment_ptr 1
		.amdhsa_user_sgpr_dispatch_id 0
		.amdhsa_user_sgpr_private_segment_size 0
		.amdhsa_wavefront_size32 1
		.amdhsa_uses_dynamic_stack 0
		.amdhsa_enable_private_segment 0
		.amdhsa_system_sgpr_workgroup_id_x 1
		.amdhsa_system_sgpr_workgroup_id_y 0
		.amdhsa_system_sgpr_workgroup_id_z 0
		.amdhsa_system_sgpr_workgroup_info 0
		.amdhsa_system_vgpr_workitem_id 0
		.amdhsa_next_free_vgpr 1
		.amdhsa_next_free_sgpr 1
		.amdhsa_reserve_vcc 0
		.amdhsa_float_round_mode_32 0
		.amdhsa_float_round_mode_16_64 0
		.amdhsa_float_denorm_mode_32 3
		.amdhsa_float_denorm_mode_16_64 3
		.amdhsa_fp16_overflow 0
		.amdhsa_workgroup_processor_mode 1
		.amdhsa_memory_ordered 1
		.amdhsa_forward_progress 1
		.amdhsa_inst_pref_size 0
		.amdhsa_round_robin_scheduling 0
		.amdhsa_exception_fp_ieee_invalid_op 0
		.amdhsa_exception_fp_denorm_src 0
		.amdhsa_exception_fp_ieee_div_zero 0
		.amdhsa_exception_fp_ieee_overflow 0
		.amdhsa_exception_fp_ieee_underflow 0
		.amdhsa_exception_fp_ieee_inexact 0
		.amdhsa_exception_int_div_zero 0
	.end_amdhsa_kernel
	.section	.text._ZN7rocprim17ROCPRIM_400000_NS6detail17trampoline_kernelINS0_14default_configENS1_35radix_sort_onesweep_config_selectorIjN6thrust23THRUST_200600_302600_NS5tupleIffNS6_9null_typeES8_S8_S8_S8_S8_S8_S8_EEEEZZNS1_29radix_sort_onesweep_iterationIS3_Lb0ENS6_6detail15normal_iteratorINS6_10device_ptrIjEEEESG_NSD_INSE_IS9_EEEESI_jNS0_19identity_decomposerENS1_16block_id_wrapperIjLb1EEEEE10hipError_tT1_PNSt15iterator_traitsISN_E10value_typeET2_T3_PNSO_IST_E10value_typeET4_T5_PSY_SZ_PNS1_23onesweep_lookback_stateEbbT6_jjT7_P12ihipStream_tbENKUlT_T0_SN_SS_E_clIPjSG_PS9_SI_EEDaS16_S17_SN_SS_EUlS16_E_NS1_11comp_targetILNS1_3genE2ELNS1_11target_archE906ELNS1_3gpuE6ELNS1_3repE0EEENS1_47radix_sort_onesweep_sort_config_static_selectorELNS0_4arch9wavefront6targetE0EEEvSN_,"axG",@progbits,_ZN7rocprim17ROCPRIM_400000_NS6detail17trampoline_kernelINS0_14default_configENS1_35radix_sort_onesweep_config_selectorIjN6thrust23THRUST_200600_302600_NS5tupleIffNS6_9null_typeES8_S8_S8_S8_S8_S8_S8_EEEEZZNS1_29radix_sort_onesweep_iterationIS3_Lb0ENS6_6detail15normal_iteratorINS6_10device_ptrIjEEEESG_NSD_INSE_IS9_EEEESI_jNS0_19identity_decomposerENS1_16block_id_wrapperIjLb1EEEEE10hipError_tT1_PNSt15iterator_traitsISN_E10value_typeET2_T3_PNSO_IST_E10value_typeET4_T5_PSY_SZ_PNS1_23onesweep_lookback_stateEbbT6_jjT7_P12ihipStream_tbENKUlT_T0_SN_SS_E_clIPjSG_PS9_SI_EEDaS16_S17_SN_SS_EUlS16_E_NS1_11comp_targetILNS1_3genE2ELNS1_11target_archE906ELNS1_3gpuE6ELNS1_3repE0EEENS1_47radix_sort_onesweep_sort_config_static_selectorELNS0_4arch9wavefront6targetE0EEEvSN_,comdat
.Lfunc_end196:
	.size	_ZN7rocprim17ROCPRIM_400000_NS6detail17trampoline_kernelINS0_14default_configENS1_35radix_sort_onesweep_config_selectorIjN6thrust23THRUST_200600_302600_NS5tupleIffNS6_9null_typeES8_S8_S8_S8_S8_S8_S8_EEEEZZNS1_29radix_sort_onesweep_iterationIS3_Lb0ENS6_6detail15normal_iteratorINS6_10device_ptrIjEEEESG_NSD_INSE_IS9_EEEESI_jNS0_19identity_decomposerENS1_16block_id_wrapperIjLb1EEEEE10hipError_tT1_PNSt15iterator_traitsISN_E10value_typeET2_T3_PNSO_IST_E10value_typeET4_T5_PSY_SZ_PNS1_23onesweep_lookback_stateEbbT6_jjT7_P12ihipStream_tbENKUlT_T0_SN_SS_E_clIPjSG_PS9_SI_EEDaS16_S17_SN_SS_EUlS16_E_NS1_11comp_targetILNS1_3genE2ELNS1_11target_archE906ELNS1_3gpuE6ELNS1_3repE0EEENS1_47radix_sort_onesweep_sort_config_static_selectorELNS0_4arch9wavefront6targetE0EEEvSN_, .Lfunc_end196-_ZN7rocprim17ROCPRIM_400000_NS6detail17trampoline_kernelINS0_14default_configENS1_35radix_sort_onesweep_config_selectorIjN6thrust23THRUST_200600_302600_NS5tupleIffNS6_9null_typeES8_S8_S8_S8_S8_S8_S8_EEEEZZNS1_29radix_sort_onesweep_iterationIS3_Lb0ENS6_6detail15normal_iteratorINS6_10device_ptrIjEEEESG_NSD_INSE_IS9_EEEESI_jNS0_19identity_decomposerENS1_16block_id_wrapperIjLb1EEEEE10hipError_tT1_PNSt15iterator_traitsISN_E10value_typeET2_T3_PNSO_IST_E10value_typeET4_T5_PSY_SZ_PNS1_23onesweep_lookback_stateEbbT6_jjT7_P12ihipStream_tbENKUlT_T0_SN_SS_E_clIPjSG_PS9_SI_EEDaS16_S17_SN_SS_EUlS16_E_NS1_11comp_targetILNS1_3genE2ELNS1_11target_archE906ELNS1_3gpuE6ELNS1_3repE0EEENS1_47radix_sort_onesweep_sort_config_static_selectorELNS0_4arch9wavefront6targetE0EEEvSN_
                                        ; -- End function
	.set _ZN7rocprim17ROCPRIM_400000_NS6detail17trampoline_kernelINS0_14default_configENS1_35radix_sort_onesweep_config_selectorIjN6thrust23THRUST_200600_302600_NS5tupleIffNS6_9null_typeES8_S8_S8_S8_S8_S8_S8_EEEEZZNS1_29radix_sort_onesweep_iterationIS3_Lb0ENS6_6detail15normal_iteratorINS6_10device_ptrIjEEEESG_NSD_INSE_IS9_EEEESI_jNS0_19identity_decomposerENS1_16block_id_wrapperIjLb1EEEEE10hipError_tT1_PNSt15iterator_traitsISN_E10value_typeET2_T3_PNSO_IST_E10value_typeET4_T5_PSY_SZ_PNS1_23onesweep_lookback_stateEbbT6_jjT7_P12ihipStream_tbENKUlT_T0_SN_SS_E_clIPjSG_PS9_SI_EEDaS16_S17_SN_SS_EUlS16_E_NS1_11comp_targetILNS1_3genE2ELNS1_11target_archE906ELNS1_3gpuE6ELNS1_3repE0EEENS1_47radix_sort_onesweep_sort_config_static_selectorELNS0_4arch9wavefront6targetE0EEEvSN_.num_vgpr, 0
	.set _ZN7rocprim17ROCPRIM_400000_NS6detail17trampoline_kernelINS0_14default_configENS1_35radix_sort_onesweep_config_selectorIjN6thrust23THRUST_200600_302600_NS5tupleIffNS6_9null_typeES8_S8_S8_S8_S8_S8_S8_EEEEZZNS1_29radix_sort_onesweep_iterationIS3_Lb0ENS6_6detail15normal_iteratorINS6_10device_ptrIjEEEESG_NSD_INSE_IS9_EEEESI_jNS0_19identity_decomposerENS1_16block_id_wrapperIjLb1EEEEE10hipError_tT1_PNSt15iterator_traitsISN_E10value_typeET2_T3_PNSO_IST_E10value_typeET4_T5_PSY_SZ_PNS1_23onesweep_lookback_stateEbbT6_jjT7_P12ihipStream_tbENKUlT_T0_SN_SS_E_clIPjSG_PS9_SI_EEDaS16_S17_SN_SS_EUlS16_E_NS1_11comp_targetILNS1_3genE2ELNS1_11target_archE906ELNS1_3gpuE6ELNS1_3repE0EEENS1_47radix_sort_onesweep_sort_config_static_selectorELNS0_4arch9wavefront6targetE0EEEvSN_.num_agpr, 0
	.set _ZN7rocprim17ROCPRIM_400000_NS6detail17trampoline_kernelINS0_14default_configENS1_35radix_sort_onesweep_config_selectorIjN6thrust23THRUST_200600_302600_NS5tupleIffNS6_9null_typeES8_S8_S8_S8_S8_S8_S8_EEEEZZNS1_29radix_sort_onesweep_iterationIS3_Lb0ENS6_6detail15normal_iteratorINS6_10device_ptrIjEEEESG_NSD_INSE_IS9_EEEESI_jNS0_19identity_decomposerENS1_16block_id_wrapperIjLb1EEEEE10hipError_tT1_PNSt15iterator_traitsISN_E10value_typeET2_T3_PNSO_IST_E10value_typeET4_T5_PSY_SZ_PNS1_23onesweep_lookback_stateEbbT6_jjT7_P12ihipStream_tbENKUlT_T0_SN_SS_E_clIPjSG_PS9_SI_EEDaS16_S17_SN_SS_EUlS16_E_NS1_11comp_targetILNS1_3genE2ELNS1_11target_archE906ELNS1_3gpuE6ELNS1_3repE0EEENS1_47radix_sort_onesweep_sort_config_static_selectorELNS0_4arch9wavefront6targetE0EEEvSN_.numbered_sgpr, 0
	.set _ZN7rocprim17ROCPRIM_400000_NS6detail17trampoline_kernelINS0_14default_configENS1_35radix_sort_onesweep_config_selectorIjN6thrust23THRUST_200600_302600_NS5tupleIffNS6_9null_typeES8_S8_S8_S8_S8_S8_S8_EEEEZZNS1_29radix_sort_onesweep_iterationIS3_Lb0ENS6_6detail15normal_iteratorINS6_10device_ptrIjEEEESG_NSD_INSE_IS9_EEEESI_jNS0_19identity_decomposerENS1_16block_id_wrapperIjLb1EEEEE10hipError_tT1_PNSt15iterator_traitsISN_E10value_typeET2_T3_PNSO_IST_E10value_typeET4_T5_PSY_SZ_PNS1_23onesweep_lookback_stateEbbT6_jjT7_P12ihipStream_tbENKUlT_T0_SN_SS_E_clIPjSG_PS9_SI_EEDaS16_S17_SN_SS_EUlS16_E_NS1_11comp_targetILNS1_3genE2ELNS1_11target_archE906ELNS1_3gpuE6ELNS1_3repE0EEENS1_47radix_sort_onesweep_sort_config_static_selectorELNS0_4arch9wavefront6targetE0EEEvSN_.num_named_barrier, 0
	.set _ZN7rocprim17ROCPRIM_400000_NS6detail17trampoline_kernelINS0_14default_configENS1_35radix_sort_onesweep_config_selectorIjN6thrust23THRUST_200600_302600_NS5tupleIffNS6_9null_typeES8_S8_S8_S8_S8_S8_S8_EEEEZZNS1_29radix_sort_onesweep_iterationIS3_Lb0ENS6_6detail15normal_iteratorINS6_10device_ptrIjEEEESG_NSD_INSE_IS9_EEEESI_jNS0_19identity_decomposerENS1_16block_id_wrapperIjLb1EEEEE10hipError_tT1_PNSt15iterator_traitsISN_E10value_typeET2_T3_PNSO_IST_E10value_typeET4_T5_PSY_SZ_PNS1_23onesweep_lookback_stateEbbT6_jjT7_P12ihipStream_tbENKUlT_T0_SN_SS_E_clIPjSG_PS9_SI_EEDaS16_S17_SN_SS_EUlS16_E_NS1_11comp_targetILNS1_3genE2ELNS1_11target_archE906ELNS1_3gpuE6ELNS1_3repE0EEENS1_47radix_sort_onesweep_sort_config_static_selectorELNS0_4arch9wavefront6targetE0EEEvSN_.private_seg_size, 0
	.set _ZN7rocprim17ROCPRIM_400000_NS6detail17trampoline_kernelINS0_14default_configENS1_35radix_sort_onesweep_config_selectorIjN6thrust23THRUST_200600_302600_NS5tupleIffNS6_9null_typeES8_S8_S8_S8_S8_S8_S8_EEEEZZNS1_29radix_sort_onesweep_iterationIS3_Lb0ENS6_6detail15normal_iteratorINS6_10device_ptrIjEEEESG_NSD_INSE_IS9_EEEESI_jNS0_19identity_decomposerENS1_16block_id_wrapperIjLb1EEEEE10hipError_tT1_PNSt15iterator_traitsISN_E10value_typeET2_T3_PNSO_IST_E10value_typeET4_T5_PSY_SZ_PNS1_23onesweep_lookback_stateEbbT6_jjT7_P12ihipStream_tbENKUlT_T0_SN_SS_E_clIPjSG_PS9_SI_EEDaS16_S17_SN_SS_EUlS16_E_NS1_11comp_targetILNS1_3genE2ELNS1_11target_archE906ELNS1_3gpuE6ELNS1_3repE0EEENS1_47radix_sort_onesweep_sort_config_static_selectorELNS0_4arch9wavefront6targetE0EEEvSN_.uses_vcc, 0
	.set _ZN7rocprim17ROCPRIM_400000_NS6detail17trampoline_kernelINS0_14default_configENS1_35radix_sort_onesweep_config_selectorIjN6thrust23THRUST_200600_302600_NS5tupleIffNS6_9null_typeES8_S8_S8_S8_S8_S8_S8_EEEEZZNS1_29radix_sort_onesweep_iterationIS3_Lb0ENS6_6detail15normal_iteratorINS6_10device_ptrIjEEEESG_NSD_INSE_IS9_EEEESI_jNS0_19identity_decomposerENS1_16block_id_wrapperIjLb1EEEEE10hipError_tT1_PNSt15iterator_traitsISN_E10value_typeET2_T3_PNSO_IST_E10value_typeET4_T5_PSY_SZ_PNS1_23onesweep_lookback_stateEbbT6_jjT7_P12ihipStream_tbENKUlT_T0_SN_SS_E_clIPjSG_PS9_SI_EEDaS16_S17_SN_SS_EUlS16_E_NS1_11comp_targetILNS1_3genE2ELNS1_11target_archE906ELNS1_3gpuE6ELNS1_3repE0EEENS1_47radix_sort_onesweep_sort_config_static_selectorELNS0_4arch9wavefront6targetE0EEEvSN_.uses_flat_scratch, 0
	.set _ZN7rocprim17ROCPRIM_400000_NS6detail17trampoline_kernelINS0_14default_configENS1_35radix_sort_onesweep_config_selectorIjN6thrust23THRUST_200600_302600_NS5tupleIffNS6_9null_typeES8_S8_S8_S8_S8_S8_S8_EEEEZZNS1_29radix_sort_onesweep_iterationIS3_Lb0ENS6_6detail15normal_iteratorINS6_10device_ptrIjEEEESG_NSD_INSE_IS9_EEEESI_jNS0_19identity_decomposerENS1_16block_id_wrapperIjLb1EEEEE10hipError_tT1_PNSt15iterator_traitsISN_E10value_typeET2_T3_PNSO_IST_E10value_typeET4_T5_PSY_SZ_PNS1_23onesweep_lookback_stateEbbT6_jjT7_P12ihipStream_tbENKUlT_T0_SN_SS_E_clIPjSG_PS9_SI_EEDaS16_S17_SN_SS_EUlS16_E_NS1_11comp_targetILNS1_3genE2ELNS1_11target_archE906ELNS1_3gpuE6ELNS1_3repE0EEENS1_47radix_sort_onesweep_sort_config_static_selectorELNS0_4arch9wavefront6targetE0EEEvSN_.has_dyn_sized_stack, 0
	.set _ZN7rocprim17ROCPRIM_400000_NS6detail17trampoline_kernelINS0_14default_configENS1_35radix_sort_onesweep_config_selectorIjN6thrust23THRUST_200600_302600_NS5tupleIffNS6_9null_typeES8_S8_S8_S8_S8_S8_S8_EEEEZZNS1_29radix_sort_onesweep_iterationIS3_Lb0ENS6_6detail15normal_iteratorINS6_10device_ptrIjEEEESG_NSD_INSE_IS9_EEEESI_jNS0_19identity_decomposerENS1_16block_id_wrapperIjLb1EEEEE10hipError_tT1_PNSt15iterator_traitsISN_E10value_typeET2_T3_PNSO_IST_E10value_typeET4_T5_PSY_SZ_PNS1_23onesweep_lookback_stateEbbT6_jjT7_P12ihipStream_tbENKUlT_T0_SN_SS_E_clIPjSG_PS9_SI_EEDaS16_S17_SN_SS_EUlS16_E_NS1_11comp_targetILNS1_3genE2ELNS1_11target_archE906ELNS1_3gpuE6ELNS1_3repE0EEENS1_47radix_sort_onesweep_sort_config_static_selectorELNS0_4arch9wavefront6targetE0EEEvSN_.has_recursion, 0
	.set _ZN7rocprim17ROCPRIM_400000_NS6detail17trampoline_kernelINS0_14default_configENS1_35radix_sort_onesweep_config_selectorIjN6thrust23THRUST_200600_302600_NS5tupleIffNS6_9null_typeES8_S8_S8_S8_S8_S8_S8_EEEEZZNS1_29radix_sort_onesweep_iterationIS3_Lb0ENS6_6detail15normal_iteratorINS6_10device_ptrIjEEEESG_NSD_INSE_IS9_EEEESI_jNS0_19identity_decomposerENS1_16block_id_wrapperIjLb1EEEEE10hipError_tT1_PNSt15iterator_traitsISN_E10value_typeET2_T3_PNSO_IST_E10value_typeET4_T5_PSY_SZ_PNS1_23onesweep_lookback_stateEbbT6_jjT7_P12ihipStream_tbENKUlT_T0_SN_SS_E_clIPjSG_PS9_SI_EEDaS16_S17_SN_SS_EUlS16_E_NS1_11comp_targetILNS1_3genE2ELNS1_11target_archE906ELNS1_3gpuE6ELNS1_3repE0EEENS1_47radix_sort_onesweep_sort_config_static_selectorELNS0_4arch9wavefront6targetE0EEEvSN_.has_indirect_call, 0
	.section	.AMDGPU.csdata,"",@progbits
; Kernel info:
; codeLenInByte = 0
; TotalNumSgprs: 0
; NumVgprs: 0
; ScratchSize: 0
; MemoryBound: 0
; FloatMode: 240
; IeeeMode: 1
; LDSByteSize: 0 bytes/workgroup (compile time only)
; SGPRBlocks: 0
; VGPRBlocks: 0
; NumSGPRsForWavesPerEU: 1
; NumVGPRsForWavesPerEU: 1
; Occupancy: 16
; WaveLimiterHint : 0
; COMPUTE_PGM_RSRC2:SCRATCH_EN: 0
; COMPUTE_PGM_RSRC2:USER_SGPR: 2
; COMPUTE_PGM_RSRC2:TRAP_HANDLER: 0
; COMPUTE_PGM_RSRC2:TGID_X_EN: 1
; COMPUTE_PGM_RSRC2:TGID_Y_EN: 0
; COMPUTE_PGM_RSRC2:TGID_Z_EN: 0
; COMPUTE_PGM_RSRC2:TIDIG_COMP_CNT: 0
	.section	.text._ZN7rocprim17ROCPRIM_400000_NS6detail17trampoline_kernelINS0_14default_configENS1_35radix_sort_onesweep_config_selectorIjN6thrust23THRUST_200600_302600_NS5tupleIffNS6_9null_typeES8_S8_S8_S8_S8_S8_S8_EEEEZZNS1_29radix_sort_onesweep_iterationIS3_Lb0ENS6_6detail15normal_iteratorINS6_10device_ptrIjEEEESG_NSD_INSE_IS9_EEEESI_jNS0_19identity_decomposerENS1_16block_id_wrapperIjLb1EEEEE10hipError_tT1_PNSt15iterator_traitsISN_E10value_typeET2_T3_PNSO_IST_E10value_typeET4_T5_PSY_SZ_PNS1_23onesweep_lookback_stateEbbT6_jjT7_P12ihipStream_tbENKUlT_T0_SN_SS_E_clIPjSG_PS9_SI_EEDaS16_S17_SN_SS_EUlS16_E_NS1_11comp_targetILNS1_3genE4ELNS1_11target_archE910ELNS1_3gpuE8ELNS1_3repE0EEENS1_47radix_sort_onesweep_sort_config_static_selectorELNS0_4arch9wavefront6targetE0EEEvSN_,"axG",@progbits,_ZN7rocprim17ROCPRIM_400000_NS6detail17trampoline_kernelINS0_14default_configENS1_35radix_sort_onesweep_config_selectorIjN6thrust23THRUST_200600_302600_NS5tupleIffNS6_9null_typeES8_S8_S8_S8_S8_S8_S8_EEEEZZNS1_29radix_sort_onesweep_iterationIS3_Lb0ENS6_6detail15normal_iteratorINS6_10device_ptrIjEEEESG_NSD_INSE_IS9_EEEESI_jNS0_19identity_decomposerENS1_16block_id_wrapperIjLb1EEEEE10hipError_tT1_PNSt15iterator_traitsISN_E10value_typeET2_T3_PNSO_IST_E10value_typeET4_T5_PSY_SZ_PNS1_23onesweep_lookback_stateEbbT6_jjT7_P12ihipStream_tbENKUlT_T0_SN_SS_E_clIPjSG_PS9_SI_EEDaS16_S17_SN_SS_EUlS16_E_NS1_11comp_targetILNS1_3genE4ELNS1_11target_archE910ELNS1_3gpuE8ELNS1_3repE0EEENS1_47radix_sort_onesweep_sort_config_static_selectorELNS0_4arch9wavefront6targetE0EEEvSN_,comdat
	.protected	_ZN7rocprim17ROCPRIM_400000_NS6detail17trampoline_kernelINS0_14default_configENS1_35radix_sort_onesweep_config_selectorIjN6thrust23THRUST_200600_302600_NS5tupleIffNS6_9null_typeES8_S8_S8_S8_S8_S8_S8_EEEEZZNS1_29radix_sort_onesweep_iterationIS3_Lb0ENS6_6detail15normal_iteratorINS6_10device_ptrIjEEEESG_NSD_INSE_IS9_EEEESI_jNS0_19identity_decomposerENS1_16block_id_wrapperIjLb1EEEEE10hipError_tT1_PNSt15iterator_traitsISN_E10value_typeET2_T3_PNSO_IST_E10value_typeET4_T5_PSY_SZ_PNS1_23onesweep_lookback_stateEbbT6_jjT7_P12ihipStream_tbENKUlT_T0_SN_SS_E_clIPjSG_PS9_SI_EEDaS16_S17_SN_SS_EUlS16_E_NS1_11comp_targetILNS1_3genE4ELNS1_11target_archE910ELNS1_3gpuE8ELNS1_3repE0EEENS1_47radix_sort_onesweep_sort_config_static_selectorELNS0_4arch9wavefront6targetE0EEEvSN_ ; -- Begin function _ZN7rocprim17ROCPRIM_400000_NS6detail17trampoline_kernelINS0_14default_configENS1_35radix_sort_onesweep_config_selectorIjN6thrust23THRUST_200600_302600_NS5tupleIffNS6_9null_typeES8_S8_S8_S8_S8_S8_S8_EEEEZZNS1_29radix_sort_onesweep_iterationIS3_Lb0ENS6_6detail15normal_iteratorINS6_10device_ptrIjEEEESG_NSD_INSE_IS9_EEEESI_jNS0_19identity_decomposerENS1_16block_id_wrapperIjLb1EEEEE10hipError_tT1_PNSt15iterator_traitsISN_E10value_typeET2_T3_PNSO_IST_E10value_typeET4_T5_PSY_SZ_PNS1_23onesweep_lookback_stateEbbT6_jjT7_P12ihipStream_tbENKUlT_T0_SN_SS_E_clIPjSG_PS9_SI_EEDaS16_S17_SN_SS_EUlS16_E_NS1_11comp_targetILNS1_3genE4ELNS1_11target_archE910ELNS1_3gpuE8ELNS1_3repE0EEENS1_47radix_sort_onesweep_sort_config_static_selectorELNS0_4arch9wavefront6targetE0EEEvSN_
	.globl	_ZN7rocprim17ROCPRIM_400000_NS6detail17trampoline_kernelINS0_14default_configENS1_35radix_sort_onesweep_config_selectorIjN6thrust23THRUST_200600_302600_NS5tupleIffNS6_9null_typeES8_S8_S8_S8_S8_S8_S8_EEEEZZNS1_29radix_sort_onesweep_iterationIS3_Lb0ENS6_6detail15normal_iteratorINS6_10device_ptrIjEEEESG_NSD_INSE_IS9_EEEESI_jNS0_19identity_decomposerENS1_16block_id_wrapperIjLb1EEEEE10hipError_tT1_PNSt15iterator_traitsISN_E10value_typeET2_T3_PNSO_IST_E10value_typeET4_T5_PSY_SZ_PNS1_23onesweep_lookback_stateEbbT6_jjT7_P12ihipStream_tbENKUlT_T0_SN_SS_E_clIPjSG_PS9_SI_EEDaS16_S17_SN_SS_EUlS16_E_NS1_11comp_targetILNS1_3genE4ELNS1_11target_archE910ELNS1_3gpuE8ELNS1_3repE0EEENS1_47radix_sort_onesweep_sort_config_static_selectorELNS0_4arch9wavefront6targetE0EEEvSN_
	.p2align	8
	.type	_ZN7rocprim17ROCPRIM_400000_NS6detail17trampoline_kernelINS0_14default_configENS1_35radix_sort_onesweep_config_selectorIjN6thrust23THRUST_200600_302600_NS5tupleIffNS6_9null_typeES8_S8_S8_S8_S8_S8_S8_EEEEZZNS1_29radix_sort_onesweep_iterationIS3_Lb0ENS6_6detail15normal_iteratorINS6_10device_ptrIjEEEESG_NSD_INSE_IS9_EEEESI_jNS0_19identity_decomposerENS1_16block_id_wrapperIjLb1EEEEE10hipError_tT1_PNSt15iterator_traitsISN_E10value_typeET2_T3_PNSO_IST_E10value_typeET4_T5_PSY_SZ_PNS1_23onesweep_lookback_stateEbbT6_jjT7_P12ihipStream_tbENKUlT_T0_SN_SS_E_clIPjSG_PS9_SI_EEDaS16_S17_SN_SS_EUlS16_E_NS1_11comp_targetILNS1_3genE4ELNS1_11target_archE910ELNS1_3gpuE8ELNS1_3repE0EEENS1_47radix_sort_onesweep_sort_config_static_selectorELNS0_4arch9wavefront6targetE0EEEvSN_,@function
_ZN7rocprim17ROCPRIM_400000_NS6detail17trampoline_kernelINS0_14default_configENS1_35radix_sort_onesweep_config_selectorIjN6thrust23THRUST_200600_302600_NS5tupleIffNS6_9null_typeES8_S8_S8_S8_S8_S8_S8_EEEEZZNS1_29radix_sort_onesweep_iterationIS3_Lb0ENS6_6detail15normal_iteratorINS6_10device_ptrIjEEEESG_NSD_INSE_IS9_EEEESI_jNS0_19identity_decomposerENS1_16block_id_wrapperIjLb1EEEEE10hipError_tT1_PNSt15iterator_traitsISN_E10value_typeET2_T3_PNSO_IST_E10value_typeET4_T5_PSY_SZ_PNS1_23onesweep_lookback_stateEbbT6_jjT7_P12ihipStream_tbENKUlT_T0_SN_SS_E_clIPjSG_PS9_SI_EEDaS16_S17_SN_SS_EUlS16_E_NS1_11comp_targetILNS1_3genE4ELNS1_11target_archE910ELNS1_3gpuE8ELNS1_3repE0EEENS1_47radix_sort_onesweep_sort_config_static_selectorELNS0_4arch9wavefront6targetE0EEEvSN_: ; @_ZN7rocprim17ROCPRIM_400000_NS6detail17trampoline_kernelINS0_14default_configENS1_35radix_sort_onesweep_config_selectorIjN6thrust23THRUST_200600_302600_NS5tupleIffNS6_9null_typeES8_S8_S8_S8_S8_S8_S8_EEEEZZNS1_29radix_sort_onesweep_iterationIS3_Lb0ENS6_6detail15normal_iteratorINS6_10device_ptrIjEEEESG_NSD_INSE_IS9_EEEESI_jNS0_19identity_decomposerENS1_16block_id_wrapperIjLb1EEEEE10hipError_tT1_PNSt15iterator_traitsISN_E10value_typeET2_T3_PNSO_IST_E10value_typeET4_T5_PSY_SZ_PNS1_23onesweep_lookback_stateEbbT6_jjT7_P12ihipStream_tbENKUlT_T0_SN_SS_E_clIPjSG_PS9_SI_EEDaS16_S17_SN_SS_EUlS16_E_NS1_11comp_targetILNS1_3genE4ELNS1_11target_archE910ELNS1_3gpuE8ELNS1_3repE0EEENS1_47radix_sort_onesweep_sort_config_static_selectorELNS0_4arch9wavefront6targetE0EEEvSN_
; %bb.0:
	.section	.rodata,"a",@progbits
	.p2align	6, 0x0
	.amdhsa_kernel _ZN7rocprim17ROCPRIM_400000_NS6detail17trampoline_kernelINS0_14default_configENS1_35radix_sort_onesweep_config_selectorIjN6thrust23THRUST_200600_302600_NS5tupleIffNS6_9null_typeES8_S8_S8_S8_S8_S8_S8_EEEEZZNS1_29radix_sort_onesweep_iterationIS3_Lb0ENS6_6detail15normal_iteratorINS6_10device_ptrIjEEEESG_NSD_INSE_IS9_EEEESI_jNS0_19identity_decomposerENS1_16block_id_wrapperIjLb1EEEEE10hipError_tT1_PNSt15iterator_traitsISN_E10value_typeET2_T3_PNSO_IST_E10value_typeET4_T5_PSY_SZ_PNS1_23onesweep_lookback_stateEbbT6_jjT7_P12ihipStream_tbENKUlT_T0_SN_SS_E_clIPjSG_PS9_SI_EEDaS16_S17_SN_SS_EUlS16_E_NS1_11comp_targetILNS1_3genE4ELNS1_11target_archE910ELNS1_3gpuE8ELNS1_3repE0EEENS1_47radix_sort_onesweep_sort_config_static_selectorELNS0_4arch9wavefront6targetE0EEEvSN_
		.amdhsa_group_segment_fixed_size 0
		.amdhsa_private_segment_fixed_size 0
		.amdhsa_kernarg_size 88
		.amdhsa_user_sgpr_count 2
		.amdhsa_user_sgpr_dispatch_ptr 0
		.amdhsa_user_sgpr_queue_ptr 0
		.amdhsa_user_sgpr_kernarg_segment_ptr 1
		.amdhsa_user_sgpr_dispatch_id 0
		.amdhsa_user_sgpr_private_segment_size 0
		.amdhsa_wavefront_size32 1
		.amdhsa_uses_dynamic_stack 0
		.amdhsa_enable_private_segment 0
		.amdhsa_system_sgpr_workgroup_id_x 1
		.amdhsa_system_sgpr_workgroup_id_y 0
		.amdhsa_system_sgpr_workgroup_id_z 0
		.amdhsa_system_sgpr_workgroup_info 0
		.amdhsa_system_vgpr_workitem_id 0
		.amdhsa_next_free_vgpr 1
		.amdhsa_next_free_sgpr 1
		.amdhsa_reserve_vcc 0
		.amdhsa_float_round_mode_32 0
		.amdhsa_float_round_mode_16_64 0
		.amdhsa_float_denorm_mode_32 3
		.amdhsa_float_denorm_mode_16_64 3
		.amdhsa_fp16_overflow 0
		.amdhsa_workgroup_processor_mode 1
		.amdhsa_memory_ordered 1
		.amdhsa_forward_progress 1
		.amdhsa_inst_pref_size 0
		.amdhsa_round_robin_scheduling 0
		.amdhsa_exception_fp_ieee_invalid_op 0
		.amdhsa_exception_fp_denorm_src 0
		.amdhsa_exception_fp_ieee_div_zero 0
		.amdhsa_exception_fp_ieee_overflow 0
		.amdhsa_exception_fp_ieee_underflow 0
		.amdhsa_exception_fp_ieee_inexact 0
		.amdhsa_exception_int_div_zero 0
	.end_amdhsa_kernel
	.section	.text._ZN7rocprim17ROCPRIM_400000_NS6detail17trampoline_kernelINS0_14default_configENS1_35radix_sort_onesweep_config_selectorIjN6thrust23THRUST_200600_302600_NS5tupleIffNS6_9null_typeES8_S8_S8_S8_S8_S8_S8_EEEEZZNS1_29radix_sort_onesweep_iterationIS3_Lb0ENS6_6detail15normal_iteratorINS6_10device_ptrIjEEEESG_NSD_INSE_IS9_EEEESI_jNS0_19identity_decomposerENS1_16block_id_wrapperIjLb1EEEEE10hipError_tT1_PNSt15iterator_traitsISN_E10value_typeET2_T3_PNSO_IST_E10value_typeET4_T5_PSY_SZ_PNS1_23onesweep_lookback_stateEbbT6_jjT7_P12ihipStream_tbENKUlT_T0_SN_SS_E_clIPjSG_PS9_SI_EEDaS16_S17_SN_SS_EUlS16_E_NS1_11comp_targetILNS1_3genE4ELNS1_11target_archE910ELNS1_3gpuE8ELNS1_3repE0EEENS1_47radix_sort_onesweep_sort_config_static_selectorELNS0_4arch9wavefront6targetE0EEEvSN_,"axG",@progbits,_ZN7rocprim17ROCPRIM_400000_NS6detail17trampoline_kernelINS0_14default_configENS1_35radix_sort_onesweep_config_selectorIjN6thrust23THRUST_200600_302600_NS5tupleIffNS6_9null_typeES8_S8_S8_S8_S8_S8_S8_EEEEZZNS1_29radix_sort_onesweep_iterationIS3_Lb0ENS6_6detail15normal_iteratorINS6_10device_ptrIjEEEESG_NSD_INSE_IS9_EEEESI_jNS0_19identity_decomposerENS1_16block_id_wrapperIjLb1EEEEE10hipError_tT1_PNSt15iterator_traitsISN_E10value_typeET2_T3_PNSO_IST_E10value_typeET4_T5_PSY_SZ_PNS1_23onesweep_lookback_stateEbbT6_jjT7_P12ihipStream_tbENKUlT_T0_SN_SS_E_clIPjSG_PS9_SI_EEDaS16_S17_SN_SS_EUlS16_E_NS1_11comp_targetILNS1_3genE4ELNS1_11target_archE910ELNS1_3gpuE8ELNS1_3repE0EEENS1_47radix_sort_onesweep_sort_config_static_selectorELNS0_4arch9wavefront6targetE0EEEvSN_,comdat
.Lfunc_end197:
	.size	_ZN7rocprim17ROCPRIM_400000_NS6detail17trampoline_kernelINS0_14default_configENS1_35radix_sort_onesweep_config_selectorIjN6thrust23THRUST_200600_302600_NS5tupleIffNS6_9null_typeES8_S8_S8_S8_S8_S8_S8_EEEEZZNS1_29radix_sort_onesweep_iterationIS3_Lb0ENS6_6detail15normal_iteratorINS6_10device_ptrIjEEEESG_NSD_INSE_IS9_EEEESI_jNS0_19identity_decomposerENS1_16block_id_wrapperIjLb1EEEEE10hipError_tT1_PNSt15iterator_traitsISN_E10value_typeET2_T3_PNSO_IST_E10value_typeET4_T5_PSY_SZ_PNS1_23onesweep_lookback_stateEbbT6_jjT7_P12ihipStream_tbENKUlT_T0_SN_SS_E_clIPjSG_PS9_SI_EEDaS16_S17_SN_SS_EUlS16_E_NS1_11comp_targetILNS1_3genE4ELNS1_11target_archE910ELNS1_3gpuE8ELNS1_3repE0EEENS1_47radix_sort_onesweep_sort_config_static_selectorELNS0_4arch9wavefront6targetE0EEEvSN_, .Lfunc_end197-_ZN7rocprim17ROCPRIM_400000_NS6detail17trampoline_kernelINS0_14default_configENS1_35radix_sort_onesweep_config_selectorIjN6thrust23THRUST_200600_302600_NS5tupleIffNS6_9null_typeES8_S8_S8_S8_S8_S8_S8_EEEEZZNS1_29radix_sort_onesweep_iterationIS3_Lb0ENS6_6detail15normal_iteratorINS6_10device_ptrIjEEEESG_NSD_INSE_IS9_EEEESI_jNS0_19identity_decomposerENS1_16block_id_wrapperIjLb1EEEEE10hipError_tT1_PNSt15iterator_traitsISN_E10value_typeET2_T3_PNSO_IST_E10value_typeET4_T5_PSY_SZ_PNS1_23onesweep_lookback_stateEbbT6_jjT7_P12ihipStream_tbENKUlT_T0_SN_SS_E_clIPjSG_PS9_SI_EEDaS16_S17_SN_SS_EUlS16_E_NS1_11comp_targetILNS1_3genE4ELNS1_11target_archE910ELNS1_3gpuE8ELNS1_3repE0EEENS1_47radix_sort_onesweep_sort_config_static_selectorELNS0_4arch9wavefront6targetE0EEEvSN_
                                        ; -- End function
	.set _ZN7rocprim17ROCPRIM_400000_NS6detail17trampoline_kernelINS0_14default_configENS1_35radix_sort_onesweep_config_selectorIjN6thrust23THRUST_200600_302600_NS5tupleIffNS6_9null_typeES8_S8_S8_S8_S8_S8_S8_EEEEZZNS1_29radix_sort_onesweep_iterationIS3_Lb0ENS6_6detail15normal_iteratorINS6_10device_ptrIjEEEESG_NSD_INSE_IS9_EEEESI_jNS0_19identity_decomposerENS1_16block_id_wrapperIjLb1EEEEE10hipError_tT1_PNSt15iterator_traitsISN_E10value_typeET2_T3_PNSO_IST_E10value_typeET4_T5_PSY_SZ_PNS1_23onesweep_lookback_stateEbbT6_jjT7_P12ihipStream_tbENKUlT_T0_SN_SS_E_clIPjSG_PS9_SI_EEDaS16_S17_SN_SS_EUlS16_E_NS1_11comp_targetILNS1_3genE4ELNS1_11target_archE910ELNS1_3gpuE8ELNS1_3repE0EEENS1_47radix_sort_onesweep_sort_config_static_selectorELNS0_4arch9wavefront6targetE0EEEvSN_.num_vgpr, 0
	.set _ZN7rocprim17ROCPRIM_400000_NS6detail17trampoline_kernelINS0_14default_configENS1_35radix_sort_onesweep_config_selectorIjN6thrust23THRUST_200600_302600_NS5tupleIffNS6_9null_typeES8_S8_S8_S8_S8_S8_S8_EEEEZZNS1_29radix_sort_onesweep_iterationIS3_Lb0ENS6_6detail15normal_iteratorINS6_10device_ptrIjEEEESG_NSD_INSE_IS9_EEEESI_jNS0_19identity_decomposerENS1_16block_id_wrapperIjLb1EEEEE10hipError_tT1_PNSt15iterator_traitsISN_E10value_typeET2_T3_PNSO_IST_E10value_typeET4_T5_PSY_SZ_PNS1_23onesweep_lookback_stateEbbT6_jjT7_P12ihipStream_tbENKUlT_T0_SN_SS_E_clIPjSG_PS9_SI_EEDaS16_S17_SN_SS_EUlS16_E_NS1_11comp_targetILNS1_3genE4ELNS1_11target_archE910ELNS1_3gpuE8ELNS1_3repE0EEENS1_47radix_sort_onesweep_sort_config_static_selectorELNS0_4arch9wavefront6targetE0EEEvSN_.num_agpr, 0
	.set _ZN7rocprim17ROCPRIM_400000_NS6detail17trampoline_kernelINS0_14default_configENS1_35radix_sort_onesweep_config_selectorIjN6thrust23THRUST_200600_302600_NS5tupleIffNS6_9null_typeES8_S8_S8_S8_S8_S8_S8_EEEEZZNS1_29radix_sort_onesweep_iterationIS3_Lb0ENS6_6detail15normal_iteratorINS6_10device_ptrIjEEEESG_NSD_INSE_IS9_EEEESI_jNS0_19identity_decomposerENS1_16block_id_wrapperIjLb1EEEEE10hipError_tT1_PNSt15iterator_traitsISN_E10value_typeET2_T3_PNSO_IST_E10value_typeET4_T5_PSY_SZ_PNS1_23onesweep_lookback_stateEbbT6_jjT7_P12ihipStream_tbENKUlT_T0_SN_SS_E_clIPjSG_PS9_SI_EEDaS16_S17_SN_SS_EUlS16_E_NS1_11comp_targetILNS1_3genE4ELNS1_11target_archE910ELNS1_3gpuE8ELNS1_3repE0EEENS1_47radix_sort_onesweep_sort_config_static_selectorELNS0_4arch9wavefront6targetE0EEEvSN_.numbered_sgpr, 0
	.set _ZN7rocprim17ROCPRIM_400000_NS6detail17trampoline_kernelINS0_14default_configENS1_35radix_sort_onesweep_config_selectorIjN6thrust23THRUST_200600_302600_NS5tupleIffNS6_9null_typeES8_S8_S8_S8_S8_S8_S8_EEEEZZNS1_29radix_sort_onesweep_iterationIS3_Lb0ENS6_6detail15normal_iteratorINS6_10device_ptrIjEEEESG_NSD_INSE_IS9_EEEESI_jNS0_19identity_decomposerENS1_16block_id_wrapperIjLb1EEEEE10hipError_tT1_PNSt15iterator_traitsISN_E10value_typeET2_T3_PNSO_IST_E10value_typeET4_T5_PSY_SZ_PNS1_23onesweep_lookback_stateEbbT6_jjT7_P12ihipStream_tbENKUlT_T0_SN_SS_E_clIPjSG_PS9_SI_EEDaS16_S17_SN_SS_EUlS16_E_NS1_11comp_targetILNS1_3genE4ELNS1_11target_archE910ELNS1_3gpuE8ELNS1_3repE0EEENS1_47radix_sort_onesweep_sort_config_static_selectorELNS0_4arch9wavefront6targetE0EEEvSN_.num_named_barrier, 0
	.set _ZN7rocprim17ROCPRIM_400000_NS6detail17trampoline_kernelINS0_14default_configENS1_35radix_sort_onesweep_config_selectorIjN6thrust23THRUST_200600_302600_NS5tupleIffNS6_9null_typeES8_S8_S8_S8_S8_S8_S8_EEEEZZNS1_29radix_sort_onesweep_iterationIS3_Lb0ENS6_6detail15normal_iteratorINS6_10device_ptrIjEEEESG_NSD_INSE_IS9_EEEESI_jNS0_19identity_decomposerENS1_16block_id_wrapperIjLb1EEEEE10hipError_tT1_PNSt15iterator_traitsISN_E10value_typeET2_T3_PNSO_IST_E10value_typeET4_T5_PSY_SZ_PNS1_23onesweep_lookback_stateEbbT6_jjT7_P12ihipStream_tbENKUlT_T0_SN_SS_E_clIPjSG_PS9_SI_EEDaS16_S17_SN_SS_EUlS16_E_NS1_11comp_targetILNS1_3genE4ELNS1_11target_archE910ELNS1_3gpuE8ELNS1_3repE0EEENS1_47radix_sort_onesweep_sort_config_static_selectorELNS0_4arch9wavefront6targetE0EEEvSN_.private_seg_size, 0
	.set _ZN7rocprim17ROCPRIM_400000_NS6detail17trampoline_kernelINS0_14default_configENS1_35radix_sort_onesweep_config_selectorIjN6thrust23THRUST_200600_302600_NS5tupleIffNS6_9null_typeES8_S8_S8_S8_S8_S8_S8_EEEEZZNS1_29radix_sort_onesweep_iterationIS3_Lb0ENS6_6detail15normal_iteratorINS6_10device_ptrIjEEEESG_NSD_INSE_IS9_EEEESI_jNS0_19identity_decomposerENS1_16block_id_wrapperIjLb1EEEEE10hipError_tT1_PNSt15iterator_traitsISN_E10value_typeET2_T3_PNSO_IST_E10value_typeET4_T5_PSY_SZ_PNS1_23onesweep_lookback_stateEbbT6_jjT7_P12ihipStream_tbENKUlT_T0_SN_SS_E_clIPjSG_PS9_SI_EEDaS16_S17_SN_SS_EUlS16_E_NS1_11comp_targetILNS1_3genE4ELNS1_11target_archE910ELNS1_3gpuE8ELNS1_3repE0EEENS1_47radix_sort_onesweep_sort_config_static_selectorELNS0_4arch9wavefront6targetE0EEEvSN_.uses_vcc, 0
	.set _ZN7rocprim17ROCPRIM_400000_NS6detail17trampoline_kernelINS0_14default_configENS1_35radix_sort_onesweep_config_selectorIjN6thrust23THRUST_200600_302600_NS5tupleIffNS6_9null_typeES8_S8_S8_S8_S8_S8_S8_EEEEZZNS1_29radix_sort_onesweep_iterationIS3_Lb0ENS6_6detail15normal_iteratorINS6_10device_ptrIjEEEESG_NSD_INSE_IS9_EEEESI_jNS0_19identity_decomposerENS1_16block_id_wrapperIjLb1EEEEE10hipError_tT1_PNSt15iterator_traitsISN_E10value_typeET2_T3_PNSO_IST_E10value_typeET4_T5_PSY_SZ_PNS1_23onesweep_lookback_stateEbbT6_jjT7_P12ihipStream_tbENKUlT_T0_SN_SS_E_clIPjSG_PS9_SI_EEDaS16_S17_SN_SS_EUlS16_E_NS1_11comp_targetILNS1_3genE4ELNS1_11target_archE910ELNS1_3gpuE8ELNS1_3repE0EEENS1_47radix_sort_onesweep_sort_config_static_selectorELNS0_4arch9wavefront6targetE0EEEvSN_.uses_flat_scratch, 0
	.set _ZN7rocprim17ROCPRIM_400000_NS6detail17trampoline_kernelINS0_14default_configENS1_35radix_sort_onesweep_config_selectorIjN6thrust23THRUST_200600_302600_NS5tupleIffNS6_9null_typeES8_S8_S8_S8_S8_S8_S8_EEEEZZNS1_29radix_sort_onesweep_iterationIS3_Lb0ENS6_6detail15normal_iteratorINS6_10device_ptrIjEEEESG_NSD_INSE_IS9_EEEESI_jNS0_19identity_decomposerENS1_16block_id_wrapperIjLb1EEEEE10hipError_tT1_PNSt15iterator_traitsISN_E10value_typeET2_T3_PNSO_IST_E10value_typeET4_T5_PSY_SZ_PNS1_23onesweep_lookback_stateEbbT6_jjT7_P12ihipStream_tbENKUlT_T0_SN_SS_E_clIPjSG_PS9_SI_EEDaS16_S17_SN_SS_EUlS16_E_NS1_11comp_targetILNS1_3genE4ELNS1_11target_archE910ELNS1_3gpuE8ELNS1_3repE0EEENS1_47radix_sort_onesweep_sort_config_static_selectorELNS0_4arch9wavefront6targetE0EEEvSN_.has_dyn_sized_stack, 0
	.set _ZN7rocprim17ROCPRIM_400000_NS6detail17trampoline_kernelINS0_14default_configENS1_35radix_sort_onesweep_config_selectorIjN6thrust23THRUST_200600_302600_NS5tupleIffNS6_9null_typeES8_S8_S8_S8_S8_S8_S8_EEEEZZNS1_29radix_sort_onesweep_iterationIS3_Lb0ENS6_6detail15normal_iteratorINS6_10device_ptrIjEEEESG_NSD_INSE_IS9_EEEESI_jNS0_19identity_decomposerENS1_16block_id_wrapperIjLb1EEEEE10hipError_tT1_PNSt15iterator_traitsISN_E10value_typeET2_T3_PNSO_IST_E10value_typeET4_T5_PSY_SZ_PNS1_23onesweep_lookback_stateEbbT6_jjT7_P12ihipStream_tbENKUlT_T0_SN_SS_E_clIPjSG_PS9_SI_EEDaS16_S17_SN_SS_EUlS16_E_NS1_11comp_targetILNS1_3genE4ELNS1_11target_archE910ELNS1_3gpuE8ELNS1_3repE0EEENS1_47radix_sort_onesweep_sort_config_static_selectorELNS0_4arch9wavefront6targetE0EEEvSN_.has_recursion, 0
	.set _ZN7rocprim17ROCPRIM_400000_NS6detail17trampoline_kernelINS0_14default_configENS1_35radix_sort_onesweep_config_selectorIjN6thrust23THRUST_200600_302600_NS5tupleIffNS6_9null_typeES8_S8_S8_S8_S8_S8_S8_EEEEZZNS1_29radix_sort_onesweep_iterationIS3_Lb0ENS6_6detail15normal_iteratorINS6_10device_ptrIjEEEESG_NSD_INSE_IS9_EEEESI_jNS0_19identity_decomposerENS1_16block_id_wrapperIjLb1EEEEE10hipError_tT1_PNSt15iterator_traitsISN_E10value_typeET2_T3_PNSO_IST_E10value_typeET4_T5_PSY_SZ_PNS1_23onesweep_lookback_stateEbbT6_jjT7_P12ihipStream_tbENKUlT_T0_SN_SS_E_clIPjSG_PS9_SI_EEDaS16_S17_SN_SS_EUlS16_E_NS1_11comp_targetILNS1_3genE4ELNS1_11target_archE910ELNS1_3gpuE8ELNS1_3repE0EEENS1_47radix_sort_onesweep_sort_config_static_selectorELNS0_4arch9wavefront6targetE0EEEvSN_.has_indirect_call, 0
	.section	.AMDGPU.csdata,"",@progbits
; Kernel info:
; codeLenInByte = 0
; TotalNumSgprs: 0
; NumVgprs: 0
; ScratchSize: 0
; MemoryBound: 0
; FloatMode: 240
; IeeeMode: 1
; LDSByteSize: 0 bytes/workgroup (compile time only)
; SGPRBlocks: 0
; VGPRBlocks: 0
; NumSGPRsForWavesPerEU: 1
; NumVGPRsForWavesPerEU: 1
; Occupancy: 16
; WaveLimiterHint : 0
; COMPUTE_PGM_RSRC2:SCRATCH_EN: 0
; COMPUTE_PGM_RSRC2:USER_SGPR: 2
; COMPUTE_PGM_RSRC2:TRAP_HANDLER: 0
; COMPUTE_PGM_RSRC2:TGID_X_EN: 1
; COMPUTE_PGM_RSRC2:TGID_Y_EN: 0
; COMPUTE_PGM_RSRC2:TGID_Z_EN: 0
; COMPUTE_PGM_RSRC2:TIDIG_COMP_CNT: 0
	.section	.text._ZN7rocprim17ROCPRIM_400000_NS6detail17trampoline_kernelINS0_14default_configENS1_35radix_sort_onesweep_config_selectorIjN6thrust23THRUST_200600_302600_NS5tupleIffNS6_9null_typeES8_S8_S8_S8_S8_S8_S8_EEEEZZNS1_29radix_sort_onesweep_iterationIS3_Lb0ENS6_6detail15normal_iteratorINS6_10device_ptrIjEEEESG_NSD_INSE_IS9_EEEESI_jNS0_19identity_decomposerENS1_16block_id_wrapperIjLb1EEEEE10hipError_tT1_PNSt15iterator_traitsISN_E10value_typeET2_T3_PNSO_IST_E10value_typeET4_T5_PSY_SZ_PNS1_23onesweep_lookback_stateEbbT6_jjT7_P12ihipStream_tbENKUlT_T0_SN_SS_E_clIPjSG_PS9_SI_EEDaS16_S17_SN_SS_EUlS16_E_NS1_11comp_targetILNS1_3genE3ELNS1_11target_archE908ELNS1_3gpuE7ELNS1_3repE0EEENS1_47radix_sort_onesweep_sort_config_static_selectorELNS0_4arch9wavefront6targetE0EEEvSN_,"axG",@progbits,_ZN7rocprim17ROCPRIM_400000_NS6detail17trampoline_kernelINS0_14default_configENS1_35radix_sort_onesweep_config_selectorIjN6thrust23THRUST_200600_302600_NS5tupleIffNS6_9null_typeES8_S8_S8_S8_S8_S8_S8_EEEEZZNS1_29radix_sort_onesweep_iterationIS3_Lb0ENS6_6detail15normal_iteratorINS6_10device_ptrIjEEEESG_NSD_INSE_IS9_EEEESI_jNS0_19identity_decomposerENS1_16block_id_wrapperIjLb1EEEEE10hipError_tT1_PNSt15iterator_traitsISN_E10value_typeET2_T3_PNSO_IST_E10value_typeET4_T5_PSY_SZ_PNS1_23onesweep_lookback_stateEbbT6_jjT7_P12ihipStream_tbENKUlT_T0_SN_SS_E_clIPjSG_PS9_SI_EEDaS16_S17_SN_SS_EUlS16_E_NS1_11comp_targetILNS1_3genE3ELNS1_11target_archE908ELNS1_3gpuE7ELNS1_3repE0EEENS1_47radix_sort_onesweep_sort_config_static_selectorELNS0_4arch9wavefront6targetE0EEEvSN_,comdat
	.protected	_ZN7rocprim17ROCPRIM_400000_NS6detail17trampoline_kernelINS0_14default_configENS1_35radix_sort_onesweep_config_selectorIjN6thrust23THRUST_200600_302600_NS5tupleIffNS6_9null_typeES8_S8_S8_S8_S8_S8_S8_EEEEZZNS1_29radix_sort_onesweep_iterationIS3_Lb0ENS6_6detail15normal_iteratorINS6_10device_ptrIjEEEESG_NSD_INSE_IS9_EEEESI_jNS0_19identity_decomposerENS1_16block_id_wrapperIjLb1EEEEE10hipError_tT1_PNSt15iterator_traitsISN_E10value_typeET2_T3_PNSO_IST_E10value_typeET4_T5_PSY_SZ_PNS1_23onesweep_lookback_stateEbbT6_jjT7_P12ihipStream_tbENKUlT_T0_SN_SS_E_clIPjSG_PS9_SI_EEDaS16_S17_SN_SS_EUlS16_E_NS1_11comp_targetILNS1_3genE3ELNS1_11target_archE908ELNS1_3gpuE7ELNS1_3repE0EEENS1_47radix_sort_onesweep_sort_config_static_selectorELNS0_4arch9wavefront6targetE0EEEvSN_ ; -- Begin function _ZN7rocprim17ROCPRIM_400000_NS6detail17trampoline_kernelINS0_14default_configENS1_35radix_sort_onesweep_config_selectorIjN6thrust23THRUST_200600_302600_NS5tupleIffNS6_9null_typeES8_S8_S8_S8_S8_S8_S8_EEEEZZNS1_29radix_sort_onesweep_iterationIS3_Lb0ENS6_6detail15normal_iteratorINS6_10device_ptrIjEEEESG_NSD_INSE_IS9_EEEESI_jNS0_19identity_decomposerENS1_16block_id_wrapperIjLb1EEEEE10hipError_tT1_PNSt15iterator_traitsISN_E10value_typeET2_T3_PNSO_IST_E10value_typeET4_T5_PSY_SZ_PNS1_23onesweep_lookback_stateEbbT6_jjT7_P12ihipStream_tbENKUlT_T0_SN_SS_E_clIPjSG_PS9_SI_EEDaS16_S17_SN_SS_EUlS16_E_NS1_11comp_targetILNS1_3genE3ELNS1_11target_archE908ELNS1_3gpuE7ELNS1_3repE0EEENS1_47radix_sort_onesweep_sort_config_static_selectorELNS0_4arch9wavefront6targetE0EEEvSN_
	.globl	_ZN7rocprim17ROCPRIM_400000_NS6detail17trampoline_kernelINS0_14default_configENS1_35radix_sort_onesweep_config_selectorIjN6thrust23THRUST_200600_302600_NS5tupleIffNS6_9null_typeES8_S8_S8_S8_S8_S8_S8_EEEEZZNS1_29radix_sort_onesweep_iterationIS3_Lb0ENS6_6detail15normal_iteratorINS6_10device_ptrIjEEEESG_NSD_INSE_IS9_EEEESI_jNS0_19identity_decomposerENS1_16block_id_wrapperIjLb1EEEEE10hipError_tT1_PNSt15iterator_traitsISN_E10value_typeET2_T3_PNSO_IST_E10value_typeET4_T5_PSY_SZ_PNS1_23onesweep_lookback_stateEbbT6_jjT7_P12ihipStream_tbENKUlT_T0_SN_SS_E_clIPjSG_PS9_SI_EEDaS16_S17_SN_SS_EUlS16_E_NS1_11comp_targetILNS1_3genE3ELNS1_11target_archE908ELNS1_3gpuE7ELNS1_3repE0EEENS1_47radix_sort_onesweep_sort_config_static_selectorELNS0_4arch9wavefront6targetE0EEEvSN_
	.p2align	8
	.type	_ZN7rocprim17ROCPRIM_400000_NS6detail17trampoline_kernelINS0_14default_configENS1_35radix_sort_onesweep_config_selectorIjN6thrust23THRUST_200600_302600_NS5tupleIffNS6_9null_typeES8_S8_S8_S8_S8_S8_S8_EEEEZZNS1_29radix_sort_onesweep_iterationIS3_Lb0ENS6_6detail15normal_iteratorINS6_10device_ptrIjEEEESG_NSD_INSE_IS9_EEEESI_jNS0_19identity_decomposerENS1_16block_id_wrapperIjLb1EEEEE10hipError_tT1_PNSt15iterator_traitsISN_E10value_typeET2_T3_PNSO_IST_E10value_typeET4_T5_PSY_SZ_PNS1_23onesweep_lookback_stateEbbT6_jjT7_P12ihipStream_tbENKUlT_T0_SN_SS_E_clIPjSG_PS9_SI_EEDaS16_S17_SN_SS_EUlS16_E_NS1_11comp_targetILNS1_3genE3ELNS1_11target_archE908ELNS1_3gpuE7ELNS1_3repE0EEENS1_47radix_sort_onesweep_sort_config_static_selectorELNS0_4arch9wavefront6targetE0EEEvSN_,@function
_ZN7rocprim17ROCPRIM_400000_NS6detail17trampoline_kernelINS0_14default_configENS1_35radix_sort_onesweep_config_selectorIjN6thrust23THRUST_200600_302600_NS5tupleIffNS6_9null_typeES8_S8_S8_S8_S8_S8_S8_EEEEZZNS1_29radix_sort_onesweep_iterationIS3_Lb0ENS6_6detail15normal_iteratorINS6_10device_ptrIjEEEESG_NSD_INSE_IS9_EEEESI_jNS0_19identity_decomposerENS1_16block_id_wrapperIjLb1EEEEE10hipError_tT1_PNSt15iterator_traitsISN_E10value_typeET2_T3_PNSO_IST_E10value_typeET4_T5_PSY_SZ_PNS1_23onesweep_lookback_stateEbbT6_jjT7_P12ihipStream_tbENKUlT_T0_SN_SS_E_clIPjSG_PS9_SI_EEDaS16_S17_SN_SS_EUlS16_E_NS1_11comp_targetILNS1_3genE3ELNS1_11target_archE908ELNS1_3gpuE7ELNS1_3repE0EEENS1_47radix_sort_onesweep_sort_config_static_selectorELNS0_4arch9wavefront6targetE0EEEvSN_: ; @_ZN7rocprim17ROCPRIM_400000_NS6detail17trampoline_kernelINS0_14default_configENS1_35radix_sort_onesweep_config_selectorIjN6thrust23THRUST_200600_302600_NS5tupleIffNS6_9null_typeES8_S8_S8_S8_S8_S8_S8_EEEEZZNS1_29radix_sort_onesweep_iterationIS3_Lb0ENS6_6detail15normal_iteratorINS6_10device_ptrIjEEEESG_NSD_INSE_IS9_EEEESI_jNS0_19identity_decomposerENS1_16block_id_wrapperIjLb1EEEEE10hipError_tT1_PNSt15iterator_traitsISN_E10value_typeET2_T3_PNSO_IST_E10value_typeET4_T5_PSY_SZ_PNS1_23onesweep_lookback_stateEbbT6_jjT7_P12ihipStream_tbENKUlT_T0_SN_SS_E_clIPjSG_PS9_SI_EEDaS16_S17_SN_SS_EUlS16_E_NS1_11comp_targetILNS1_3genE3ELNS1_11target_archE908ELNS1_3gpuE7ELNS1_3repE0EEENS1_47radix_sort_onesweep_sort_config_static_selectorELNS0_4arch9wavefront6targetE0EEEvSN_
; %bb.0:
	.section	.rodata,"a",@progbits
	.p2align	6, 0x0
	.amdhsa_kernel _ZN7rocprim17ROCPRIM_400000_NS6detail17trampoline_kernelINS0_14default_configENS1_35radix_sort_onesweep_config_selectorIjN6thrust23THRUST_200600_302600_NS5tupleIffNS6_9null_typeES8_S8_S8_S8_S8_S8_S8_EEEEZZNS1_29radix_sort_onesweep_iterationIS3_Lb0ENS6_6detail15normal_iteratorINS6_10device_ptrIjEEEESG_NSD_INSE_IS9_EEEESI_jNS0_19identity_decomposerENS1_16block_id_wrapperIjLb1EEEEE10hipError_tT1_PNSt15iterator_traitsISN_E10value_typeET2_T3_PNSO_IST_E10value_typeET4_T5_PSY_SZ_PNS1_23onesweep_lookback_stateEbbT6_jjT7_P12ihipStream_tbENKUlT_T0_SN_SS_E_clIPjSG_PS9_SI_EEDaS16_S17_SN_SS_EUlS16_E_NS1_11comp_targetILNS1_3genE3ELNS1_11target_archE908ELNS1_3gpuE7ELNS1_3repE0EEENS1_47radix_sort_onesweep_sort_config_static_selectorELNS0_4arch9wavefront6targetE0EEEvSN_
		.amdhsa_group_segment_fixed_size 0
		.amdhsa_private_segment_fixed_size 0
		.amdhsa_kernarg_size 88
		.amdhsa_user_sgpr_count 2
		.amdhsa_user_sgpr_dispatch_ptr 0
		.amdhsa_user_sgpr_queue_ptr 0
		.amdhsa_user_sgpr_kernarg_segment_ptr 1
		.amdhsa_user_sgpr_dispatch_id 0
		.amdhsa_user_sgpr_private_segment_size 0
		.amdhsa_wavefront_size32 1
		.amdhsa_uses_dynamic_stack 0
		.amdhsa_enable_private_segment 0
		.amdhsa_system_sgpr_workgroup_id_x 1
		.amdhsa_system_sgpr_workgroup_id_y 0
		.amdhsa_system_sgpr_workgroup_id_z 0
		.amdhsa_system_sgpr_workgroup_info 0
		.amdhsa_system_vgpr_workitem_id 0
		.amdhsa_next_free_vgpr 1
		.amdhsa_next_free_sgpr 1
		.amdhsa_reserve_vcc 0
		.amdhsa_float_round_mode_32 0
		.amdhsa_float_round_mode_16_64 0
		.amdhsa_float_denorm_mode_32 3
		.amdhsa_float_denorm_mode_16_64 3
		.amdhsa_fp16_overflow 0
		.amdhsa_workgroup_processor_mode 1
		.amdhsa_memory_ordered 1
		.amdhsa_forward_progress 1
		.amdhsa_inst_pref_size 0
		.amdhsa_round_robin_scheduling 0
		.amdhsa_exception_fp_ieee_invalid_op 0
		.amdhsa_exception_fp_denorm_src 0
		.amdhsa_exception_fp_ieee_div_zero 0
		.amdhsa_exception_fp_ieee_overflow 0
		.amdhsa_exception_fp_ieee_underflow 0
		.amdhsa_exception_fp_ieee_inexact 0
		.amdhsa_exception_int_div_zero 0
	.end_amdhsa_kernel
	.section	.text._ZN7rocprim17ROCPRIM_400000_NS6detail17trampoline_kernelINS0_14default_configENS1_35radix_sort_onesweep_config_selectorIjN6thrust23THRUST_200600_302600_NS5tupleIffNS6_9null_typeES8_S8_S8_S8_S8_S8_S8_EEEEZZNS1_29radix_sort_onesweep_iterationIS3_Lb0ENS6_6detail15normal_iteratorINS6_10device_ptrIjEEEESG_NSD_INSE_IS9_EEEESI_jNS0_19identity_decomposerENS1_16block_id_wrapperIjLb1EEEEE10hipError_tT1_PNSt15iterator_traitsISN_E10value_typeET2_T3_PNSO_IST_E10value_typeET4_T5_PSY_SZ_PNS1_23onesweep_lookback_stateEbbT6_jjT7_P12ihipStream_tbENKUlT_T0_SN_SS_E_clIPjSG_PS9_SI_EEDaS16_S17_SN_SS_EUlS16_E_NS1_11comp_targetILNS1_3genE3ELNS1_11target_archE908ELNS1_3gpuE7ELNS1_3repE0EEENS1_47radix_sort_onesweep_sort_config_static_selectorELNS0_4arch9wavefront6targetE0EEEvSN_,"axG",@progbits,_ZN7rocprim17ROCPRIM_400000_NS6detail17trampoline_kernelINS0_14default_configENS1_35radix_sort_onesweep_config_selectorIjN6thrust23THRUST_200600_302600_NS5tupleIffNS6_9null_typeES8_S8_S8_S8_S8_S8_S8_EEEEZZNS1_29radix_sort_onesweep_iterationIS3_Lb0ENS6_6detail15normal_iteratorINS6_10device_ptrIjEEEESG_NSD_INSE_IS9_EEEESI_jNS0_19identity_decomposerENS1_16block_id_wrapperIjLb1EEEEE10hipError_tT1_PNSt15iterator_traitsISN_E10value_typeET2_T3_PNSO_IST_E10value_typeET4_T5_PSY_SZ_PNS1_23onesweep_lookback_stateEbbT6_jjT7_P12ihipStream_tbENKUlT_T0_SN_SS_E_clIPjSG_PS9_SI_EEDaS16_S17_SN_SS_EUlS16_E_NS1_11comp_targetILNS1_3genE3ELNS1_11target_archE908ELNS1_3gpuE7ELNS1_3repE0EEENS1_47radix_sort_onesweep_sort_config_static_selectorELNS0_4arch9wavefront6targetE0EEEvSN_,comdat
.Lfunc_end198:
	.size	_ZN7rocprim17ROCPRIM_400000_NS6detail17trampoline_kernelINS0_14default_configENS1_35radix_sort_onesweep_config_selectorIjN6thrust23THRUST_200600_302600_NS5tupleIffNS6_9null_typeES8_S8_S8_S8_S8_S8_S8_EEEEZZNS1_29radix_sort_onesweep_iterationIS3_Lb0ENS6_6detail15normal_iteratorINS6_10device_ptrIjEEEESG_NSD_INSE_IS9_EEEESI_jNS0_19identity_decomposerENS1_16block_id_wrapperIjLb1EEEEE10hipError_tT1_PNSt15iterator_traitsISN_E10value_typeET2_T3_PNSO_IST_E10value_typeET4_T5_PSY_SZ_PNS1_23onesweep_lookback_stateEbbT6_jjT7_P12ihipStream_tbENKUlT_T0_SN_SS_E_clIPjSG_PS9_SI_EEDaS16_S17_SN_SS_EUlS16_E_NS1_11comp_targetILNS1_3genE3ELNS1_11target_archE908ELNS1_3gpuE7ELNS1_3repE0EEENS1_47radix_sort_onesweep_sort_config_static_selectorELNS0_4arch9wavefront6targetE0EEEvSN_, .Lfunc_end198-_ZN7rocprim17ROCPRIM_400000_NS6detail17trampoline_kernelINS0_14default_configENS1_35radix_sort_onesweep_config_selectorIjN6thrust23THRUST_200600_302600_NS5tupleIffNS6_9null_typeES8_S8_S8_S8_S8_S8_S8_EEEEZZNS1_29radix_sort_onesweep_iterationIS3_Lb0ENS6_6detail15normal_iteratorINS6_10device_ptrIjEEEESG_NSD_INSE_IS9_EEEESI_jNS0_19identity_decomposerENS1_16block_id_wrapperIjLb1EEEEE10hipError_tT1_PNSt15iterator_traitsISN_E10value_typeET2_T3_PNSO_IST_E10value_typeET4_T5_PSY_SZ_PNS1_23onesweep_lookback_stateEbbT6_jjT7_P12ihipStream_tbENKUlT_T0_SN_SS_E_clIPjSG_PS9_SI_EEDaS16_S17_SN_SS_EUlS16_E_NS1_11comp_targetILNS1_3genE3ELNS1_11target_archE908ELNS1_3gpuE7ELNS1_3repE0EEENS1_47radix_sort_onesweep_sort_config_static_selectorELNS0_4arch9wavefront6targetE0EEEvSN_
                                        ; -- End function
	.set _ZN7rocprim17ROCPRIM_400000_NS6detail17trampoline_kernelINS0_14default_configENS1_35radix_sort_onesweep_config_selectorIjN6thrust23THRUST_200600_302600_NS5tupleIffNS6_9null_typeES8_S8_S8_S8_S8_S8_S8_EEEEZZNS1_29radix_sort_onesweep_iterationIS3_Lb0ENS6_6detail15normal_iteratorINS6_10device_ptrIjEEEESG_NSD_INSE_IS9_EEEESI_jNS0_19identity_decomposerENS1_16block_id_wrapperIjLb1EEEEE10hipError_tT1_PNSt15iterator_traitsISN_E10value_typeET2_T3_PNSO_IST_E10value_typeET4_T5_PSY_SZ_PNS1_23onesweep_lookback_stateEbbT6_jjT7_P12ihipStream_tbENKUlT_T0_SN_SS_E_clIPjSG_PS9_SI_EEDaS16_S17_SN_SS_EUlS16_E_NS1_11comp_targetILNS1_3genE3ELNS1_11target_archE908ELNS1_3gpuE7ELNS1_3repE0EEENS1_47radix_sort_onesweep_sort_config_static_selectorELNS0_4arch9wavefront6targetE0EEEvSN_.num_vgpr, 0
	.set _ZN7rocprim17ROCPRIM_400000_NS6detail17trampoline_kernelINS0_14default_configENS1_35radix_sort_onesweep_config_selectorIjN6thrust23THRUST_200600_302600_NS5tupleIffNS6_9null_typeES8_S8_S8_S8_S8_S8_S8_EEEEZZNS1_29radix_sort_onesweep_iterationIS3_Lb0ENS6_6detail15normal_iteratorINS6_10device_ptrIjEEEESG_NSD_INSE_IS9_EEEESI_jNS0_19identity_decomposerENS1_16block_id_wrapperIjLb1EEEEE10hipError_tT1_PNSt15iterator_traitsISN_E10value_typeET2_T3_PNSO_IST_E10value_typeET4_T5_PSY_SZ_PNS1_23onesweep_lookback_stateEbbT6_jjT7_P12ihipStream_tbENKUlT_T0_SN_SS_E_clIPjSG_PS9_SI_EEDaS16_S17_SN_SS_EUlS16_E_NS1_11comp_targetILNS1_3genE3ELNS1_11target_archE908ELNS1_3gpuE7ELNS1_3repE0EEENS1_47radix_sort_onesweep_sort_config_static_selectorELNS0_4arch9wavefront6targetE0EEEvSN_.num_agpr, 0
	.set _ZN7rocprim17ROCPRIM_400000_NS6detail17trampoline_kernelINS0_14default_configENS1_35radix_sort_onesweep_config_selectorIjN6thrust23THRUST_200600_302600_NS5tupleIffNS6_9null_typeES8_S8_S8_S8_S8_S8_S8_EEEEZZNS1_29radix_sort_onesweep_iterationIS3_Lb0ENS6_6detail15normal_iteratorINS6_10device_ptrIjEEEESG_NSD_INSE_IS9_EEEESI_jNS0_19identity_decomposerENS1_16block_id_wrapperIjLb1EEEEE10hipError_tT1_PNSt15iterator_traitsISN_E10value_typeET2_T3_PNSO_IST_E10value_typeET4_T5_PSY_SZ_PNS1_23onesweep_lookback_stateEbbT6_jjT7_P12ihipStream_tbENKUlT_T0_SN_SS_E_clIPjSG_PS9_SI_EEDaS16_S17_SN_SS_EUlS16_E_NS1_11comp_targetILNS1_3genE3ELNS1_11target_archE908ELNS1_3gpuE7ELNS1_3repE0EEENS1_47radix_sort_onesweep_sort_config_static_selectorELNS0_4arch9wavefront6targetE0EEEvSN_.numbered_sgpr, 0
	.set _ZN7rocprim17ROCPRIM_400000_NS6detail17trampoline_kernelINS0_14default_configENS1_35radix_sort_onesweep_config_selectorIjN6thrust23THRUST_200600_302600_NS5tupleIffNS6_9null_typeES8_S8_S8_S8_S8_S8_S8_EEEEZZNS1_29radix_sort_onesweep_iterationIS3_Lb0ENS6_6detail15normal_iteratorINS6_10device_ptrIjEEEESG_NSD_INSE_IS9_EEEESI_jNS0_19identity_decomposerENS1_16block_id_wrapperIjLb1EEEEE10hipError_tT1_PNSt15iterator_traitsISN_E10value_typeET2_T3_PNSO_IST_E10value_typeET4_T5_PSY_SZ_PNS1_23onesweep_lookback_stateEbbT6_jjT7_P12ihipStream_tbENKUlT_T0_SN_SS_E_clIPjSG_PS9_SI_EEDaS16_S17_SN_SS_EUlS16_E_NS1_11comp_targetILNS1_3genE3ELNS1_11target_archE908ELNS1_3gpuE7ELNS1_3repE0EEENS1_47radix_sort_onesweep_sort_config_static_selectorELNS0_4arch9wavefront6targetE0EEEvSN_.num_named_barrier, 0
	.set _ZN7rocprim17ROCPRIM_400000_NS6detail17trampoline_kernelINS0_14default_configENS1_35radix_sort_onesweep_config_selectorIjN6thrust23THRUST_200600_302600_NS5tupleIffNS6_9null_typeES8_S8_S8_S8_S8_S8_S8_EEEEZZNS1_29radix_sort_onesweep_iterationIS3_Lb0ENS6_6detail15normal_iteratorINS6_10device_ptrIjEEEESG_NSD_INSE_IS9_EEEESI_jNS0_19identity_decomposerENS1_16block_id_wrapperIjLb1EEEEE10hipError_tT1_PNSt15iterator_traitsISN_E10value_typeET2_T3_PNSO_IST_E10value_typeET4_T5_PSY_SZ_PNS1_23onesweep_lookback_stateEbbT6_jjT7_P12ihipStream_tbENKUlT_T0_SN_SS_E_clIPjSG_PS9_SI_EEDaS16_S17_SN_SS_EUlS16_E_NS1_11comp_targetILNS1_3genE3ELNS1_11target_archE908ELNS1_3gpuE7ELNS1_3repE0EEENS1_47radix_sort_onesweep_sort_config_static_selectorELNS0_4arch9wavefront6targetE0EEEvSN_.private_seg_size, 0
	.set _ZN7rocprim17ROCPRIM_400000_NS6detail17trampoline_kernelINS0_14default_configENS1_35radix_sort_onesweep_config_selectorIjN6thrust23THRUST_200600_302600_NS5tupleIffNS6_9null_typeES8_S8_S8_S8_S8_S8_S8_EEEEZZNS1_29radix_sort_onesweep_iterationIS3_Lb0ENS6_6detail15normal_iteratorINS6_10device_ptrIjEEEESG_NSD_INSE_IS9_EEEESI_jNS0_19identity_decomposerENS1_16block_id_wrapperIjLb1EEEEE10hipError_tT1_PNSt15iterator_traitsISN_E10value_typeET2_T3_PNSO_IST_E10value_typeET4_T5_PSY_SZ_PNS1_23onesweep_lookback_stateEbbT6_jjT7_P12ihipStream_tbENKUlT_T0_SN_SS_E_clIPjSG_PS9_SI_EEDaS16_S17_SN_SS_EUlS16_E_NS1_11comp_targetILNS1_3genE3ELNS1_11target_archE908ELNS1_3gpuE7ELNS1_3repE0EEENS1_47radix_sort_onesweep_sort_config_static_selectorELNS0_4arch9wavefront6targetE0EEEvSN_.uses_vcc, 0
	.set _ZN7rocprim17ROCPRIM_400000_NS6detail17trampoline_kernelINS0_14default_configENS1_35radix_sort_onesweep_config_selectorIjN6thrust23THRUST_200600_302600_NS5tupleIffNS6_9null_typeES8_S8_S8_S8_S8_S8_S8_EEEEZZNS1_29radix_sort_onesweep_iterationIS3_Lb0ENS6_6detail15normal_iteratorINS6_10device_ptrIjEEEESG_NSD_INSE_IS9_EEEESI_jNS0_19identity_decomposerENS1_16block_id_wrapperIjLb1EEEEE10hipError_tT1_PNSt15iterator_traitsISN_E10value_typeET2_T3_PNSO_IST_E10value_typeET4_T5_PSY_SZ_PNS1_23onesweep_lookback_stateEbbT6_jjT7_P12ihipStream_tbENKUlT_T0_SN_SS_E_clIPjSG_PS9_SI_EEDaS16_S17_SN_SS_EUlS16_E_NS1_11comp_targetILNS1_3genE3ELNS1_11target_archE908ELNS1_3gpuE7ELNS1_3repE0EEENS1_47radix_sort_onesweep_sort_config_static_selectorELNS0_4arch9wavefront6targetE0EEEvSN_.uses_flat_scratch, 0
	.set _ZN7rocprim17ROCPRIM_400000_NS6detail17trampoline_kernelINS0_14default_configENS1_35radix_sort_onesweep_config_selectorIjN6thrust23THRUST_200600_302600_NS5tupleIffNS6_9null_typeES8_S8_S8_S8_S8_S8_S8_EEEEZZNS1_29radix_sort_onesweep_iterationIS3_Lb0ENS6_6detail15normal_iteratorINS6_10device_ptrIjEEEESG_NSD_INSE_IS9_EEEESI_jNS0_19identity_decomposerENS1_16block_id_wrapperIjLb1EEEEE10hipError_tT1_PNSt15iterator_traitsISN_E10value_typeET2_T3_PNSO_IST_E10value_typeET4_T5_PSY_SZ_PNS1_23onesweep_lookback_stateEbbT6_jjT7_P12ihipStream_tbENKUlT_T0_SN_SS_E_clIPjSG_PS9_SI_EEDaS16_S17_SN_SS_EUlS16_E_NS1_11comp_targetILNS1_3genE3ELNS1_11target_archE908ELNS1_3gpuE7ELNS1_3repE0EEENS1_47radix_sort_onesweep_sort_config_static_selectorELNS0_4arch9wavefront6targetE0EEEvSN_.has_dyn_sized_stack, 0
	.set _ZN7rocprim17ROCPRIM_400000_NS6detail17trampoline_kernelINS0_14default_configENS1_35radix_sort_onesweep_config_selectorIjN6thrust23THRUST_200600_302600_NS5tupleIffNS6_9null_typeES8_S8_S8_S8_S8_S8_S8_EEEEZZNS1_29radix_sort_onesweep_iterationIS3_Lb0ENS6_6detail15normal_iteratorINS6_10device_ptrIjEEEESG_NSD_INSE_IS9_EEEESI_jNS0_19identity_decomposerENS1_16block_id_wrapperIjLb1EEEEE10hipError_tT1_PNSt15iterator_traitsISN_E10value_typeET2_T3_PNSO_IST_E10value_typeET4_T5_PSY_SZ_PNS1_23onesweep_lookback_stateEbbT6_jjT7_P12ihipStream_tbENKUlT_T0_SN_SS_E_clIPjSG_PS9_SI_EEDaS16_S17_SN_SS_EUlS16_E_NS1_11comp_targetILNS1_3genE3ELNS1_11target_archE908ELNS1_3gpuE7ELNS1_3repE0EEENS1_47radix_sort_onesweep_sort_config_static_selectorELNS0_4arch9wavefront6targetE0EEEvSN_.has_recursion, 0
	.set _ZN7rocprim17ROCPRIM_400000_NS6detail17trampoline_kernelINS0_14default_configENS1_35radix_sort_onesweep_config_selectorIjN6thrust23THRUST_200600_302600_NS5tupleIffNS6_9null_typeES8_S8_S8_S8_S8_S8_S8_EEEEZZNS1_29radix_sort_onesweep_iterationIS3_Lb0ENS6_6detail15normal_iteratorINS6_10device_ptrIjEEEESG_NSD_INSE_IS9_EEEESI_jNS0_19identity_decomposerENS1_16block_id_wrapperIjLb1EEEEE10hipError_tT1_PNSt15iterator_traitsISN_E10value_typeET2_T3_PNSO_IST_E10value_typeET4_T5_PSY_SZ_PNS1_23onesweep_lookback_stateEbbT6_jjT7_P12ihipStream_tbENKUlT_T0_SN_SS_E_clIPjSG_PS9_SI_EEDaS16_S17_SN_SS_EUlS16_E_NS1_11comp_targetILNS1_3genE3ELNS1_11target_archE908ELNS1_3gpuE7ELNS1_3repE0EEENS1_47radix_sort_onesweep_sort_config_static_selectorELNS0_4arch9wavefront6targetE0EEEvSN_.has_indirect_call, 0
	.section	.AMDGPU.csdata,"",@progbits
; Kernel info:
; codeLenInByte = 0
; TotalNumSgprs: 0
; NumVgprs: 0
; ScratchSize: 0
; MemoryBound: 0
; FloatMode: 240
; IeeeMode: 1
; LDSByteSize: 0 bytes/workgroup (compile time only)
; SGPRBlocks: 0
; VGPRBlocks: 0
; NumSGPRsForWavesPerEU: 1
; NumVGPRsForWavesPerEU: 1
; Occupancy: 16
; WaveLimiterHint : 0
; COMPUTE_PGM_RSRC2:SCRATCH_EN: 0
; COMPUTE_PGM_RSRC2:USER_SGPR: 2
; COMPUTE_PGM_RSRC2:TRAP_HANDLER: 0
; COMPUTE_PGM_RSRC2:TGID_X_EN: 1
; COMPUTE_PGM_RSRC2:TGID_Y_EN: 0
; COMPUTE_PGM_RSRC2:TGID_Z_EN: 0
; COMPUTE_PGM_RSRC2:TIDIG_COMP_CNT: 0
	.section	.text._ZN7rocprim17ROCPRIM_400000_NS6detail17trampoline_kernelINS0_14default_configENS1_35radix_sort_onesweep_config_selectorIjN6thrust23THRUST_200600_302600_NS5tupleIffNS6_9null_typeES8_S8_S8_S8_S8_S8_S8_EEEEZZNS1_29radix_sort_onesweep_iterationIS3_Lb0ENS6_6detail15normal_iteratorINS6_10device_ptrIjEEEESG_NSD_INSE_IS9_EEEESI_jNS0_19identity_decomposerENS1_16block_id_wrapperIjLb1EEEEE10hipError_tT1_PNSt15iterator_traitsISN_E10value_typeET2_T3_PNSO_IST_E10value_typeET4_T5_PSY_SZ_PNS1_23onesweep_lookback_stateEbbT6_jjT7_P12ihipStream_tbENKUlT_T0_SN_SS_E_clIPjSG_PS9_SI_EEDaS16_S17_SN_SS_EUlS16_E_NS1_11comp_targetILNS1_3genE10ELNS1_11target_archE1201ELNS1_3gpuE5ELNS1_3repE0EEENS1_47radix_sort_onesweep_sort_config_static_selectorELNS0_4arch9wavefront6targetE0EEEvSN_,"axG",@progbits,_ZN7rocprim17ROCPRIM_400000_NS6detail17trampoline_kernelINS0_14default_configENS1_35radix_sort_onesweep_config_selectorIjN6thrust23THRUST_200600_302600_NS5tupleIffNS6_9null_typeES8_S8_S8_S8_S8_S8_S8_EEEEZZNS1_29radix_sort_onesweep_iterationIS3_Lb0ENS6_6detail15normal_iteratorINS6_10device_ptrIjEEEESG_NSD_INSE_IS9_EEEESI_jNS0_19identity_decomposerENS1_16block_id_wrapperIjLb1EEEEE10hipError_tT1_PNSt15iterator_traitsISN_E10value_typeET2_T3_PNSO_IST_E10value_typeET4_T5_PSY_SZ_PNS1_23onesweep_lookback_stateEbbT6_jjT7_P12ihipStream_tbENKUlT_T0_SN_SS_E_clIPjSG_PS9_SI_EEDaS16_S17_SN_SS_EUlS16_E_NS1_11comp_targetILNS1_3genE10ELNS1_11target_archE1201ELNS1_3gpuE5ELNS1_3repE0EEENS1_47radix_sort_onesweep_sort_config_static_selectorELNS0_4arch9wavefront6targetE0EEEvSN_,comdat
	.protected	_ZN7rocprim17ROCPRIM_400000_NS6detail17trampoline_kernelINS0_14default_configENS1_35radix_sort_onesweep_config_selectorIjN6thrust23THRUST_200600_302600_NS5tupleIffNS6_9null_typeES8_S8_S8_S8_S8_S8_S8_EEEEZZNS1_29radix_sort_onesweep_iterationIS3_Lb0ENS6_6detail15normal_iteratorINS6_10device_ptrIjEEEESG_NSD_INSE_IS9_EEEESI_jNS0_19identity_decomposerENS1_16block_id_wrapperIjLb1EEEEE10hipError_tT1_PNSt15iterator_traitsISN_E10value_typeET2_T3_PNSO_IST_E10value_typeET4_T5_PSY_SZ_PNS1_23onesweep_lookback_stateEbbT6_jjT7_P12ihipStream_tbENKUlT_T0_SN_SS_E_clIPjSG_PS9_SI_EEDaS16_S17_SN_SS_EUlS16_E_NS1_11comp_targetILNS1_3genE10ELNS1_11target_archE1201ELNS1_3gpuE5ELNS1_3repE0EEENS1_47radix_sort_onesweep_sort_config_static_selectorELNS0_4arch9wavefront6targetE0EEEvSN_ ; -- Begin function _ZN7rocprim17ROCPRIM_400000_NS6detail17trampoline_kernelINS0_14default_configENS1_35radix_sort_onesweep_config_selectorIjN6thrust23THRUST_200600_302600_NS5tupleIffNS6_9null_typeES8_S8_S8_S8_S8_S8_S8_EEEEZZNS1_29radix_sort_onesweep_iterationIS3_Lb0ENS6_6detail15normal_iteratorINS6_10device_ptrIjEEEESG_NSD_INSE_IS9_EEEESI_jNS0_19identity_decomposerENS1_16block_id_wrapperIjLb1EEEEE10hipError_tT1_PNSt15iterator_traitsISN_E10value_typeET2_T3_PNSO_IST_E10value_typeET4_T5_PSY_SZ_PNS1_23onesweep_lookback_stateEbbT6_jjT7_P12ihipStream_tbENKUlT_T0_SN_SS_E_clIPjSG_PS9_SI_EEDaS16_S17_SN_SS_EUlS16_E_NS1_11comp_targetILNS1_3genE10ELNS1_11target_archE1201ELNS1_3gpuE5ELNS1_3repE0EEENS1_47radix_sort_onesweep_sort_config_static_selectorELNS0_4arch9wavefront6targetE0EEEvSN_
	.globl	_ZN7rocprim17ROCPRIM_400000_NS6detail17trampoline_kernelINS0_14default_configENS1_35radix_sort_onesweep_config_selectorIjN6thrust23THRUST_200600_302600_NS5tupleIffNS6_9null_typeES8_S8_S8_S8_S8_S8_S8_EEEEZZNS1_29radix_sort_onesweep_iterationIS3_Lb0ENS6_6detail15normal_iteratorINS6_10device_ptrIjEEEESG_NSD_INSE_IS9_EEEESI_jNS0_19identity_decomposerENS1_16block_id_wrapperIjLb1EEEEE10hipError_tT1_PNSt15iterator_traitsISN_E10value_typeET2_T3_PNSO_IST_E10value_typeET4_T5_PSY_SZ_PNS1_23onesweep_lookback_stateEbbT6_jjT7_P12ihipStream_tbENKUlT_T0_SN_SS_E_clIPjSG_PS9_SI_EEDaS16_S17_SN_SS_EUlS16_E_NS1_11comp_targetILNS1_3genE10ELNS1_11target_archE1201ELNS1_3gpuE5ELNS1_3repE0EEENS1_47radix_sort_onesweep_sort_config_static_selectorELNS0_4arch9wavefront6targetE0EEEvSN_
	.p2align	8
	.type	_ZN7rocprim17ROCPRIM_400000_NS6detail17trampoline_kernelINS0_14default_configENS1_35radix_sort_onesweep_config_selectorIjN6thrust23THRUST_200600_302600_NS5tupleIffNS6_9null_typeES8_S8_S8_S8_S8_S8_S8_EEEEZZNS1_29radix_sort_onesweep_iterationIS3_Lb0ENS6_6detail15normal_iteratorINS6_10device_ptrIjEEEESG_NSD_INSE_IS9_EEEESI_jNS0_19identity_decomposerENS1_16block_id_wrapperIjLb1EEEEE10hipError_tT1_PNSt15iterator_traitsISN_E10value_typeET2_T3_PNSO_IST_E10value_typeET4_T5_PSY_SZ_PNS1_23onesweep_lookback_stateEbbT6_jjT7_P12ihipStream_tbENKUlT_T0_SN_SS_E_clIPjSG_PS9_SI_EEDaS16_S17_SN_SS_EUlS16_E_NS1_11comp_targetILNS1_3genE10ELNS1_11target_archE1201ELNS1_3gpuE5ELNS1_3repE0EEENS1_47radix_sort_onesweep_sort_config_static_selectorELNS0_4arch9wavefront6targetE0EEEvSN_,@function
_ZN7rocprim17ROCPRIM_400000_NS6detail17trampoline_kernelINS0_14default_configENS1_35radix_sort_onesweep_config_selectorIjN6thrust23THRUST_200600_302600_NS5tupleIffNS6_9null_typeES8_S8_S8_S8_S8_S8_S8_EEEEZZNS1_29radix_sort_onesweep_iterationIS3_Lb0ENS6_6detail15normal_iteratorINS6_10device_ptrIjEEEESG_NSD_INSE_IS9_EEEESI_jNS0_19identity_decomposerENS1_16block_id_wrapperIjLb1EEEEE10hipError_tT1_PNSt15iterator_traitsISN_E10value_typeET2_T3_PNSO_IST_E10value_typeET4_T5_PSY_SZ_PNS1_23onesweep_lookback_stateEbbT6_jjT7_P12ihipStream_tbENKUlT_T0_SN_SS_E_clIPjSG_PS9_SI_EEDaS16_S17_SN_SS_EUlS16_E_NS1_11comp_targetILNS1_3genE10ELNS1_11target_archE1201ELNS1_3gpuE5ELNS1_3repE0EEENS1_47radix_sort_onesweep_sort_config_static_selectorELNS0_4arch9wavefront6targetE0EEEvSN_: ; @_ZN7rocprim17ROCPRIM_400000_NS6detail17trampoline_kernelINS0_14default_configENS1_35radix_sort_onesweep_config_selectorIjN6thrust23THRUST_200600_302600_NS5tupleIffNS6_9null_typeES8_S8_S8_S8_S8_S8_S8_EEEEZZNS1_29radix_sort_onesweep_iterationIS3_Lb0ENS6_6detail15normal_iteratorINS6_10device_ptrIjEEEESG_NSD_INSE_IS9_EEEESI_jNS0_19identity_decomposerENS1_16block_id_wrapperIjLb1EEEEE10hipError_tT1_PNSt15iterator_traitsISN_E10value_typeET2_T3_PNSO_IST_E10value_typeET4_T5_PSY_SZ_PNS1_23onesweep_lookback_stateEbbT6_jjT7_P12ihipStream_tbENKUlT_T0_SN_SS_E_clIPjSG_PS9_SI_EEDaS16_S17_SN_SS_EUlS16_E_NS1_11comp_targetILNS1_3genE10ELNS1_11target_archE1201ELNS1_3gpuE5ELNS1_3repE0EEENS1_47radix_sort_onesweep_sort_config_static_selectorELNS0_4arch9wavefront6targetE0EEEvSN_
; %bb.0:
	s_clause 0x1
	s_load_b128 s[28:31], s[0:1], 0x28
	s_load_b64 s[26:27], s[0:1], 0x38
	v_and_b32_e32 v1, 0x3ff, v0
	s_delay_alu instid0(VALU_DEP_1)
	v_cmp_eq_u32_e64 s2, 0, v1
	s_and_saveexec_b32 s3, s2
	s_cbranch_execz .LBB199_4
; %bb.1:
	s_mov_b32 s5, exec_lo
	s_mov_b32 s4, exec_lo
	v_mbcnt_lo_u32_b32 v2, s5, 0
                                        ; implicit-def: $vgpr3
	s_delay_alu instid0(VALU_DEP_1)
	v_cmpx_eq_u32_e32 0, v2
	s_cbranch_execz .LBB199_3
; %bb.2:
	s_load_b64 s[6:7], s[0:1], 0x50
	s_bcnt1_i32_b32 s5, s5
	s_wait_alu 0xfffe
	v_dual_mov_b32 v3, 0 :: v_dual_mov_b32 v4, s5
	s_wait_kmcnt 0x0
	global_atomic_add_u32 v3, v3, v4, s[6:7] th:TH_ATOMIC_RETURN scope:SCOPE_DEV
.LBB199_3:
	s_or_b32 exec_lo, exec_lo, s4
	s_wait_loadcnt 0x0
	v_readfirstlane_b32 s4, v3
	s_wait_alu 0xf1ff
	s_delay_alu instid0(VALU_DEP_1)
	v_dual_mov_b32 v3, 0 :: v_dual_add_nc_u32 v2, s4, v2
	ds_store_b32 v3, v2 offset:36992
.LBB199_4:
	s_or_b32 exec_lo, exec_lo, s3
	v_dual_mov_b32 v2, 0 :: v_dual_lshlrev_b32 v37, 4, v1
	s_clause 0x2
	s_load_b256 s[36:43], s[0:1], 0x0
	s_load_b32 s3, s[0:1], 0x20
	s_load_b96 s[44:46], s[0:1], 0x44
	s_wait_dscnt 0x0
	s_barrier_signal -1
	s_barrier_wait -1
	global_inv scope:SCOPE_SE
	ds_load_b32 v2, v2 offset:36992
	v_mbcnt_lo_u32_b32 v36, -1, 0
	s_mov_b32 s4, -1
	s_add_nc_u64 s[34:35], s[0:1], 0x58
	s_wait_loadcnt_dscnt 0x0
	s_barrier_signal -1
	s_barrier_wait -1
	global_inv scope:SCOPE_SE
	s_wait_kmcnt 0x0
	v_cmp_le_u32_e32 vcc_lo, s46, v2
	v_readfirstlane_b32 s25, v2
	s_cbranch_vccz .LBB199_152
; %bb.5:
	s_lshl_b32 s4, s46, 14
	s_lshl_b32 s46, s25, 14
	s_mov_b32 s47, 0
	v_dual_mov_b32 v11, -1 :: v_dual_and_b32 v10, 0x3e00, v37
	v_lshlrev_b32_e32 v2, 2, v36
	s_wait_alu 0xfffe
	s_sub_co_i32 s33, s3, s4
	s_lshl_b64 s[4:5], s[46:47], 2
	v_dual_mov_b32 v12, -1 :: v_dual_lshlrev_b32 v3, 2, v10
	s_wait_alu 0xfffe
	s_add_nc_u64 s[4:5], s[36:37], s[4:5]
	v_or_b32_e32 v4, v36, v10
	s_wait_alu 0xfffe
	v_add_co_u32 v2, s3, s4, v2
	s_delay_alu instid0(VALU_DEP_1) | instskip(NEXT) | instid1(VALU_DEP_3)
	v_add_co_ci_u32_e64 v5, null, s5, 0, s3
	v_cmp_gt_u32_e64 s18, s33, v4
	s_delay_alu instid0(VALU_DEP_3) | instskip(NEXT) | instid1(VALU_DEP_1)
	v_add_co_u32 v2, vcc_lo, v2, v3
	v_add_co_ci_u32_e64 v3, null, 0, v5, vcc_lo
	s_and_saveexec_b32 s3, s18
	s_cbranch_execz .LBB199_7
; %bb.6:
	global_load_b32 v12, v[2:3], off
.LBB199_7:
	s_wait_alu 0xfffe
	s_or_b32 exec_lo, exec_lo, s3
	v_or_b32_e32 v5, 32, v4
	s_delay_alu instid0(VALU_DEP_1)
	v_cmp_gt_u32_e64 s17, s33, v5
	s_and_saveexec_b32 s3, s17
	s_cbranch_execz .LBB199_9
; %bb.8:
	global_load_b32 v11, v[2:3], off offset:128
.LBB199_9:
	s_wait_alu 0xfffe
	s_or_b32 exec_lo, exec_lo, s3
	v_or_b32_e32 v5, 64, v4
	v_dual_mov_b32 v13, -1 :: v_dual_mov_b32 v14, -1
	s_delay_alu instid0(VALU_DEP_2)
	v_cmp_gt_u32_e64 s16, s33, v5
	s_and_saveexec_b32 s3, s16
	s_cbranch_execz .LBB199_11
; %bb.10:
	global_load_b32 v14, v[2:3], off offset:256
.LBB199_11:
	s_wait_alu 0xfffe
	s_or_b32 exec_lo, exec_lo, s3
	v_or_b32_e32 v5, 0x60, v4
	s_delay_alu instid0(VALU_DEP_1)
	v_cmp_gt_u32_e64 s15, s33, v5
	s_and_saveexec_b32 s3, s15
	s_cbranch_execz .LBB199_13
; %bb.12:
	global_load_b32 v13, v[2:3], off offset:384
.LBB199_13:
	s_wait_alu 0xfffe
	s_or_b32 exec_lo, exec_lo, s3
	v_or_b32_e32 v5, 0x80, v4
	v_dual_mov_b32 v15, -1 :: v_dual_mov_b32 v16, -1
	s_delay_alu instid0(VALU_DEP_2)
	v_cmp_gt_u32_e64 s14, s33, v5
	s_and_saveexec_b32 s3, s14
	s_cbranch_execz .LBB199_15
; %bb.14:
	global_load_b32 v16, v[2:3], off offset:512
.LBB199_15:
	;; [unrolled: 21-line block ×7, first 2 shown]
	s_wait_alu 0xfffe
	s_or_b32 exec_lo, exec_lo, s3
	v_or_b32_e32 v4, 0x1e0, v4
	s_delay_alu instid0(VALU_DEP_1)
	v_cmp_gt_u32_e64 s3, s33, v4
	s_and_saveexec_b32 s19, s3
	s_cbranch_execz .LBB199_37
; %bb.36:
	global_load_b32 v25, v[2:3], off offset:1920
.LBB199_37:
	s_or_b32 exec_lo, exec_lo, s19
	s_clause 0x1
	s_load_b32 s48, s[0:1], 0x58
	s_load_u16 s22, s[0:1], 0x66
	s_wait_loadcnt 0x0
	v_lshrrev_b32_e32 v2, s44, v12
	s_mov_b32 s21, 0
	v_mul_u32_u24_e32 v30, 36, v1
	s_wait_kmcnt 0x0
	s_cmp_lt_u32 ttmp9, s48
	s_cselect_b32 s20, 12, 18
	s_lshl_b32 s19, -1, s45
	s_add_nc_u64 s[20:21], s[34:35], s[20:21]
	s_not_b32 s49, s19
	s_load_u16 s20, s[20:21], 0x0
	v_and_b32_e32 v4, s49, v2
	v_bfe_u32 v2, v0, 10, 10
	s_delay_alu instid0(VALU_DEP_2)
	v_and_b32_e32 v3, 1, v4
	v_lshlrev_b32_e32 v5, 30, v4
	v_lshlrev_b32_e32 v6, 29, v4
	;; [unrolled: 1-line block ×4, first 2 shown]
	v_add_co_u32 v3, s19, v3, -1
	s_delay_alu instid0(VALU_DEP_1) | instskip(SKIP_3) | instid1(VALU_DEP_4)
	v_cndmask_b32_e64 v8, 0, 1, s19
	v_not_b32_e32 v29, v5
	v_cmp_gt_i32_e64 s19, 0, v5
	v_not_b32_e32 v5, v6
	v_cmp_ne_u32_e32 vcc_lo, 0, v8
	s_delay_alu instid0(VALU_DEP_4) | instskip(NEXT) | instid1(VALU_DEP_3)
	v_ashrrev_i32_e32 v29, 31, v29
	v_ashrrev_i32_e32 v5, 31, v5
	s_wait_alu 0xfffd
	v_xor_b32_e32 v3, vcc_lo, v3
	v_cmp_gt_i32_e32 vcc_lo, 0, v6
	v_not_b32_e32 v6, v7
	s_wait_alu 0xf1ff
	v_xor_b32_e32 v29, s19, v29
	v_cmp_gt_i32_e64 s19, 0, v7
	v_and_b32_e32 v3, exec_lo, v3
	v_not_b32_e32 v7, v9
	v_ashrrev_i32_e32 v6, 31, v6
	s_wait_alu 0xfffd
	v_xor_b32_e32 v5, vcc_lo, v5
	v_cmp_gt_i32_e32 vcc_lo, 0, v9
	v_and_b32_e32 v3, v3, v29
	v_ashrrev_i32_e32 v7, 31, v7
	s_wait_alu 0xf1ff
	v_xor_b32_e32 v6, s19, v6
	s_delay_alu instid0(VALU_DEP_3) | instskip(SKIP_2) | instid1(VALU_DEP_2)
	v_and_b32_e32 v3, v3, v5
	s_wait_alu 0xfffd
	v_xor_b32_e32 v7, vcc_lo, v7
	v_and_b32_e32 v3, v3, v6
	s_delay_alu instid0(VALU_DEP_1) | instskip(SKIP_1) | instid1(VALU_DEP_1)
	v_and_b32_e32 v3, v3, v7
	v_bfe_u32 v7, v0, 20, 10
	v_mad_u32_u24 v2, v7, s22, v2
	v_mov_b32_e32 v7, 0
	v_lshlrev_b32_e32 v27, 26, v4
	v_lshlrev_b32_e32 v28, 25, v4
	;; [unrolled: 1-line block ×3, first 2 shown]
	v_mul_lo_u32 v4, 0x84, v4
	ds_store_2addr_b32 v30, v7, v7 offset0:32 offset1:33
	ds_store_2addr_b32 v30, v7, v7 offset0:34 offset1:35
	;; [unrolled: 1-line block ×4, first 2 shown]
	v_not_b32_e32 v9, v27
	v_cmp_gt_i32_e64 s19, 0, v27
	v_not_b32_e32 v5, v28
	v_cmp_gt_i32_e32 vcc_lo, 0, v28
	v_not_b32_e32 v6, v8
	v_ashrrev_i32_e32 v9, 31, v9
	ds_store_b32 v30, v7 offset:160
	v_ashrrev_i32_e32 v5, 31, v5
	s_wait_dscnt 0x0
	v_ashrrev_i32_e32 v6, 31, v6
	s_wait_alu 0xf1ff
	v_xor_b32_e32 v9, s19, v9
	v_cmp_gt_i32_e64 s19, 0, v8
	s_wait_alu 0xfffd
	v_xor_b32_e32 v5, vcc_lo, v5
	s_barrier_signal -1
	s_barrier_wait -1
	v_and_b32_e32 v3, v3, v9
	s_wait_alu 0xf1ff
	v_xor_b32_e32 v6, s19, v6
	global_inv scope:SCOPE_SE
	; wave barrier
	v_and_b32_e32 v5, v3, v5
	s_wait_kmcnt 0x0
	v_mad_co_u64_u32 v[2:3], null, v2, s20, v[1:2]
	s_delay_alu instid0(VALU_DEP_2) | instskip(NEXT) | instid1(VALU_DEP_2)
	v_and_b32_e32 v3, v5, v6
	v_lshrrev_b32_e32 v2, 3, v2
	s_delay_alu instid0(VALU_DEP_2) | instskip(SKIP_1) | instid1(VALU_DEP_3)
	v_mbcnt_lo_u32_b32 v27, v3, 0
	v_cmp_ne_u32_e64 s19, 0, v3
	v_and_b32_e32 v2, 0x1ffffffc, v2
	s_delay_alu instid0(VALU_DEP_3) | instskip(NEXT) | instid1(VALU_DEP_2)
	v_cmp_eq_u32_e32 vcc_lo, 0, v27
	v_add_nc_u32_e32 v31, v2, v4
	s_and_b32 s20, s19, vcc_lo
	s_wait_alu 0xfffe
	s_and_saveexec_b32 s19, s20
; %bb.38:
	v_bcnt_u32_b32 v3, v3, 0
	ds_store_b32 v31, v3 offset:128
; %bb.39:
	s_wait_alu 0xfffe
	s_or_b32 exec_lo, exec_lo, s19
	v_lshrrev_b32_e32 v3, s44, v11
	; wave barrier
	s_delay_alu instid0(VALU_DEP_1) | instskip(NEXT) | instid1(VALU_DEP_1)
	v_and_b32_e32 v3, s49, v3
	v_and_b32_e32 v5, 1, v3
	v_lshlrev_b32_e32 v6, 30, v3
	v_lshlrev_b32_e32 v7, 29, v3
	;; [unrolled: 1-line block ×4, first 2 shown]
	v_add_co_u32 v5, s19, v5, -1
	s_wait_alu 0xf1ff
	v_cndmask_b32_e64 v9, 0, 1, s19
	v_not_b32_e32 v33, v6
	v_cmp_gt_i32_e64 s19, 0, v6
	v_not_b32_e32 v6, v7
	v_lshlrev_b32_e32 v29, 26, v3
	v_cmp_ne_u32_e32 vcc_lo, 0, v9
	v_ashrrev_i32_e32 v9, 31, v33
	v_lshlrev_b32_e32 v32, 25, v3
	v_ashrrev_i32_e32 v6, 31, v6
	v_mul_lo_u32 v4, 0x84, v3
	s_wait_alu 0xfffd
	v_xor_b32_e32 v5, vcc_lo, v5
	v_cmp_gt_i32_e32 vcc_lo, 0, v7
	v_not_b32_e32 v7, v8
	s_wait_alu 0xf1ff
	v_xor_b32_e32 v9, s19, v9
	v_cmp_gt_i32_e64 s19, 0, v8
	v_and_b32_e32 v5, exec_lo, v5
	v_not_b32_e32 v8, v28
	v_ashrrev_i32_e32 v7, 31, v7
	s_wait_alu 0xfffd
	v_xor_b32_e32 v6, vcc_lo, v6
	v_cmp_gt_i32_e32 vcc_lo, 0, v28
	v_and_b32_e32 v5, v5, v9
	v_not_b32_e32 v9, v29
	v_ashrrev_i32_e32 v8, 31, v8
	s_wait_alu 0xf1ff
	v_xor_b32_e32 v7, s19, v7
	v_lshlrev_b32_e32 v3, 24, v3
	v_and_b32_e32 v5, v5, v6
	v_cmp_gt_i32_e64 s19, 0, v29
	v_not_b32_e32 v6, v32
	v_ashrrev_i32_e32 v9, 31, v9
	s_wait_alu 0xfffd
	v_xor_b32_e32 v8, vcc_lo, v8
	v_and_b32_e32 v5, v5, v7
	v_cmp_gt_i32_e32 vcc_lo, 0, v32
	v_not_b32_e32 v7, v3
	v_ashrrev_i32_e32 v6, 31, v6
	s_wait_alu 0xf1ff
	v_xor_b32_e32 v9, s19, v9
	v_and_b32_e32 v5, v5, v8
	v_cmp_gt_i32_e64 s19, 0, v3
	v_ashrrev_i32_e32 v3, 31, v7
	s_wait_alu 0xfffd
	v_xor_b32_e32 v6, vcc_lo, v6
	v_add_nc_u32_e32 v34, v2, v4
	v_and_b32_e32 v5, v5, v9
	s_wait_alu 0xf1ff
	v_xor_b32_e32 v3, s19, v3
	ds_load_b32 v28, v34 offset:128
	v_and_b32_e32 v4, v5, v6
	; wave barrier
	s_delay_alu instid0(VALU_DEP_1) | instskip(NEXT) | instid1(VALU_DEP_1)
	v_and_b32_e32 v3, v4, v3
	v_mbcnt_lo_u32_b32 v29, v3, 0
	v_cmp_ne_u32_e64 s19, 0, v3
	s_delay_alu instid0(VALU_DEP_2)
	v_cmp_eq_u32_e32 vcc_lo, 0, v29
	s_and_b32 s20, s19, vcc_lo
	s_wait_alu 0xfffe
	s_and_saveexec_b32 s19, s20
	s_cbranch_execz .LBB199_41
; %bb.40:
	s_wait_dscnt 0x0
	v_bcnt_u32_b32 v3, v3, v28
	ds_store_b32 v34, v3 offset:128
.LBB199_41:
	s_wait_alu 0xfffe
	s_or_b32 exec_lo, exec_lo, s19
	v_lshrrev_b32_e32 v3, s44, v14
	; wave barrier
	s_delay_alu instid0(VALU_DEP_1) | instskip(NEXT) | instid1(VALU_DEP_1)
	v_and_b32_e32 v3, s49, v3
	v_and_b32_e32 v5, 1, v3
	v_lshlrev_b32_e32 v6, 30, v3
	v_lshlrev_b32_e32 v7, 29, v3
	;; [unrolled: 1-line block ×4, first 2 shown]
	v_add_co_u32 v5, s19, v5, -1
	s_wait_alu 0xf1ff
	v_cndmask_b32_e64 v9, 0, 1, s19
	v_not_b32_e32 v38, v6
	v_cmp_gt_i32_e64 s19, 0, v6
	v_not_b32_e32 v6, v7
	v_lshlrev_b32_e32 v33, 26, v3
	v_cmp_ne_u32_e32 vcc_lo, 0, v9
	v_ashrrev_i32_e32 v9, 31, v38
	v_lshlrev_b32_e32 v35, 25, v3
	v_ashrrev_i32_e32 v6, 31, v6
	v_mul_lo_u32 v4, 0x84, v3
	s_wait_alu 0xfffd
	v_xor_b32_e32 v5, vcc_lo, v5
	v_cmp_gt_i32_e32 vcc_lo, 0, v7
	v_not_b32_e32 v7, v8
	s_wait_alu 0xf1ff
	v_xor_b32_e32 v9, s19, v9
	v_cmp_gt_i32_e64 s19, 0, v8
	v_and_b32_e32 v5, exec_lo, v5
	v_not_b32_e32 v8, v32
	v_ashrrev_i32_e32 v7, 31, v7
	s_wait_alu 0xfffd
	v_xor_b32_e32 v6, vcc_lo, v6
	v_cmp_gt_i32_e32 vcc_lo, 0, v32
	v_and_b32_e32 v5, v5, v9
	v_not_b32_e32 v9, v33
	v_ashrrev_i32_e32 v8, 31, v8
	s_wait_alu 0xf1ff
	v_xor_b32_e32 v7, s19, v7
	v_lshlrev_b32_e32 v3, 24, v3
	v_and_b32_e32 v5, v5, v6
	v_cmp_gt_i32_e64 s19, 0, v33
	v_not_b32_e32 v6, v35
	v_ashrrev_i32_e32 v9, 31, v9
	s_wait_alu 0xfffd
	v_xor_b32_e32 v8, vcc_lo, v8
	v_and_b32_e32 v5, v5, v7
	v_cmp_gt_i32_e32 vcc_lo, 0, v35
	v_not_b32_e32 v7, v3
	v_ashrrev_i32_e32 v6, 31, v6
	s_wait_alu 0xf1ff
	v_xor_b32_e32 v9, s19, v9
	v_and_b32_e32 v5, v5, v8
	v_cmp_gt_i32_e64 s19, 0, v3
	v_ashrrev_i32_e32 v3, 31, v7
	s_wait_alu 0xfffd
	v_xor_b32_e32 v6, vcc_lo, v6
	v_add_nc_u32_e32 v39, v2, v4
	v_and_b32_e32 v5, v5, v9
	s_wait_alu 0xf1ff
	v_xor_b32_e32 v3, s19, v3
	ds_load_b32 v32, v39 offset:128
	v_and_b32_e32 v4, v5, v6
	; wave barrier
	s_delay_alu instid0(VALU_DEP_1) | instskip(NEXT) | instid1(VALU_DEP_1)
	v_and_b32_e32 v3, v4, v3
	v_mbcnt_lo_u32_b32 v33, v3, 0
	v_cmp_ne_u32_e64 s19, 0, v3
	s_delay_alu instid0(VALU_DEP_2)
	v_cmp_eq_u32_e32 vcc_lo, 0, v33
	s_and_b32 s20, s19, vcc_lo
	s_wait_alu 0xfffe
	s_and_saveexec_b32 s19, s20
	s_cbranch_execz .LBB199_43
; %bb.42:
	s_wait_dscnt 0x0
	v_bcnt_u32_b32 v3, v3, v32
	ds_store_b32 v39, v3 offset:128
.LBB199_43:
	s_wait_alu 0xfffe
	s_or_b32 exec_lo, exec_lo, s19
	v_lshrrev_b32_e32 v3, s44, v13
	; wave barrier
	s_delay_alu instid0(VALU_DEP_1) | instskip(NEXT) | instid1(VALU_DEP_1)
	v_and_b32_e32 v3, s49, v3
	v_and_b32_e32 v5, 1, v3
	v_lshlrev_b32_e32 v6, 30, v3
	v_lshlrev_b32_e32 v7, 29, v3
	;; [unrolled: 1-line block ×4, first 2 shown]
	v_add_co_u32 v5, s19, v5, -1
	s_wait_alu 0xf1ff
	v_cndmask_b32_e64 v9, 0, 1, s19
	v_not_b32_e32 v41, v6
	v_cmp_gt_i32_e64 s19, 0, v6
	v_not_b32_e32 v6, v7
	v_lshlrev_b32_e32 v38, 26, v3
	v_cmp_ne_u32_e32 vcc_lo, 0, v9
	v_ashrrev_i32_e32 v9, 31, v41
	v_lshlrev_b32_e32 v40, 25, v3
	v_ashrrev_i32_e32 v6, 31, v6
	v_mul_lo_u32 v4, 0x84, v3
	s_wait_alu 0xfffd
	v_xor_b32_e32 v5, vcc_lo, v5
	v_cmp_gt_i32_e32 vcc_lo, 0, v7
	v_not_b32_e32 v7, v8
	s_wait_alu 0xf1ff
	v_xor_b32_e32 v9, s19, v9
	v_cmp_gt_i32_e64 s19, 0, v8
	v_and_b32_e32 v5, exec_lo, v5
	v_not_b32_e32 v8, v35
	v_ashrrev_i32_e32 v7, 31, v7
	s_wait_alu 0xfffd
	v_xor_b32_e32 v6, vcc_lo, v6
	v_cmp_gt_i32_e32 vcc_lo, 0, v35
	v_and_b32_e32 v5, v5, v9
	v_not_b32_e32 v9, v38
	v_ashrrev_i32_e32 v8, 31, v8
	s_wait_alu 0xf1ff
	v_xor_b32_e32 v7, s19, v7
	v_lshlrev_b32_e32 v3, 24, v3
	v_and_b32_e32 v5, v5, v6
	v_cmp_gt_i32_e64 s19, 0, v38
	v_not_b32_e32 v6, v40
	v_ashrrev_i32_e32 v9, 31, v9
	s_wait_alu 0xfffd
	v_xor_b32_e32 v8, vcc_lo, v8
	v_and_b32_e32 v5, v5, v7
	v_cmp_gt_i32_e32 vcc_lo, 0, v40
	v_not_b32_e32 v7, v3
	v_ashrrev_i32_e32 v6, 31, v6
	s_wait_alu 0xf1ff
	v_xor_b32_e32 v9, s19, v9
	v_and_b32_e32 v5, v5, v8
	v_cmp_gt_i32_e64 s19, 0, v3
	v_ashrrev_i32_e32 v3, 31, v7
	s_wait_alu 0xfffd
	v_xor_b32_e32 v6, vcc_lo, v6
	v_add_nc_u32_e32 v42, v2, v4
	v_and_b32_e32 v5, v5, v9
	s_wait_alu 0xf1ff
	v_xor_b32_e32 v3, s19, v3
	ds_load_b32 v35, v42 offset:128
	v_and_b32_e32 v4, v5, v6
	; wave barrier
	s_delay_alu instid0(VALU_DEP_1) | instskip(NEXT) | instid1(VALU_DEP_1)
	v_and_b32_e32 v3, v4, v3
	v_mbcnt_lo_u32_b32 v38, v3, 0
	v_cmp_ne_u32_e64 s19, 0, v3
	s_delay_alu instid0(VALU_DEP_2)
	v_cmp_eq_u32_e32 vcc_lo, 0, v38
	s_and_b32 s20, s19, vcc_lo
	s_wait_alu 0xfffe
	s_and_saveexec_b32 s19, s20
	s_cbranch_execz .LBB199_45
; %bb.44:
	s_wait_dscnt 0x0
	v_bcnt_u32_b32 v3, v3, v35
	ds_store_b32 v42, v3 offset:128
.LBB199_45:
	s_wait_alu 0xfffe
	s_or_b32 exec_lo, exec_lo, s19
	v_lshrrev_b32_e32 v3, s44, v16
	; wave barrier
	s_delay_alu instid0(VALU_DEP_1) | instskip(NEXT) | instid1(VALU_DEP_1)
	v_and_b32_e32 v3, s49, v3
	v_and_b32_e32 v5, 1, v3
	v_lshlrev_b32_e32 v6, 30, v3
	v_lshlrev_b32_e32 v7, 29, v3
	;; [unrolled: 1-line block ×4, first 2 shown]
	v_add_co_u32 v5, s19, v5, -1
	s_wait_alu 0xf1ff
	v_cndmask_b32_e64 v9, 0, 1, s19
	v_not_b32_e32 v44, v6
	v_cmp_gt_i32_e64 s19, 0, v6
	v_not_b32_e32 v6, v7
	v_lshlrev_b32_e32 v41, 26, v3
	v_cmp_ne_u32_e32 vcc_lo, 0, v9
	v_ashrrev_i32_e32 v9, 31, v44
	v_lshlrev_b32_e32 v43, 25, v3
	v_ashrrev_i32_e32 v6, 31, v6
	v_mul_lo_u32 v4, 0x84, v3
	s_wait_alu 0xfffd
	v_xor_b32_e32 v5, vcc_lo, v5
	v_cmp_gt_i32_e32 vcc_lo, 0, v7
	v_not_b32_e32 v7, v8
	s_wait_alu 0xf1ff
	v_xor_b32_e32 v9, s19, v9
	v_cmp_gt_i32_e64 s19, 0, v8
	v_and_b32_e32 v5, exec_lo, v5
	v_not_b32_e32 v8, v40
	v_ashrrev_i32_e32 v7, 31, v7
	s_wait_alu 0xfffd
	v_xor_b32_e32 v6, vcc_lo, v6
	v_cmp_gt_i32_e32 vcc_lo, 0, v40
	v_and_b32_e32 v5, v5, v9
	v_not_b32_e32 v9, v41
	v_ashrrev_i32_e32 v8, 31, v8
	s_wait_alu 0xf1ff
	v_xor_b32_e32 v7, s19, v7
	v_lshlrev_b32_e32 v3, 24, v3
	v_and_b32_e32 v5, v5, v6
	v_cmp_gt_i32_e64 s19, 0, v41
	v_not_b32_e32 v6, v43
	v_ashrrev_i32_e32 v9, 31, v9
	s_wait_alu 0xfffd
	v_xor_b32_e32 v8, vcc_lo, v8
	v_and_b32_e32 v5, v5, v7
	v_cmp_gt_i32_e32 vcc_lo, 0, v43
	v_not_b32_e32 v7, v3
	v_ashrrev_i32_e32 v6, 31, v6
	s_wait_alu 0xf1ff
	v_xor_b32_e32 v9, s19, v9
	v_and_b32_e32 v5, v5, v8
	v_cmp_gt_i32_e64 s19, 0, v3
	v_ashrrev_i32_e32 v3, 31, v7
	s_wait_alu 0xfffd
	v_xor_b32_e32 v6, vcc_lo, v6
	v_add_nc_u32_e32 v45, v2, v4
	v_and_b32_e32 v5, v5, v9
	s_wait_alu 0xf1ff
	v_xor_b32_e32 v3, s19, v3
	ds_load_b32 v40, v45 offset:128
	v_and_b32_e32 v4, v5, v6
	; wave barrier
	s_delay_alu instid0(VALU_DEP_1) | instskip(NEXT) | instid1(VALU_DEP_1)
	v_and_b32_e32 v3, v4, v3
	v_mbcnt_lo_u32_b32 v41, v3, 0
	v_cmp_ne_u32_e64 s19, 0, v3
	s_delay_alu instid0(VALU_DEP_2)
	v_cmp_eq_u32_e32 vcc_lo, 0, v41
	s_and_b32 s20, s19, vcc_lo
	s_wait_alu 0xfffe
	s_and_saveexec_b32 s19, s20
	s_cbranch_execz .LBB199_47
; %bb.46:
	s_wait_dscnt 0x0
	v_bcnt_u32_b32 v3, v3, v40
	ds_store_b32 v45, v3 offset:128
.LBB199_47:
	s_wait_alu 0xfffe
	s_or_b32 exec_lo, exec_lo, s19
	v_lshrrev_b32_e32 v3, s44, v15
	; wave barrier
	s_delay_alu instid0(VALU_DEP_1) | instskip(NEXT) | instid1(VALU_DEP_1)
	v_and_b32_e32 v3, s49, v3
	v_and_b32_e32 v5, 1, v3
	v_lshlrev_b32_e32 v6, 30, v3
	v_lshlrev_b32_e32 v7, 29, v3
	;; [unrolled: 1-line block ×4, first 2 shown]
	v_add_co_u32 v5, s19, v5, -1
	s_wait_alu 0xf1ff
	v_cndmask_b32_e64 v9, 0, 1, s19
	v_not_b32_e32 v47, v6
	v_cmp_gt_i32_e64 s19, 0, v6
	v_not_b32_e32 v6, v7
	v_lshlrev_b32_e32 v44, 26, v3
	v_cmp_ne_u32_e32 vcc_lo, 0, v9
	v_ashrrev_i32_e32 v9, 31, v47
	v_lshlrev_b32_e32 v46, 25, v3
	v_ashrrev_i32_e32 v6, 31, v6
	v_mul_lo_u32 v4, 0x84, v3
	s_wait_alu 0xfffd
	v_xor_b32_e32 v5, vcc_lo, v5
	v_cmp_gt_i32_e32 vcc_lo, 0, v7
	v_not_b32_e32 v7, v8
	s_wait_alu 0xf1ff
	v_xor_b32_e32 v9, s19, v9
	v_cmp_gt_i32_e64 s19, 0, v8
	v_and_b32_e32 v5, exec_lo, v5
	v_not_b32_e32 v8, v43
	v_ashrrev_i32_e32 v7, 31, v7
	s_wait_alu 0xfffd
	v_xor_b32_e32 v6, vcc_lo, v6
	v_cmp_gt_i32_e32 vcc_lo, 0, v43
	v_and_b32_e32 v5, v5, v9
	v_not_b32_e32 v9, v44
	v_ashrrev_i32_e32 v8, 31, v8
	s_wait_alu 0xf1ff
	v_xor_b32_e32 v7, s19, v7
	v_lshlrev_b32_e32 v3, 24, v3
	v_and_b32_e32 v5, v5, v6
	v_cmp_gt_i32_e64 s19, 0, v44
	v_not_b32_e32 v6, v46
	v_ashrrev_i32_e32 v9, 31, v9
	s_wait_alu 0xfffd
	v_xor_b32_e32 v8, vcc_lo, v8
	v_and_b32_e32 v5, v5, v7
	v_cmp_gt_i32_e32 vcc_lo, 0, v46
	v_not_b32_e32 v7, v3
	v_ashrrev_i32_e32 v6, 31, v6
	s_wait_alu 0xf1ff
	v_xor_b32_e32 v9, s19, v9
	v_and_b32_e32 v5, v5, v8
	v_cmp_gt_i32_e64 s19, 0, v3
	v_ashrrev_i32_e32 v3, 31, v7
	s_wait_alu 0xfffd
	v_xor_b32_e32 v6, vcc_lo, v6
	v_add_nc_u32_e32 v48, v2, v4
	v_and_b32_e32 v5, v5, v9
	s_wait_alu 0xf1ff
	v_xor_b32_e32 v3, s19, v3
	ds_load_b32 v43, v48 offset:128
	v_and_b32_e32 v4, v5, v6
	; wave barrier
	s_delay_alu instid0(VALU_DEP_1) | instskip(NEXT) | instid1(VALU_DEP_1)
	v_and_b32_e32 v3, v4, v3
	v_mbcnt_lo_u32_b32 v44, v3, 0
	v_cmp_ne_u32_e64 s19, 0, v3
	s_delay_alu instid0(VALU_DEP_2)
	v_cmp_eq_u32_e32 vcc_lo, 0, v44
	s_and_b32 s20, s19, vcc_lo
	s_wait_alu 0xfffe
	s_and_saveexec_b32 s19, s20
	s_cbranch_execz .LBB199_49
; %bb.48:
	s_wait_dscnt 0x0
	v_bcnt_u32_b32 v3, v3, v43
	ds_store_b32 v48, v3 offset:128
.LBB199_49:
	s_wait_alu 0xfffe
	s_or_b32 exec_lo, exec_lo, s19
	v_lshrrev_b32_e32 v3, s44, v18
	; wave barrier
	s_delay_alu instid0(VALU_DEP_1) | instskip(NEXT) | instid1(VALU_DEP_1)
	v_and_b32_e32 v3, s49, v3
	v_and_b32_e32 v5, 1, v3
	v_lshlrev_b32_e32 v6, 30, v3
	v_lshlrev_b32_e32 v7, 29, v3
	;; [unrolled: 1-line block ×4, first 2 shown]
	v_add_co_u32 v5, s19, v5, -1
	s_wait_alu 0xf1ff
	v_cndmask_b32_e64 v9, 0, 1, s19
	v_not_b32_e32 v50, v6
	v_cmp_gt_i32_e64 s19, 0, v6
	v_not_b32_e32 v6, v7
	v_lshlrev_b32_e32 v47, 26, v3
	v_cmp_ne_u32_e32 vcc_lo, 0, v9
	v_ashrrev_i32_e32 v9, 31, v50
	v_lshlrev_b32_e32 v49, 25, v3
	v_ashrrev_i32_e32 v6, 31, v6
	v_mul_lo_u32 v4, 0x84, v3
	s_wait_alu 0xfffd
	v_xor_b32_e32 v5, vcc_lo, v5
	v_cmp_gt_i32_e32 vcc_lo, 0, v7
	v_not_b32_e32 v7, v8
	s_wait_alu 0xf1ff
	v_xor_b32_e32 v9, s19, v9
	v_cmp_gt_i32_e64 s19, 0, v8
	v_and_b32_e32 v5, exec_lo, v5
	v_not_b32_e32 v8, v46
	v_ashrrev_i32_e32 v7, 31, v7
	s_wait_alu 0xfffd
	v_xor_b32_e32 v6, vcc_lo, v6
	v_cmp_gt_i32_e32 vcc_lo, 0, v46
	v_and_b32_e32 v5, v5, v9
	v_not_b32_e32 v9, v47
	v_ashrrev_i32_e32 v8, 31, v8
	s_wait_alu 0xf1ff
	v_xor_b32_e32 v7, s19, v7
	v_lshlrev_b32_e32 v3, 24, v3
	v_and_b32_e32 v5, v5, v6
	v_cmp_gt_i32_e64 s19, 0, v47
	v_not_b32_e32 v6, v49
	v_ashrrev_i32_e32 v9, 31, v9
	s_wait_alu 0xfffd
	v_xor_b32_e32 v8, vcc_lo, v8
	v_and_b32_e32 v5, v5, v7
	v_cmp_gt_i32_e32 vcc_lo, 0, v49
	v_not_b32_e32 v7, v3
	v_ashrrev_i32_e32 v6, 31, v6
	s_wait_alu 0xf1ff
	v_xor_b32_e32 v9, s19, v9
	v_and_b32_e32 v5, v5, v8
	v_cmp_gt_i32_e64 s19, 0, v3
	v_ashrrev_i32_e32 v3, 31, v7
	s_wait_alu 0xfffd
	v_xor_b32_e32 v6, vcc_lo, v6
	v_add_nc_u32_e32 v51, v2, v4
	v_and_b32_e32 v5, v5, v9
	s_wait_alu 0xf1ff
	v_xor_b32_e32 v3, s19, v3
	ds_load_b32 v46, v51 offset:128
	v_and_b32_e32 v4, v5, v6
	; wave barrier
	s_delay_alu instid0(VALU_DEP_1) | instskip(NEXT) | instid1(VALU_DEP_1)
	v_and_b32_e32 v3, v4, v3
	v_mbcnt_lo_u32_b32 v47, v3, 0
	v_cmp_ne_u32_e64 s19, 0, v3
	s_delay_alu instid0(VALU_DEP_2)
	v_cmp_eq_u32_e32 vcc_lo, 0, v47
	s_and_b32 s20, s19, vcc_lo
	s_wait_alu 0xfffe
	s_and_saveexec_b32 s19, s20
	s_cbranch_execz .LBB199_51
; %bb.50:
	s_wait_dscnt 0x0
	v_bcnt_u32_b32 v3, v3, v46
	ds_store_b32 v51, v3 offset:128
.LBB199_51:
	s_wait_alu 0xfffe
	s_or_b32 exec_lo, exec_lo, s19
	v_lshrrev_b32_e32 v3, s44, v17
	; wave barrier
	s_delay_alu instid0(VALU_DEP_1) | instskip(NEXT) | instid1(VALU_DEP_1)
	v_and_b32_e32 v3, s49, v3
	v_and_b32_e32 v5, 1, v3
	v_lshlrev_b32_e32 v6, 30, v3
	v_lshlrev_b32_e32 v7, 29, v3
	;; [unrolled: 1-line block ×4, first 2 shown]
	v_add_co_u32 v5, s19, v5, -1
	s_wait_alu 0xf1ff
	v_cndmask_b32_e64 v9, 0, 1, s19
	v_not_b32_e32 v53, v6
	v_cmp_gt_i32_e64 s19, 0, v6
	v_not_b32_e32 v6, v7
	v_lshlrev_b32_e32 v50, 26, v3
	v_cmp_ne_u32_e32 vcc_lo, 0, v9
	v_ashrrev_i32_e32 v9, 31, v53
	v_lshlrev_b32_e32 v52, 25, v3
	v_ashrrev_i32_e32 v6, 31, v6
	v_mul_lo_u32 v4, 0x84, v3
	s_wait_alu 0xfffd
	v_xor_b32_e32 v5, vcc_lo, v5
	v_cmp_gt_i32_e32 vcc_lo, 0, v7
	v_not_b32_e32 v7, v8
	s_wait_alu 0xf1ff
	v_xor_b32_e32 v9, s19, v9
	v_cmp_gt_i32_e64 s19, 0, v8
	v_and_b32_e32 v5, exec_lo, v5
	v_not_b32_e32 v8, v49
	v_ashrrev_i32_e32 v7, 31, v7
	s_wait_alu 0xfffd
	v_xor_b32_e32 v6, vcc_lo, v6
	v_cmp_gt_i32_e32 vcc_lo, 0, v49
	v_and_b32_e32 v5, v5, v9
	v_not_b32_e32 v9, v50
	v_ashrrev_i32_e32 v8, 31, v8
	s_wait_alu 0xf1ff
	v_xor_b32_e32 v7, s19, v7
	v_lshlrev_b32_e32 v3, 24, v3
	v_and_b32_e32 v5, v5, v6
	v_cmp_gt_i32_e64 s19, 0, v50
	v_not_b32_e32 v6, v52
	v_ashrrev_i32_e32 v9, 31, v9
	s_wait_alu 0xfffd
	v_xor_b32_e32 v8, vcc_lo, v8
	v_and_b32_e32 v5, v5, v7
	v_cmp_gt_i32_e32 vcc_lo, 0, v52
	v_not_b32_e32 v7, v3
	v_ashrrev_i32_e32 v6, 31, v6
	s_wait_alu 0xf1ff
	v_xor_b32_e32 v9, s19, v9
	v_and_b32_e32 v5, v5, v8
	v_cmp_gt_i32_e64 s19, 0, v3
	v_ashrrev_i32_e32 v3, 31, v7
	s_wait_alu 0xfffd
	v_xor_b32_e32 v6, vcc_lo, v6
	v_add_nc_u32_e32 v54, v2, v4
	v_and_b32_e32 v5, v5, v9
	s_wait_alu 0xf1ff
	v_xor_b32_e32 v3, s19, v3
	ds_load_b32 v49, v54 offset:128
	v_and_b32_e32 v4, v5, v6
	; wave barrier
	s_delay_alu instid0(VALU_DEP_1) | instskip(NEXT) | instid1(VALU_DEP_1)
	v_and_b32_e32 v3, v4, v3
	v_mbcnt_lo_u32_b32 v50, v3, 0
	v_cmp_ne_u32_e64 s19, 0, v3
	s_delay_alu instid0(VALU_DEP_2)
	v_cmp_eq_u32_e32 vcc_lo, 0, v50
	s_and_b32 s20, s19, vcc_lo
	s_wait_alu 0xfffe
	s_and_saveexec_b32 s19, s20
	s_cbranch_execz .LBB199_53
; %bb.52:
	s_wait_dscnt 0x0
	v_bcnt_u32_b32 v3, v3, v49
	ds_store_b32 v54, v3 offset:128
.LBB199_53:
	s_wait_alu 0xfffe
	s_or_b32 exec_lo, exec_lo, s19
	v_lshrrev_b32_e32 v3, s44, v20
	; wave barrier
	s_delay_alu instid0(VALU_DEP_1) | instskip(NEXT) | instid1(VALU_DEP_1)
	v_and_b32_e32 v3, s49, v3
	v_and_b32_e32 v5, 1, v3
	v_lshlrev_b32_e32 v6, 30, v3
	v_lshlrev_b32_e32 v7, 29, v3
	;; [unrolled: 1-line block ×4, first 2 shown]
	v_add_co_u32 v5, s19, v5, -1
	s_wait_alu 0xf1ff
	v_cndmask_b32_e64 v9, 0, 1, s19
	v_not_b32_e32 v56, v6
	v_cmp_gt_i32_e64 s19, 0, v6
	v_not_b32_e32 v6, v7
	v_lshlrev_b32_e32 v53, 26, v3
	v_cmp_ne_u32_e32 vcc_lo, 0, v9
	v_ashrrev_i32_e32 v9, 31, v56
	v_lshlrev_b32_e32 v55, 25, v3
	v_ashrrev_i32_e32 v6, 31, v6
	v_mul_lo_u32 v4, 0x84, v3
	s_wait_alu 0xfffd
	v_xor_b32_e32 v5, vcc_lo, v5
	v_cmp_gt_i32_e32 vcc_lo, 0, v7
	v_not_b32_e32 v7, v8
	s_wait_alu 0xf1ff
	v_xor_b32_e32 v9, s19, v9
	v_cmp_gt_i32_e64 s19, 0, v8
	v_and_b32_e32 v5, exec_lo, v5
	v_not_b32_e32 v8, v52
	v_ashrrev_i32_e32 v7, 31, v7
	s_wait_alu 0xfffd
	v_xor_b32_e32 v6, vcc_lo, v6
	v_cmp_gt_i32_e32 vcc_lo, 0, v52
	v_and_b32_e32 v5, v5, v9
	v_not_b32_e32 v9, v53
	v_ashrrev_i32_e32 v8, 31, v8
	s_wait_alu 0xf1ff
	v_xor_b32_e32 v7, s19, v7
	v_lshlrev_b32_e32 v3, 24, v3
	v_and_b32_e32 v5, v5, v6
	v_cmp_gt_i32_e64 s19, 0, v53
	v_not_b32_e32 v6, v55
	v_ashrrev_i32_e32 v9, 31, v9
	s_wait_alu 0xfffd
	v_xor_b32_e32 v8, vcc_lo, v8
	v_and_b32_e32 v5, v5, v7
	v_cmp_gt_i32_e32 vcc_lo, 0, v55
	v_not_b32_e32 v7, v3
	v_ashrrev_i32_e32 v6, 31, v6
	s_wait_alu 0xf1ff
	v_xor_b32_e32 v9, s19, v9
	v_and_b32_e32 v5, v5, v8
	v_cmp_gt_i32_e64 s19, 0, v3
	v_ashrrev_i32_e32 v3, 31, v7
	s_wait_alu 0xfffd
	v_xor_b32_e32 v6, vcc_lo, v6
	v_add_nc_u32_e32 v57, v2, v4
	v_and_b32_e32 v5, v5, v9
	s_wait_alu 0xf1ff
	v_xor_b32_e32 v3, s19, v3
	ds_load_b32 v52, v57 offset:128
	v_and_b32_e32 v4, v5, v6
	; wave barrier
	s_delay_alu instid0(VALU_DEP_1) | instskip(NEXT) | instid1(VALU_DEP_1)
	v_and_b32_e32 v3, v4, v3
	v_mbcnt_lo_u32_b32 v53, v3, 0
	v_cmp_ne_u32_e64 s19, 0, v3
	s_delay_alu instid0(VALU_DEP_2)
	v_cmp_eq_u32_e32 vcc_lo, 0, v53
	s_and_b32 s20, s19, vcc_lo
	s_wait_alu 0xfffe
	s_and_saveexec_b32 s19, s20
	s_cbranch_execz .LBB199_55
; %bb.54:
	s_wait_dscnt 0x0
	v_bcnt_u32_b32 v3, v3, v52
	ds_store_b32 v57, v3 offset:128
.LBB199_55:
	s_wait_alu 0xfffe
	s_or_b32 exec_lo, exec_lo, s19
	v_lshrrev_b32_e32 v3, s44, v19
	; wave barrier
	s_delay_alu instid0(VALU_DEP_1) | instskip(NEXT) | instid1(VALU_DEP_1)
	v_and_b32_e32 v3, s49, v3
	v_and_b32_e32 v5, 1, v3
	v_lshlrev_b32_e32 v6, 30, v3
	v_lshlrev_b32_e32 v7, 29, v3
	;; [unrolled: 1-line block ×4, first 2 shown]
	v_add_co_u32 v5, s19, v5, -1
	s_wait_alu 0xf1ff
	v_cndmask_b32_e64 v9, 0, 1, s19
	v_not_b32_e32 v59, v6
	v_cmp_gt_i32_e64 s19, 0, v6
	v_not_b32_e32 v6, v7
	v_lshlrev_b32_e32 v56, 26, v3
	v_cmp_ne_u32_e32 vcc_lo, 0, v9
	v_ashrrev_i32_e32 v9, 31, v59
	v_lshlrev_b32_e32 v58, 25, v3
	v_ashrrev_i32_e32 v6, 31, v6
	v_mul_lo_u32 v4, 0x84, v3
	s_wait_alu 0xfffd
	v_xor_b32_e32 v5, vcc_lo, v5
	v_cmp_gt_i32_e32 vcc_lo, 0, v7
	v_not_b32_e32 v7, v8
	s_wait_alu 0xf1ff
	v_xor_b32_e32 v9, s19, v9
	v_cmp_gt_i32_e64 s19, 0, v8
	v_and_b32_e32 v5, exec_lo, v5
	v_not_b32_e32 v8, v55
	v_ashrrev_i32_e32 v7, 31, v7
	s_wait_alu 0xfffd
	v_xor_b32_e32 v6, vcc_lo, v6
	v_cmp_gt_i32_e32 vcc_lo, 0, v55
	v_and_b32_e32 v5, v5, v9
	v_not_b32_e32 v9, v56
	v_ashrrev_i32_e32 v8, 31, v8
	s_wait_alu 0xf1ff
	v_xor_b32_e32 v7, s19, v7
	v_lshlrev_b32_e32 v3, 24, v3
	v_and_b32_e32 v5, v5, v6
	v_cmp_gt_i32_e64 s19, 0, v56
	v_not_b32_e32 v6, v58
	v_ashrrev_i32_e32 v9, 31, v9
	s_wait_alu 0xfffd
	v_xor_b32_e32 v8, vcc_lo, v8
	v_and_b32_e32 v5, v5, v7
	v_cmp_gt_i32_e32 vcc_lo, 0, v58
	v_not_b32_e32 v7, v3
	v_ashrrev_i32_e32 v6, 31, v6
	s_wait_alu 0xf1ff
	v_xor_b32_e32 v9, s19, v9
	v_and_b32_e32 v5, v5, v8
	v_cmp_gt_i32_e64 s19, 0, v3
	v_ashrrev_i32_e32 v3, 31, v7
	s_wait_alu 0xfffd
	v_xor_b32_e32 v6, vcc_lo, v6
	v_add_nc_u32_e32 v60, v2, v4
	v_and_b32_e32 v5, v5, v9
	s_wait_alu 0xf1ff
	v_xor_b32_e32 v3, s19, v3
	ds_load_b32 v55, v60 offset:128
	v_and_b32_e32 v4, v5, v6
	; wave barrier
	s_delay_alu instid0(VALU_DEP_1) | instskip(NEXT) | instid1(VALU_DEP_1)
	v_and_b32_e32 v3, v4, v3
	v_mbcnt_lo_u32_b32 v56, v3, 0
	v_cmp_ne_u32_e64 s19, 0, v3
	s_delay_alu instid0(VALU_DEP_2)
	v_cmp_eq_u32_e32 vcc_lo, 0, v56
	s_and_b32 s20, s19, vcc_lo
	s_wait_alu 0xfffe
	s_and_saveexec_b32 s19, s20
	s_cbranch_execz .LBB199_57
; %bb.56:
	s_wait_dscnt 0x0
	v_bcnt_u32_b32 v3, v3, v55
	ds_store_b32 v60, v3 offset:128
.LBB199_57:
	s_wait_alu 0xfffe
	s_or_b32 exec_lo, exec_lo, s19
	v_lshrrev_b32_e32 v3, s44, v22
	; wave barrier
	s_delay_alu instid0(VALU_DEP_1) | instskip(NEXT) | instid1(VALU_DEP_1)
	v_and_b32_e32 v3, s49, v3
	v_and_b32_e32 v5, 1, v3
	v_lshlrev_b32_e32 v6, 30, v3
	v_lshlrev_b32_e32 v7, 29, v3
	;; [unrolled: 1-line block ×4, first 2 shown]
	v_add_co_u32 v5, s19, v5, -1
	s_wait_alu 0xf1ff
	v_cndmask_b32_e64 v9, 0, 1, s19
	v_not_b32_e32 v62, v6
	v_cmp_gt_i32_e64 s19, 0, v6
	v_not_b32_e32 v6, v7
	v_lshlrev_b32_e32 v59, 26, v3
	v_cmp_ne_u32_e32 vcc_lo, 0, v9
	v_ashrrev_i32_e32 v9, 31, v62
	v_lshlrev_b32_e32 v61, 25, v3
	v_ashrrev_i32_e32 v6, 31, v6
	v_mul_lo_u32 v4, 0x84, v3
	s_wait_alu 0xfffd
	v_xor_b32_e32 v5, vcc_lo, v5
	v_cmp_gt_i32_e32 vcc_lo, 0, v7
	v_not_b32_e32 v7, v8
	s_wait_alu 0xf1ff
	v_xor_b32_e32 v9, s19, v9
	v_cmp_gt_i32_e64 s19, 0, v8
	v_and_b32_e32 v5, exec_lo, v5
	v_not_b32_e32 v8, v58
	v_ashrrev_i32_e32 v7, 31, v7
	s_wait_alu 0xfffd
	v_xor_b32_e32 v6, vcc_lo, v6
	v_cmp_gt_i32_e32 vcc_lo, 0, v58
	v_and_b32_e32 v5, v5, v9
	v_not_b32_e32 v9, v59
	v_ashrrev_i32_e32 v8, 31, v8
	s_wait_alu 0xf1ff
	v_xor_b32_e32 v7, s19, v7
	v_lshlrev_b32_e32 v3, 24, v3
	v_and_b32_e32 v5, v5, v6
	v_cmp_gt_i32_e64 s19, 0, v59
	v_not_b32_e32 v6, v61
	v_ashrrev_i32_e32 v9, 31, v9
	s_wait_alu 0xfffd
	v_xor_b32_e32 v8, vcc_lo, v8
	v_and_b32_e32 v5, v5, v7
	v_cmp_gt_i32_e32 vcc_lo, 0, v61
	v_not_b32_e32 v7, v3
	v_ashrrev_i32_e32 v6, 31, v6
	s_wait_alu 0xf1ff
	v_xor_b32_e32 v9, s19, v9
	v_and_b32_e32 v5, v5, v8
	v_cmp_gt_i32_e64 s19, 0, v3
	v_ashrrev_i32_e32 v3, 31, v7
	s_wait_alu 0xfffd
	v_xor_b32_e32 v6, vcc_lo, v6
	v_add_nc_u32_e32 v63, v2, v4
	v_and_b32_e32 v5, v5, v9
	s_wait_alu 0xf1ff
	v_xor_b32_e32 v3, s19, v3
	ds_load_b32 v58, v63 offset:128
	v_and_b32_e32 v4, v5, v6
	; wave barrier
	s_delay_alu instid0(VALU_DEP_1) | instskip(NEXT) | instid1(VALU_DEP_1)
	v_and_b32_e32 v3, v4, v3
	v_mbcnt_lo_u32_b32 v59, v3, 0
	v_cmp_ne_u32_e64 s19, 0, v3
	s_delay_alu instid0(VALU_DEP_2)
	v_cmp_eq_u32_e32 vcc_lo, 0, v59
	s_and_b32 s20, s19, vcc_lo
	s_wait_alu 0xfffe
	s_and_saveexec_b32 s19, s20
	s_cbranch_execz .LBB199_59
; %bb.58:
	s_wait_dscnt 0x0
	v_bcnt_u32_b32 v3, v3, v58
	ds_store_b32 v63, v3 offset:128
.LBB199_59:
	s_wait_alu 0xfffe
	s_or_b32 exec_lo, exec_lo, s19
	v_lshrrev_b32_e32 v3, s44, v21
	; wave barrier
	s_delay_alu instid0(VALU_DEP_1) | instskip(NEXT) | instid1(VALU_DEP_1)
	v_and_b32_e32 v3, s49, v3
	v_and_b32_e32 v5, 1, v3
	v_lshlrev_b32_e32 v6, 30, v3
	v_lshlrev_b32_e32 v7, 29, v3
	;; [unrolled: 1-line block ×4, first 2 shown]
	v_add_co_u32 v5, s19, v5, -1
	s_wait_alu 0xf1ff
	v_cndmask_b32_e64 v9, 0, 1, s19
	v_not_b32_e32 v65, v6
	v_cmp_gt_i32_e64 s19, 0, v6
	v_not_b32_e32 v6, v7
	v_lshlrev_b32_e32 v62, 26, v3
	v_cmp_ne_u32_e32 vcc_lo, 0, v9
	v_ashrrev_i32_e32 v9, 31, v65
	v_lshlrev_b32_e32 v64, 25, v3
	v_ashrrev_i32_e32 v6, 31, v6
	v_mul_lo_u32 v4, 0x84, v3
	s_wait_alu 0xfffd
	v_xor_b32_e32 v5, vcc_lo, v5
	v_cmp_gt_i32_e32 vcc_lo, 0, v7
	v_not_b32_e32 v7, v8
	s_wait_alu 0xf1ff
	v_xor_b32_e32 v9, s19, v9
	v_cmp_gt_i32_e64 s19, 0, v8
	v_and_b32_e32 v5, exec_lo, v5
	v_not_b32_e32 v8, v61
	v_ashrrev_i32_e32 v7, 31, v7
	s_wait_alu 0xfffd
	v_xor_b32_e32 v6, vcc_lo, v6
	v_cmp_gt_i32_e32 vcc_lo, 0, v61
	v_and_b32_e32 v5, v5, v9
	v_not_b32_e32 v9, v62
	v_ashrrev_i32_e32 v8, 31, v8
	s_wait_alu 0xf1ff
	v_xor_b32_e32 v7, s19, v7
	v_lshlrev_b32_e32 v3, 24, v3
	v_and_b32_e32 v5, v5, v6
	v_cmp_gt_i32_e64 s19, 0, v62
	v_not_b32_e32 v6, v64
	v_ashrrev_i32_e32 v9, 31, v9
	s_wait_alu 0xfffd
	v_xor_b32_e32 v8, vcc_lo, v8
	v_and_b32_e32 v5, v5, v7
	v_cmp_gt_i32_e32 vcc_lo, 0, v64
	v_not_b32_e32 v7, v3
	v_ashrrev_i32_e32 v6, 31, v6
	s_wait_alu 0xf1ff
	v_xor_b32_e32 v9, s19, v9
	v_and_b32_e32 v5, v5, v8
	v_cmp_gt_i32_e64 s19, 0, v3
	v_ashrrev_i32_e32 v3, 31, v7
	s_wait_alu 0xfffd
	v_xor_b32_e32 v6, vcc_lo, v6
	v_add_nc_u32_e32 v66, v2, v4
	v_and_b32_e32 v5, v5, v9
	s_wait_alu 0xf1ff
	v_xor_b32_e32 v3, s19, v3
	ds_load_b32 v61, v66 offset:128
	v_and_b32_e32 v4, v5, v6
	; wave barrier
	s_delay_alu instid0(VALU_DEP_1) | instskip(NEXT) | instid1(VALU_DEP_1)
	v_and_b32_e32 v3, v4, v3
	v_mbcnt_lo_u32_b32 v62, v3, 0
	v_cmp_ne_u32_e64 s19, 0, v3
	s_delay_alu instid0(VALU_DEP_2)
	v_cmp_eq_u32_e32 vcc_lo, 0, v62
	s_and_b32 s20, s19, vcc_lo
	s_wait_alu 0xfffe
	s_and_saveexec_b32 s19, s20
	s_cbranch_execz .LBB199_61
; %bb.60:
	s_wait_dscnt 0x0
	v_bcnt_u32_b32 v3, v3, v61
	ds_store_b32 v66, v3 offset:128
.LBB199_61:
	s_wait_alu 0xfffe
	s_or_b32 exec_lo, exec_lo, s19
	v_lshrrev_b32_e32 v3, s44, v24
	; wave barrier
	s_delay_alu instid0(VALU_DEP_1) | instskip(NEXT) | instid1(VALU_DEP_1)
	v_and_b32_e32 v3, s49, v3
	v_and_b32_e32 v5, 1, v3
	v_lshlrev_b32_e32 v6, 30, v3
	v_lshlrev_b32_e32 v7, 29, v3
	;; [unrolled: 1-line block ×4, first 2 shown]
	v_add_co_u32 v5, s19, v5, -1
	s_wait_alu 0xf1ff
	v_cndmask_b32_e64 v9, 0, 1, s19
	v_not_b32_e32 v68, v6
	v_cmp_gt_i32_e64 s19, 0, v6
	v_not_b32_e32 v6, v7
	v_lshlrev_b32_e32 v65, 26, v3
	v_cmp_ne_u32_e32 vcc_lo, 0, v9
	v_ashrrev_i32_e32 v9, 31, v68
	v_lshlrev_b32_e32 v67, 25, v3
	v_ashrrev_i32_e32 v6, 31, v6
	v_mul_lo_u32 v4, 0x84, v3
	s_wait_alu 0xfffd
	v_xor_b32_e32 v5, vcc_lo, v5
	v_cmp_gt_i32_e32 vcc_lo, 0, v7
	v_not_b32_e32 v7, v8
	s_wait_alu 0xf1ff
	v_xor_b32_e32 v9, s19, v9
	v_cmp_gt_i32_e64 s19, 0, v8
	v_and_b32_e32 v5, exec_lo, v5
	v_not_b32_e32 v8, v64
	v_ashrrev_i32_e32 v7, 31, v7
	s_wait_alu 0xfffd
	v_xor_b32_e32 v6, vcc_lo, v6
	v_cmp_gt_i32_e32 vcc_lo, 0, v64
	v_and_b32_e32 v5, v5, v9
	v_not_b32_e32 v9, v65
	v_ashrrev_i32_e32 v8, 31, v8
	s_wait_alu 0xf1ff
	v_xor_b32_e32 v7, s19, v7
	v_lshlrev_b32_e32 v3, 24, v3
	v_and_b32_e32 v5, v5, v6
	v_cmp_gt_i32_e64 s19, 0, v65
	v_not_b32_e32 v6, v67
	v_ashrrev_i32_e32 v9, 31, v9
	s_wait_alu 0xfffd
	v_xor_b32_e32 v8, vcc_lo, v8
	v_and_b32_e32 v5, v5, v7
	v_cmp_gt_i32_e32 vcc_lo, 0, v67
	v_not_b32_e32 v7, v3
	v_ashrrev_i32_e32 v6, 31, v6
	s_wait_alu 0xf1ff
	v_xor_b32_e32 v9, s19, v9
	v_and_b32_e32 v5, v5, v8
	v_cmp_gt_i32_e64 s19, 0, v3
	v_ashrrev_i32_e32 v3, 31, v7
	s_wait_alu 0xfffd
	v_xor_b32_e32 v6, vcc_lo, v6
	v_add_nc_u32_e32 v69, v2, v4
	v_and_b32_e32 v5, v5, v9
	s_wait_alu 0xf1ff
	v_xor_b32_e32 v3, s19, v3
	ds_load_b32 v64, v69 offset:128
	v_and_b32_e32 v4, v5, v6
	; wave barrier
	s_delay_alu instid0(VALU_DEP_1) | instskip(NEXT) | instid1(VALU_DEP_1)
	v_and_b32_e32 v3, v4, v3
	v_mbcnt_lo_u32_b32 v65, v3, 0
	v_cmp_ne_u32_e64 s19, 0, v3
	s_delay_alu instid0(VALU_DEP_2)
	v_cmp_eq_u32_e32 vcc_lo, 0, v65
	s_and_b32 s20, s19, vcc_lo
	s_wait_alu 0xfffe
	s_and_saveexec_b32 s19, s20
	s_cbranch_execz .LBB199_63
; %bb.62:
	s_wait_dscnt 0x0
	v_bcnt_u32_b32 v3, v3, v64
	ds_store_b32 v69, v3 offset:128
.LBB199_63:
	s_wait_alu 0xfffe
	s_or_b32 exec_lo, exec_lo, s19
	v_lshrrev_b32_e32 v3, s44, v23
	; wave barrier
	s_delay_alu instid0(VALU_DEP_1) | instskip(NEXT) | instid1(VALU_DEP_1)
	v_and_b32_e32 v3, s49, v3
	v_and_b32_e32 v5, 1, v3
	v_lshlrev_b32_e32 v6, 30, v3
	v_lshlrev_b32_e32 v7, 29, v3
	;; [unrolled: 1-line block ×4, first 2 shown]
	v_add_co_u32 v5, s19, v5, -1
	s_wait_alu 0xf1ff
	v_cndmask_b32_e64 v9, 0, 1, s19
	v_not_b32_e32 v71, v6
	v_cmp_gt_i32_e64 s19, 0, v6
	v_not_b32_e32 v6, v7
	v_lshlrev_b32_e32 v68, 26, v3
	v_cmp_ne_u32_e32 vcc_lo, 0, v9
	v_ashrrev_i32_e32 v9, 31, v71
	v_lshlrev_b32_e32 v70, 25, v3
	v_ashrrev_i32_e32 v6, 31, v6
	v_mul_lo_u32 v4, 0x84, v3
	s_wait_alu 0xfffd
	v_xor_b32_e32 v5, vcc_lo, v5
	v_cmp_gt_i32_e32 vcc_lo, 0, v7
	v_not_b32_e32 v7, v8
	s_wait_alu 0xf1ff
	v_xor_b32_e32 v9, s19, v9
	v_cmp_gt_i32_e64 s19, 0, v8
	v_and_b32_e32 v5, exec_lo, v5
	v_not_b32_e32 v8, v67
	v_ashrrev_i32_e32 v7, 31, v7
	s_wait_alu 0xfffd
	v_xor_b32_e32 v6, vcc_lo, v6
	v_cmp_gt_i32_e32 vcc_lo, 0, v67
	v_and_b32_e32 v5, v5, v9
	v_not_b32_e32 v9, v68
	v_ashrrev_i32_e32 v8, 31, v8
	s_wait_alu 0xf1ff
	v_xor_b32_e32 v7, s19, v7
	v_lshlrev_b32_e32 v3, 24, v3
	v_and_b32_e32 v5, v5, v6
	v_cmp_gt_i32_e64 s19, 0, v68
	v_not_b32_e32 v6, v70
	v_ashrrev_i32_e32 v9, 31, v9
	s_wait_alu 0xfffd
	v_xor_b32_e32 v8, vcc_lo, v8
	v_and_b32_e32 v5, v5, v7
	v_cmp_gt_i32_e32 vcc_lo, 0, v70
	v_not_b32_e32 v7, v3
	v_ashrrev_i32_e32 v6, 31, v6
	s_wait_alu 0xf1ff
	v_xor_b32_e32 v9, s19, v9
	v_and_b32_e32 v5, v5, v8
	v_cmp_gt_i32_e64 s19, 0, v3
	v_ashrrev_i32_e32 v3, 31, v7
	s_wait_alu 0xfffd
	v_xor_b32_e32 v6, vcc_lo, v6
	v_add_nc_u32_e32 v72, v2, v4
	v_and_b32_e32 v5, v5, v9
	s_wait_alu 0xf1ff
	v_xor_b32_e32 v3, s19, v3
	ds_load_b32 v67, v72 offset:128
	v_and_b32_e32 v4, v5, v6
	; wave barrier
	s_delay_alu instid0(VALU_DEP_1) | instskip(NEXT) | instid1(VALU_DEP_1)
	v_and_b32_e32 v3, v4, v3
	v_mbcnt_lo_u32_b32 v68, v3, 0
	v_cmp_ne_u32_e64 s19, 0, v3
	s_delay_alu instid0(VALU_DEP_2)
	v_cmp_eq_u32_e32 vcc_lo, 0, v68
	s_and_b32 s20, s19, vcc_lo
	s_wait_alu 0xfffe
	s_and_saveexec_b32 s19, s20
	s_cbranch_execz .LBB199_65
; %bb.64:
	s_wait_dscnt 0x0
	v_bcnt_u32_b32 v3, v3, v67
	ds_store_b32 v72, v3 offset:128
.LBB199_65:
	s_wait_alu 0xfffe
	s_or_b32 exec_lo, exec_lo, s19
	v_lshrrev_b32_e32 v3, s44, v26
	; wave barrier
	s_delay_alu instid0(VALU_DEP_1) | instskip(NEXT) | instid1(VALU_DEP_1)
	v_and_b32_e32 v3, s49, v3
	v_and_b32_e32 v5, 1, v3
	v_lshlrev_b32_e32 v6, 30, v3
	v_lshlrev_b32_e32 v7, 29, v3
	;; [unrolled: 1-line block ×4, first 2 shown]
	v_add_co_u32 v5, s19, v5, -1
	s_wait_alu 0xf1ff
	v_cndmask_b32_e64 v9, 0, 1, s19
	v_not_b32_e32 v74, v6
	v_cmp_gt_i32_e64 s19, 0, v6
	v_not_b32_e32 v6, v7
	v_lshlrev_b32_e32 v71, 26, v3
	v_cmp_ne_u32_e32 vcc_lo, 0, v9
	v_ashrrev_i32_e32 v9, 31, v74
	v_lshlrev_b32_e32 v73, 25, v3
	v_ashrrev_i32_e32 v6, 31, v6
	v_mul_lo_u32 v4, 0x84, v3
	s_wait_alu 0xfffd
	v_xor_b32_e32 v5, vcc_lo, v5
	v_cmp_gt_i32_e32 vcc_lo, 0, v7
	v_not_b32_e32 v7, v8
	s_wait_alu 0xf1ff
	v_xor_b32_e32 v9, s19, v9
	v_cmp_gt_i32_e64 s19, 0, v8
	v_and_b32_e32 v5, exec_lo, v5
	v_not_b32_e32 v8, v70
	v_ashrrev_i32_e32 v7, 31, v7
	s_wait_alu 0xfffd
	v_xor_b32_e32 v6, vcc_lo, v6
	v_cmp_gt_i32_e32 vcc_lo, 0, v70
	v_and_b32_e32 v5, v5, v9
	v_not_b32_e32 v9, v71
	v_ashrrev_i32_e32 v8, 31, v8
	s_wait_alu 0xf1ff
	v_xor_b32_e32 v7, s19, v7
	v_lshlrev_b32_e32 v3, 24, v3
	v_and_b32_e32 v5, v5, v6
	v_cmp_gt_i32_e64 s19, 0, v71
	v_not_b32_e32 v6, v73
	v_ashrrev_i32_e32 v9, 31, v9
	s_wait_alu 0xfffd
	v_xor_b32_e32 v8, vcc_lo, v8
	v_and_b32_e32 v5, v5, v7
	v_cmp_gt_i32_e32 vcc_lo, 0, v73
	v_not_b32_e32 v7, v3
	v_ashrrev_i32_e32 v6, 31, v6
	s_wait_alu 0xf1ff
	v_xor_b32_e32 v9, s19, v9
	v_and_b32_e32 v5, v5, v8
	v_cmp_gt_i32_e64 s19, 0, v3
	v_ashrrev_i32_e32 v3, 31, v7
	s_wait_alu 0xfffd
	v_xor_b32_e32 v6, vcc_lo, v6
	v_add_nc_u32_e32 v75, v2, v4
	v_and_b32_e32 v5, v5, v9
	s_wait_alu 0xf1ff
	v_xor_b32_e32 v3, s19, v3
	ds_load_b32 v70, v75 offset:128
	v_and_b32_e32 v4, v5, v6
	; wave barrier
	s_delay_alu instid0(VALU_DEP_1) | instskip(NEXT) | instid1(VALU_DEP_1)
	v_and_b32_e32 v3, v4, v3
	v_mbcnt_lo_u32_b32 v71, v3, 0
	v_cmp_ne_u32_e64 s19, 0, v3
	s_delay_alu instid0(VALU_DEP_2)
	v_cmp_eq_u32_e32 vcc_lo, 0, v71
	s_and_b32 s20, s19, vcc_lo
	s_wait_alu 0xfffe
	s_and_saveexec_b32 s19, s20
	s_cbranch_execz .LBB199_67
; %bb.66:
	s_wait_dscnt 0x0
	v_bcnt_u32_b32 v3, v3, v70
	ds_store_b32 v75, v3 offset:128
.LBB199_67:
	s_wait_alu 0xfffe
	s_or_b32 exec_lo, exec_lo, s19
	v_lshrrev_b32_e32 v3, s44, v25
	; wave barrier
	s_delay_alu instid0(VALU_DEP_1) | instskip(NEXT) | instid1(VALU_DEP_1)
	v_and_b32_e32 v3, s49, v3
	v_and_b32_e32 v5, 1, v3
	v_lshlrev_b32_e32 v6, 30, v3
	v_lshlrev_b32_e32 v7, 29, v3
	;; [unrolled: 1-line block ×4, first 2 shown]
	v_add_co_u32 v5, s19, v5, -1
	s_wait_alu 0xf1ff
	v_cndmask_b32_e64 v9, 0, 1, s19
	v_not_b32_e32 v77, v6
	v_cmp_gt_i32_e64 s19, 0, v6
	v_not_b32_e32 v6, v7
	v_lshlrev_b32_e32 v74, 26, v3
	v_cmp_ne_u32_e32 vcc_lo, 0, v9
	v_ashrrev_i32_e32 v9, 31, v77
	v_lshlrev_b32_e32 v76, 25, v3
	v_ashrrev_i32_e32 v6, 31, v6
	v_mul_lo_u32 v4, 0x84, v3
	s_wait_alu 0xfffd
	v_xor_b32_e32 v5, vcc_lo, v5
	v_cmp_gt_i32_e32 vcc_lo, 0, v7
	v_not_b32_e32 v7, v8
	s_wait_alu 0xf1ff
	v_xor_b32_e32 v9, s19, v9
	v_cmp_gt_i32_e64 s19, 0, v8
	v_and_b32_e32 v5, exec_lo, v5
	v_not_b32_e32 v8, v73
	v_ashrrev_i32_e32 v7, 31, v7
	s_wait_alu 0xfffd
	v_xor_b32_e32 v6, vcc_lo, v6
	v_cmp_gt_i32_e32 vcc_lo, 0, v73
	v_and_b32_e32 v5, v5, v9
	v_not_b32_e32 v9, v74
	v_ashrrev_i32_e32 v8, 31, v8
	s_wait_alu 0xf1ff
	v_xor_b32_e32 v7, s19, v7
	v_lshlrev_b32_e32 v3, 24, v3
	v_and_b32_e32 v5, v5, v6
	v_cmp_gt_i32_e64 s19, 0, v74
	v_not_b32_e32 v6, v76
	v_ashrrev_i32_e32 v9, 31, v9
	s_wait_alu 0xfffd
	v_xor_b32_e32 v8, vcc_lo, v8
	v_and_b32_e32 v5, v5, v7
	v_cmp_gt_i32_e32 vcc_lo, 0, v76
	v_not_b32_e32 v7, v3
	v_ashrrev_i32_e32 v6, 31, v6
	s_wait_alu 0xf1ff
	v_xor_b32_e32 v9, s19, v9
	v_and_b32_e32 v5, v5, v8
	v_cmp_gt_i32_e64 s19, 0, v3
	v_ashrrev_i32_e32 v3, 31, v7
	s_wait_alu 0xfffd
	v_xor_b32_e32 v6, vcc_lo, v6
	v_add_nc_u32_e32 v79, v2, v4
	v_and_b32_e32 v5, v5, v9
	s_wait_alu 0xf1ff
	v_xor_b32_e32 v2, s19, v3
	ds_load_b32 v73, v79 offset:128
	v_and_b32_e32 v3, v5, v6
	; wave barrier
	s_delay_alu instid0(VALU_DEP_1) | instskip(NEXT) | instid1(VALU_DEP_1)
	v_and_b32_e32 v2, v3, v2
	v_mbcnt_lo_u32_b32 v74, v2, 0
	v_cmp_ne_u32_e64 s19, 0, v2
	s_delay_alu instid0(VALU_DEP_2)
	v_cmp_eq_u32_e32 vcc_lo, 0, v74
	s_and_b32 s20, s19, vcc_lo
	s_wait_alu 0xfffe
	s_and_saveexec_b32 s19, s20
	s_cbranch_execz .LBB199_69
; %bb.68:
	s_wait_dscnt 0x0
	v_bcnt_u32_b32 v2, v2, v73
	ds_store_b32 v79, v2 offset:128
.LBB199_69:
	s_wait_alu 0xfffe
	s_or_b32 exec_lo, exec_lo, s19
	; wave barrier
	s_wait_loadcnt_dscnt 0x0
	s_barrier_signal -1
	s_barrier_wait -1
	global_inv scope:SCOPE_SE
	ds_load_2addr_b32 v[8:9], v30 offset0:32 offset1:33
	ds_load_2addr_b32 v[6:7], v30 offset0:34 offset1:35
	;; [unrolled: 1-line block ×4, first 2 shown]
	ds_load_b32 v76, v30 offset:160
	v_and_b32_e32 v80, 16, v36
	v_and_b32_e32 v81, 31, v1
	s_mov_b32 s24, exec_lo
	s_delay_alu instid0(VALU_DEP_2) | instskip(SKIP_3) | instid1(VALU_DEP_1)
	v_cmp_eq_u32_e64 s22, 0, v80
	s_wait_dscnt 0x3
	v_add3_u32 v77, v9, v8, v6
	s_wait_dscnt 0x2
	v_add3_u32 v77, v77, v7, v4
	s_wait_dscnt 0x1
	s_delay_alu instid0(VALU_DEP_1) | instskip(SKIP_1) | instid1(VALU_DEP_1)
	v_add3_u32 v77, v77, v5, v2
	s_wait_dscnt 0x0
	v_add3_u32 v76, v77, v3, v76
	v_and_b32_e32 v77, 15, v36
	s_delay_alu instid0(VALU_DEP_2) | instskip(NEXT) | instid1(VALU_DEP_2)
	v_mov_b32_dpp v78, v76 row_shr:1 row_mask:0xf bank_mask:0xf
	v_cmp_eq_u32_e32 vcc_lo, 0, v77
	v_cmp_lt_u32_e64 s19, 1, v77
	v_cmp_lt_u32_e64 s20, 3, v77
	;; [unrolled: 1-line block ×3, first 2 shown]
	s_wait_alu 0xfffd
	v_cndmask_b32_e64 v78, v78, 0, vcc_lo
	s_delay_alu instid0(VALU_DEP_1) | instskip(NEXT) | instid1(VALU_DEP_1)
	v_add_nc_u32_e32 v76, v78, v76
	v_mov_b32_dpp v78, v76 row_shr:2 row_mask:0xf bank_mask:0xf
	s_wait_alu 0xf1ff
	s_delay_alu instid0(VALU_DEP_1) | instskip(NEXT) | instid1(VALU_DEP_1)
	v_cndmask_b32_e64 v78, 0, v78, s19
	v_add_nc_u32_e32 v76, v76, v78
	s_delay_alu instid0(VALU_DEP_1) | instskip(NEXT) | instid1(VALU_DEP_1)
	v_mov_b32_dpp v78, v76 row_shr:4 row_mask:0xf bank_mask:0xf
	v_cndmask_b32_e64 v78, 0, v78, s20
	s_delay_alu instid0(VALU_DEP_1) | instskip(NEXT) | instid1(VALU_DEP_1)
	v_add_nc_u32_e32 v76, v76, v78
	v_mov_b32_dpp v78, v76 row_shr:8 row_mask:0xf bank_mask:0xf
	s_delay_alu instid0(VALU_DEP_1) | instskip(SKIP_1) | instid1(VALU_DEP_2)
	v_cndmask_b32_e64 v77, 0, v78, s21
	v_bfe_i32 v78, v36, 4, 1
	v_add_nc_u32_e32 v76, v76, v77
	ds_swizzle_b32 v77, v76 offset:swizzle(BROADCAST,32,15)
	s_wait_dscnt 0x0
	v_and_b32_e32 v78, v78, v77
	v_lshrrev_b32_e32 v77, 5, v1
	s_delay_alu instid0(VALU_DEP_2)
	v_add_nc_u32_e32 v76, v76, v78
	v_cmpx_eq_u32_e32 31, v81
; %bb.70:
	s_delay_alu instid0(VALU_DEP_3)
	v_lshlrev_b32_e32 v78, 2, v77
	ds_store_b32 v78, v76
; %bb.71:
	s_or_b32 exec_lo, exec_lo, s24
	v_cmp_lt_u32_e64 s23, 31, v1
	s_mov_b32 s50, exec_lo
	s_wait_loadcnt_dscnt 0x0
	s_barrier_signal -1
	s_barrier_wait -1
	global_inv scope:SCOPE_SE
	v_cmpx_gt_u32_e32 32, v1
	s_cbranch_execz .LBB199_73
; %bb.72:
	v_lshlrev_b32_e32 v78, 2, v1
	ds_load_b32 v80, v78
	s_wait_dscnt 0x0
	v_mov_b32_dpp v81, v80 row_shr:1 row_mask:0xf bank_mask:0xf
	s_delay_alu instid0(VALU_DEP_1) | instskip(NEXT) | instid1(VALU_DEP_1)
	v_cndmask_b32_e64 v81, v81, 0, vcc_lo
	v_add_nc_u32_e32 v80, v81, v80
	s_delay_alu instid0(VALU_DEP_1) | instskip(NEXT) | instid1(VALU_DEP_1)
	v_mov_b32_dpp v81, v80 row_shr:2 row_mask:0xf bank_mask:0xf
	v_cndmask_b32_e64 v81, 0, v81, s19
	s_delay_alu instid0(VALU_DEP_1) | instskip(NEXT) | instid1(VALU_DEP_1)
	v_add_nc_u32_e32 v80, v80, v81
	v_mov_b32_dpp v81, v80 row_shr:4 row_mask:0xf bank_mask:0xf
	s_delay_alu instid0(VALU_DEP_1) | instskip(NEXT) | instid1(VALU_DEP_1)
	v_cndmask_b32_e64 v81, 0, v81, s20
	v_add_nc_u32_e32 v80, v80, v81
	s_delay_alu instid0(VALU_DEP_1) | instskip(NEXT) | instid1(VALU_DEP_1)
	v_mov_b32_dpp v81, v80 row_shr:8 row_mask:0xf bank_mask:0xf
	v_cndmask_b32_e64 v81, 0, v81, s21
	s_delay_alu instid0(VALU_DEP_1) | instskip(SKIP_3) | instid1(VALU_DEP_1)
	v_add_nc_u32_e32 v80, v80, v81
	ds_swizzle_b32 v81, v80 offset:swizzle(BROADCAST,32,15)
	s_wait_dscnt 0x0
	v_cndmask_b32_e64 v81, v81, 0, s22
	v_add_nc_u32_e32 v80, v80, v81
	ds_store_b32 v78, v80
.LBB199_73:
	s_or_b32 exec_lo, exec_lo, s50
	v_mov_b32_e32 v78, 0
	s_wait_loadcnt_dscnt 0x0
	s_barrier_signal -1
	s_barrier_wait -1
	global_inv scope:SCOPE_SE
	s_and_saveexec_b32 s19, s23
; %bb.74:
	v_lshl_add_u32 v77, v77, 2, -4
	ds_load_b32 v78, v77
; %bb.75:
	s_wait_alu 0xfffe
	s_or_b32 exec_lo, exec_lo, s19
	v_sub_co_u32 v77, vcc_lo, v36, 1
	s_wait_dscnt 0x0
	v_add_nc_u32_e32 v76, v78, v76
	s_delay_alu instid0(VALU_DEP_2) | instskip(SKIP_1) | instid1(VALU_DEP_1)
	v_cmp_gt_i32_e64 s19, 0, v77
	s_wait_alu 0xf1ff
	v_cndmask_b32_e64 v77, v77, v36, s19
	v_cmp_lt_u32_e64 s19, 0xff, v1
	s_delay_alu instid0(VALU_DEP_2)
	v_lshlrev_b32_e32 v77, 2, v77
	ds_bpermute_b32 v76, v77, v76
	s_wait_dscnt 0x0
	s_wait_alu 0xfffd
	v_cndmask_b32_e32 v76, v76, v78, vcc_lo
	v_cmp_gt_u32_e32 vcc_lo, 0x100, v1
	s_delay_alu instid0(VALU_DEP_2) | instskip(NEXT) | instid1(VALU_DEP_1)
	v_cndmask_b32_e64 v76, v76, 0, s2
	v_add_nc_u32_e32 v8, v76, v8
	s_delay_alu instid0(VALU_DEP_1) | instskip(NEXT) | instid1(VALU_DEP_1)
	v_add_nc_u32_e32 v9, v8, v9
	v_add_nc_u32_e32 v6, v9, v6
	s_delay_alu instid0(VALU_DEP_1) | instskip(NEXT) | instid1(VALU_DEP_1)
	v_add_nc_u32_e32 v7, v6, v7
	;; [unrolled: 3-line block ×3, first 2 shown]
	v_add_nc_u32_e32 v2, v5, v2
	s_delay_alu instid0(VALU_DEP_1)
	v_add_nc_u32_e32 v3, v2, v3
	ds_store_2addr_b32 v30, v76, v8 offset0:32 offset1:33
	ds_store_2addr_b32 v30, v9, v6 offset0:34 offset1:35
	;; [unrolled: 1-line block ×4, first 2 shown]
	ds_store_b32 v30, v3 offset:160
	s_wait_loadcnt_dscnt 0x0
	s_barrier_signal -1
	s_barrier_wait -1
	global_inv scope:SCOPE_SE
	ds_load_b32 v8, v34 offset:128
	ds_load_b32 v9, v39 offset:128
	;; [unrolled: 1-line block ×16, first 2 shown]
                                        ; implicit-def: $vgpr39
                                        ; implicit-def: $vgpr42
	s_and_saveexec_b32 s21, vcc_lo
	s_cbranch_execz .LBB199_79
; %bb.76:
	v_mul_u32_u24_e32 v2, 0x84, v1
	v_add_nc_u32_e32 v3, 1, v1
	s_mov_b32 s22, exec_lo
	ds_load_b32 v39, v2 offset:128
	v_mov_b32_e32 v2, 0x4000
	v_cmpx_ne_u32_e32 0x100, v3
; %bb.77:
	v_mul_u32_u24_e32 v2, 0x84, v3
	ds_load_b32 v2, v2 offset:128
; %bb.78:
	s_wait_alu 0xfffe
	s_or_b32 exec_lo, exec_lo, s22
	s_wait_dscnt 0x0
	v_sub_nc_u32_e32 v42, v2, v39
.LBB199_79:
	s_wait_alu 0xfffe
	s_or_b32 exec_lo, exec_lo, s21
	v_mov_b32_e32 v3, 0
	v_lshlrev_b32_e32 v45, 2, v1
	s_wait_loadcnt_dscnt 0x0
	s_barrier_signal -1
	s_barrier_wait -1
	global_inv scope:SCOPE_SE
	s_and_saveexec_b32 s20, vcc_lo
	s_cbranch_execz .LBB199_89
; %bb.80:
	v_lshl_add_u32 v2, s25, 8, v1
	v_mov_b32_e32 v69, 0
	s_mov_b32 s21, 0
	s_mov_b32 s22, s25
                                        ; implicit-def: $sgpr23
	s_delay_alu instid0(VALU_DEP_2) | instskip(SKIP_1) | instid1(VALU_DEP_2)
	v_lshlrev_b64_e32 v[4:5], 2, v[2:3]
	v_or_b32_e32 v2, 2.0, v42
	v_add_co_u32 v4, vcc_lo, s26, v4
	s_wait_alu 0xfffd
	s_delay_alu instid0(VALU_DEP_3)
	v_add_co_ci_u32_e64 v5, null, s27, v5, vcc_lo
	global_store_b32 v[4:5], v2, off scope:SCOPE_DEV
	s_branch .LBB199_83
.LBB199_81:                             ;   in Loop: Header=BB199_83 Depth=1
	s_or_b32 exec_lo, exec_lo, s24
.LBB199_82:                             ;   in Loop: Header=BB199_83 Depth=1
	s_delay_alu instid0(SALU_CYCLE_1) | instskip(SKIP_2) | instid1(VALU_DEP_2)
	s_or_b32 exec_lo, exec_lo, s23
	v_and_b32_e32 v6, 0x3fffffff, v2
	v_cmp_gt_i32_e64 s23, -2.0, v2
	v_add_nc_u32_e32 v69, v6, v69
	s_and_b32 s24, exec_lo, s23
	s_wait_alu 0xfffe
	s_or_b32 s21, s24, s21
	s_wait_alu 0xfffe
	s_and_not1_b32 exec_lo, exec_lo, s21
	s_cbranch_execz .LBB199_88
.LBB199_83:                             ; =>This Loop Header: Depth=1
                                        ;     Child Loop BB199_86 Depth 2
	s_or_b32 s23, s23, exec_lo
	s_wait_alu 0xfffe
	s_cmp_eq_u32 s22, 0
	s_cbranch_scc1 .LBB199_87
; %bb.84:                               ;   in Loop: Header=BB199_83 Depth=1
	s_add_co_i32 s22, s22, -1
	s_mov_b32 s23, exec_lo
	s_wait_alu 0xfffe
	v_lshl_or_b32 v2, s22, 8, v1
	s_delay_alu instid0(VALU_DEP_1) | instskip(NEXT) | instid1(VALU_DEP_1)
	v_lshlrev_b64_e32 v[6:7], 2, v[2:3]
	v_add_co_u32 v6, vcc_lo, s26, v6
	s_wait_alu 0xfffd
	s_delay_alu instid0(VALU_DEP_2)
	v_add_co_ci_u32_e64 v7, null, s27, v7, vcc_lo
	global_load_b32 v2, v[6:7], off scope:SCOPE_DEV
	s_wait_loadcnt 0x0
	v_cmpx_gt_u32_e32 2.0, v2
	s_cbranch_execz .LBB199_82
; %bb.85:                               ;   in Loop: Header=BB199_83 Depth=1
	s_mov_b32 s24, 0
.LBB199_86:                             ;   Parent Loop BB199_83 Depth=1
                                        ; =>  This Inner Loop Header: Depth=2
	global_load_b32 v2, v[6:7], off scope:SCOPE_DEV
	s_wait_loadcnt 0x0
	v_cmp_lt_u32_e32 vcc_lo, 0x3fffffff, v2
	s_wait_alu 0xfffe
	s_or_b32 s24, vcc_lo, s24
	s_wait_alu 0xfffe
	s_and_not1_b32 exec_lo, exec_lo, s24
	s_cbranch_execnz .LBB199_86
	s_branch .LBB199_81
.LBB199_87:                             ;   in Loop: Header=BB199_83 Depth=1
                                        ; implicit-def: $sgpr22
	s_and_b32 s24, exec_lo, s23
	s_wait_alu 0xfffe
	s_or_b32 s21, s24, s21
	s_wait_alu 0xfffe
	s_and_not1_b32 exec_lo, exec_lo, s21
	s_cbranch_execnz .LBB199_83
.LBB199_88:
	s_or_b32 exec_lo, exec_lo, s21
	v_add_nc_u32_e32 v2, v69, v42
	v_sub_nc_u32_e32 v3, v69, v39
	s_delay_alu instid0(VALU_DEP_2)
	v_or_b32_e32 v2, 0x80000000, v2
	global_store_b32 v[4:5], v2, off scope:SCOPE_DEV
	global_load_b32 v2, v45, s[28:29]
	s_wait_loadcnt 0x0
	v_add_nc_u32_e32 v2, v3, v2
	ds_store_b32 v45, v2
.LBB199_89:
	s_wait_alu 0xfffe
	s_or_b32 exec_lo, exec_lo, s20
	v_dual_mov_b32 v3, 0 :: v_dual_add_nc_u32 v48, v48, v27
	v_add3_u32 v51, v74, v51, v73
	v_add3_u32 v54, v71, v54, v70
	;; [unrolled: 1-line block ×15, first 2 shown]
	v_mov_b32_e32 v4, v1
	s_mov_b32 s20, 32
	s_mov_b32 s23, 0
	s_mov_b32 s22, -1
	s_mov_b32 s21, 0
	s_branch .LBB199_91
.LBB199_90:                             ;   in Loop: Header=BB199_91 Depth=1
	s_wait_alu 0xfffe
	s_or_b32 exec_lo, exec_lo, s24
	v_add_nc_u32_e32 v4, 0x2000, v4
	s_xor_b32 s23, s22, -1
	s_addk_co_i32 s21, 0xe000
	s_mov_b32 s22, 0
	s_wait_alu 0xfffe
	s_and_b32 vcc_lo, exec_lo, s23
	s_mov_b32 s23, s20
	s_wait_loadcnt 0x0
	s_wait_storecnt 0x0
	s_barrier_signal -1
	s_barrier_wait -1
	global_inv scope:SCOPE_SE
	s_wait_alu 0xfffe
	s_cbranch_vccnz .LBB199_107
.LBB199_91:                             ; =>This Inner Loop Header: Depth=1
	s_wait_alu 0xfffe
	v_add_nc_u32_e32 v2, s21, v48
	v_add_nc_u32_e32 v5, s21, v44
	;; [unrolled: 1-line block ×5, first 2 shown]
	v_min_u32_e32 v2, 0x2000, v2
	v_add_nc_u32_e32 v9, s21, v43
	v_min_u32_e32 v5, 0x2000, v5
	v_min_u32_e32 v6, 0x2000, v6
	;; [unrolled: 1-line block ×3, first 2 shown]
	v_lshlrev_b32_e32 v2, 2, v2
	v_min_u32_e32 v8, 0x2000, v8
	v_min_u32_e32 v9, 0x2000, v9
	v_lshlrev_b32_e32 v5, 2, v5
	v_lshlrev_b32_e32 v6, 2, v6
	ds_store_b32 v2, v12 offset:1024
	v_lshlrev_b32_e32 v2, 2, v7
	v_lshlrev_b32_e32 v7, 2, v8
	v_lshlrev_b32_e32 v8, 2, v9
	ds_store_b32 v5, v11 offset:1024
	ds_store_b32 v6, v14 offset:1024
	;; [unrolled: 1-line block ×5, first 2 shown]
	v_add_nc_u32_e32 v2, s21, v46
	v_add_nc_u32_e32 v5, s21, v49
	;; [unrolled: 1-line block ×5, first 2 shown]
	v_min_u32_e32 v2, 0x2000, v2
	v_min_u32_e32 v5, 0x2000, v5
	;; [unrolled: 1-line block ×5, first 2 shown]
	v_lshlrev_b32_e32 v2, 2, v2
	v_lshlrev_b32_e32 v5, 2, v5
	;; [unrolled: 1-line block ×5, first 2 shown]
	ds_store_b32 v2, v18 offset:1024
	ds_store_b32 v5, v17 offset:1024
	ds_store_b32 v6, v20 offset:1024
	ds_store_b32 v7, v19 offset:1024
	ds_store_b32 v8, v22 offset:1024
	v_add_nc_u32_e32 v2, s21, v61
	v_add_nc_u32_e32 v5, s21, v60
	;; [unrolled: 1-line block ×5, first 2 shown]
	v_min_u32_e32 v2, 0x2000, v2
	v_min_u32_e32 v5, 0x2000, v5
	;; [unrolled: 1-line block ×5, first 2 shown]
	v_lshlrev_b32_e32 v2, 2, v2
	v_lshlrev_b32_e32 v5, 2, v5
	;; [unrolled: 1-line block ×4, first 2 shown]
	s_mov_b32 s24, exec_lo
	v_lshlrev_b32_e32 v8, 2, v8
	ds_store_b32 v2, v21 offset:1024
	ds_store_b32 v5, v24 offset:1024
	;; [unrolled: 1-line block ×5, first 2 shown]
	s_wait_storecnt 0x0
	s_wait_loadcnt_dscnt 0x0
	s_barrier_signal -1
	s_barrier_wait -1
	global_inv scope:SCOPE_SE
	v_cmpx_gt_u32_e64 s33, v4
	s_cbranch_execz .LBB199_93
; %bb.92:                               ;   in Loop: Header=BB199_91 Depth=1
	ds_load_b32 v7, v45 offset:1024
	s_wait_dscnt 0x0
	v_lshrrev_b32_e32 v2, s44, v7
	s_delay_alu instid0(VALU_DEP_1) | instskip(NEXT) | instid1(VALU_DEP_1)
	v_and_b32_e32 v8, s49, v2
	v_lshlrev_b32_e32 v2, 2, v8
	ds_load_b32 v2, v2
	s_wait_dscnt 0x0
	v_add_nc_u32_e32 v2, v4, v2
	s_delay_alu instid0(VALU_DEP_1) | instskip(NEXT) | instid1(VALU_DEP_1)
	v_lshlrev_b64_e32 v[5:6], 2, v[2:3]
	v_add_co_u32 v5, vcc_lo, s38, v5
	s_wait_alu 0xfffd
	s_delay_alu instid0(VALU_DEP_2)
	v_add_co_ci_u32_e64 v6, null, s39, v6, vcc_lo
	global_store_b32 v[5:6], v7, off
	scratch_store_b32 off, v8, s23
.LBB199_93:                             ;   in Loop: Header=BB199_91 Depth=1
	s_wait_alu 0xfffe
	s_or_b32 exec_lo, exec_lo, s24
	v_add_nc_u32_e32 v2, 0x400, v4
	s_mov_b32 s24, exec_lo
	s_delay_alu instid0(VALU_DEP_1)
	v_cmpx_gt_u32_e64 s33, v2
	s_cbranch_execz .LBB199_95
; %bb.94:                               ;   in Loop: Header=BB199_91 Depth=1
	ds_load_b32 v7, v45 offset:5120
	s_wait_dscnt 0x0
	v_lshrrev_b32_e32 v2, s44, v7
	s_delay_alu instid0(VALU_DEP_1) | instskip(NEXT) | instid1(VALU_DEP_1)
	v_and_b32_e32 v8, s49, v2
	v_lshlrev_b32_e32 v2, 2, v8
	ds_load_b32 v2, v2
	s_wait_dscnt 0x0
	v_add3_u32 v2, v4, v2, 0x400
	s_delay_alu instid0(VALU_DEP_1) | instskip(NEXT) | instid1(VALU_DEP_1)
	v_lshlrev_b64_e32 v[5:6], 2, v[2:3]
	v_add_co_u32 v5, vcc_lo, s38, v5
	s_wait_alu 0xfffd
	s_delay_alu instid0(VALU_DEP_2)
	v_add_co_ci_u32_e64 v6, null, s39, v6, vcc_lo
	global_store_b32 v[5:6], v7, off
	scratch_store_b32 off, v8, s23 offset:4
.LBB199_95:                             ;   in Loop: Header=BB199_91 Depth=1
	s_wait_alu 0xfffe
	s_or_b32 exec_lo, exec_lo, s24
	v_add_nc_u32_e32 v2, 0x800, v4
	s_mov_b32 s24, exec_lo
	s_delay_alu instid0(VALU_DEP_1)
	v_cmpx_gt_u32_e64 s33, v2
	s_cbranch_execz .LBB199_97
; %bb.96:                               ;   in Loop: Header=BB199_91 Depth=1
	ds_load_b32 v7, v45 offset:9216
	s_wait_dscnt 0x0
	v_lshrrev_b32_e32 v2, s44, v7
	s_delay_alu instid0(VALU_DEP_1) | instskip(NEXT) | instid1(VALU_DEP_1)
	v_and_b32_e32 v8, s49, v2
	v_lshlrev_b32_e32 v2, 2, v8
	ds_load_b32 v2, v2
	s_wait_dscnt 0x0
	v_add3_u32 v2, v4, v2, 0x800
	s_delay_alu instid0(VALU_DEP_1) | instskip(NEXT) | instid1(VALU_DEP_1)
	v_lshlrev_b64_e32 v[5:6], 2, v[2:3]
	v_add_co_u32 v5, vcc_lo, s38, v5
	s_wait_alu 0xfffd
	s_delay_alu instid0(VALU_DEP_2)
	v_add_co_ci_u32_e64 v6, null, s39, v6, vcc_lo
	global_store_b32 v[5:6], v7, off
	scratch_store_b32 off, v8, s23 offset:8
.LBB199_97:                             ;   in Loop: Header=BB199_91 Depth=1
	;; [unrolled: 26-line block ×3, first 2 shown]
	s_wait_alu 0xfffe
	s_or_b32 exec_lo, exec_lo, s24
	v_add_nc_u32_e32 v2, 0x1000, v4
	s_mov_b32 s24, exec_lo
	s_delay_alu instid0(VALU_DEP_1)
	v_cmpx_gt_u32_e64 s33, v2
	s_cbranch_execz .LBB199_101
; %bb.100:                              ;   in Loop: Header=BB199_91 Depth=1
	ds_load_b32 v7, v45 offset:17408
	s_wait_dscnt 0x0
	v_lshrrev_b32_e32 v2, s44, v7
	s_delay_alu instid0(VALU_DEP_1) | instskip(NEXT) | instid1(VALU_DEP_1)
	v_and_b32_e32 v8, s49, v2
	v_lshlrev_b32_e32 v2, 2, v8
	ds_load_b32 v2, v2
	s_wait_dscnt 0x0
	v_add3_u32 v2, v4, v2, 0x1000
	s_delay_alu instid0(VALU_DEP_1) | instskip(NEXT) | instid1(VALU_DEP_1)
	v_lshlrev_b64_e32 v[5:6], 2, v[2:3]
	v_add_co_u32 v5, vcc_lo, s38, v5
	s_wait_alu 0xfffd
	s_delay_alu instid0(VALU_DEP_2)
	v_add_co_ci_u32_e64 v6, null, s39, v6, vcc_lo
	global_store_b32 v[5:6], v7, off
	scratch_store_b32 off, v8, s23 offset:16
.LBB199_101:                            ;   in Loop: Header=BB199_91 Depth=1
	s_wait_alu 0xfffe
	s_or_b32 exec_lo, exec_lo, s24
	v_add_nc_u32_e32 v2, 0x1400, v4
	s_mov_b32 s24, exec_lo
	s_delay_alu instid0(VALU_DEP_1)
	v_cmpx_gt_u32_e64 s33, v2
	s_cbranch_execz .LBB199_103
; %bb.102:                              ;   in Loop: Header=BB199_91 Depth=1
	ds_load_b32 v7, v45 offset:21504
	s_wait_dscnt 0x0
	v_lshrrev_b32_e32 v2, s44, v7
	s_delay_alu instid0(VALU_DEP_1) | instskip(NEXT) | instid1(VALU_DEP_1)
	v_and_b32_e32 v8, s49, v2
	v_lshlrev_b32_e32 v2, 2, v8
	ds_load_b32 v2, v2
	s_wait_dscnt 0x0
	v_add3_u32 v2, v4, v2, 0x1400
	s_delay_alu instid0(VALU_DEP_1) | instskip(NEXT) | instid1(VALU_DEP_1)
	v_lshlrev_b64_e32 v[5:6], 2, v[2:3]
	v_add_co_u32 v5, vcc_lo, s38, v5
	s_wait_alu 0xfffd
	s_delay_alu instid0(VALU_DEP_2)
	v_add_co_ci_u32_e64 v6, null, s39, v6, vcc_lo
	global_store_b32 v[5:6], v7, off
	scratch_store_b32 off, v8, s23 offset:20
.LBB199_103:                            ;   in Loop: Header=BB199_91 Depth=1
	;; [unrolled: 26-line block ×3, first 2 shown]
	s_wait_alu 0xfffe
	s_or_b32 exec_lo, exec_lo, s24
	v_add_nc_u32_e32 v2, 0x1c00, v4
	s_mov_b32 s24, exec_lo
	s_delay_alu instid0(VALU_DEP_1)
	v_cmpx_gt_u32_e64 s33, v2
	s_cbranch_execz .LBB199_90
; %bb.106:                              ;   in Loop: Header=BB199_91 Depth=1
	ds_load_b32 v7, v45 offset:29696
	s_wait_dscnt 0x0
	v_lshrrev_b32_e32 v2, s44, v7
	s_delay_alu instid0(VALU_DEP_1) | instskip(NEXT) | instid1(VALU_DEP_1)
	v_and_b32_e32 v8, s49, v2
	v_lshlrev_b32_e32 v2, 2, v8
	ds_load_b32 v2, v2
	s_wait_dscnt 0x0
	v_add3_u32 v2, v4, v2, 0x1c00
	s_delay_alu instid0(VALU_DEP_1) | instskip(NEXT) | instid1(VALU_DEP_1)
	v_lshlrev_b64_e32 v[5:6], 2, v[2:3]
	v_add_co_u32 v5, vcc_lo, s38, v5
	s_wait_alu 0xfffd
	s_delay_alu instid0(VALU_DEP_2)
	v_add_co_ci_u32_e64 v6, null, s39, v6, vcc_lo
	global_store_b32 v[5:6], v7, off
	scratch_store_b32 off, v8, s23 offset:28
	s_branch .LBB199_90
.LBB199_107:
	v_dual_mov_b32 v3, 0 :: v_dual_lshlrev_b32 v2, 3, v36
	s_lshl_b64 s[20:21], s[46:47], 3
	v_lshlrev_b32_e32 v4, 3, v10
	s_wait_alu 0xfffe
	s_add_nc_u64 s[20:21], s[40:41], s[20:21]
	s_wait_alu 0xfffe
	v_add_co_u32 v2, s20, s20, v2
	s_wait_alu 0xf1ff
	v_add_co_ci_u32_e64 v5, null, s21, 0, s20
	s_delay_alu instid0(VALU_DEP_2) | instskip(SKIP_1) | instid1(VALU_DEP_2)
	v_add_co_u32 v34, vcc_lo, v2, v4
	s_wait_alu 0xfffd
	v_add_co_ci_u32_e64 v35, null, 0, v5, vcc_lo
	v_dual_mov_b32 v5, 0 :: v_dual_mov_b32 v4, 0
	s_and_saveexec_b32 s20, s18
	s_cbranch_execz .LBB199_109
; %bb.108:
	global_load_b64 v[4:5], v[34:35], off
.LBB199_109:
	s_wait_alu 0xfffe
	s_or_b32 exec_lo, exec_lo, s20
	v_mov_b32_e32 v2, 0
	s_and_saveexec_b32 s18, s17
	s_cbranch_execz .LBB199_111
; %bb.110:
	global_load_b64 v[2:3], v[34:35], off offset:256
.LBB199_111:
	s_wait_alu 0xfffe
	s_or_b32 exec_lo, exec_lo, s18
	v_dual_mov_b32 v7, 0 :: v_dual_mov_b32 v8, 0
	v_mov_b32_e32 v9, 0
	s_and_saveexec_b32 s17, s16
	s_cbranch_execz .LBB199_113
; %bb.112:
	global_load_b64 v[8:9], v[34:35], off offset:512
.LBB199_113:
	s_or_b32 exec_lo, exec_lo, s17
	v_mov_b32_e32 v6, 0
	s_and_saveexec_b32 s16, s15
	s_cbranch_execz .LBB199_115
; %bb.114:
	global_load_b64 v[6:7], v[34:35], off offset:768
.LBB199_115:
	s_or_b32 exec_lo, exec_lo, s16
	v_dual_mov_b32 v11, 0 :: v_dual_mov_b32 v12, 0
	v_mov_b32_e32 v13, 0
	s_and_saveexec_b32 s15, s14
	s_cbranch_execz .LBB199_117
; %bb.116:
	global_load_b64 v[12:13], v[34:35], off offset:1024
.LBB199_117:
	s_or_b32 exec_lo, exec_lo, s15
	v_mov_b32_e32 v10, 0
	s_and_saveexec_b32 s14, s13
	s_cbranch_execz .LBB199_119
; %bb.118:
	global_load_b64 v[10:11], v[34:35], off offset:1280
.LBB199_119:
	;; [unrolled: 15-line block ×6, first 2 shown]
	s_or_b32 exec_lo, exec_lo, s6
	v_dual_mov_b32 v31, 0 :: v_dual_mov_b32 v32, 0
	v_mov_b32_e32 v33, 0
	s_and_saveexec_b32 s5, s4
	s_cbranch_execz .LBB199_137
; %bb.136:
	global_load_b64 v[32:33], v[34:35], off offset:3584
.LBB199_137:
	s_wait_alu 0xfffe
	s_or_b32 exec_lo, exec_lo, s5
	v_mov_b32_e32 v30, 0
	s_and_saveexec_b32 s4, s3
	s_cbranch_execz .LBB199_139
; %bb.138:
	global_load_b64 v[30:31], v[34:35], off offset:3840
.LBB199_139:
	s_wait_alu 0xfffe
	s_or_b32 exec_lo, exec_lo, s4
	v_dual_mov_b32 v50, v1 :: v_dual_lshlrev_b32 v47, 3, v1
	v_mov_b32_e32 v35, 0
	s_or_b32 s3, 0, 8
	s_mov_b32 s4, 0
	s_branch .LBB199_141
.LBB199_140:                            ;   in Loop: Header=BB199_141 Depth=1
	s_wait_alu 0xfffe
	s_or_b32 exec_lo, exec_lo, s5
	v_add_nc_u32_e32 v50, 0x1000, v50
	s_addk_co_i32 s4, 0xf000
	s_add_co_i32 s3, s3, 16
	s_wait_alu 0xfffe
	s_cmp_eq_u32 s4, 0xffffc000
	s_wait_loadcnt 0x0
	s_wait_storecnt 0x0
	s_barrier_signal -1
	s_barrier_wait -1
	global_inv scope:SCOPE_SE
	s_cbranch_scc1 .LBB199_149
.LBB199_141:                            ; =>This Inner Loop Header: Depth=1
	s_wait_alu 0xfffe
	v_add_nc_u32_e32 v34, s4, v48
	v_add_nc_u32_e32 v53, s4, v44
	;; [unrolled: 1-line block ×5, first 2 shown]
	v_min_u32_e32 v34, 0x1000, v34
	v_add_nc_u32_e32 v63, s4, v43
	v_min_u32_e32 v53, 0x1000, v53
	v_min_u32_e32 v56, 0x1000, v56
	;; [unrolled: 1-line block ×3, first 2 shown]
	v_lshlrev_b32_e32 v34, 3, v34
	v_min_u32_e32 v62, 0x1000, v62
	v_min_u32_e32 v63, 0x1000, v63
	v_lshlrev_b32_e32 v53, 3, v53
	v_lshlrev_b32_e32 v56, 3, v56
	s_wait_loadcnt 0x0
	ds_store_b64 v34, v[4:5] offset:1024
	v_lshlrev_b32_e32 v34, 3, v59
	v_lshlrev_b32_e32 v59, 3, v62
	;; [unrolled: 1-line block ×3, first 2 shown]
	ds_store_b64 v53, v[2:3] offset:1024
	ds_store_b64 v56, v[8:9] offset:1024
	;; [unrolled: 1-line block ×5, first 2 shown]
	v_add_nc_u32_e32 v34, s4, v46
	v_add_nc_u32_e32 v53, s4, v49
	;; [unrolled: 1-line block ×5, first 2 shown]
	v_min_u32_e32 v34, 0x1000, v34
	v_min_u32_e32 v53, 0x1000, v53
	;; [unrolled: 1-line block ×5, first 2 shown]
	v_lshlrev_b32_e32 v34, 3, v34
	v_lshlrev_b32_e32 v53, 3, v53
	v_lshlrev_b32_e32 v56, 3, v56
	v_lshlrev_b32_e32 v59, 3, v59
	v_lshlrev_b32_e32 v62, 3, v62
	ds_store_b64 v34, v[16:17] offset:1024
	ds_store_b64 v53, v[14:15] offset:1024
	ds_store_b64 v56, v[20:21] offset:1024
	ds_store_b64 v59, v[18:19] offset:1024
	ds_store_b64 v62, v[24:25] offset:1024
	v_add_nc_u32_e32 v34, s4, v61
	v_add_nc_u32_e32 v53, s4, v60
	;; [unrolled: 1-line block ×5, first 2 shown]
	v_min_u32_e32 v34, 0x1000, v34
	v_min_u32_e32 v53, 0x1000, v53
	;; [unrolled: 1-line block ×5, first 2 shown]
	v_lshlrev_b32_e32 v34, 3, v34
	v_lshlrev_b32_e32 v53, 3, v53
	;; [unrolled: 1-line block ×4, first 2 shown]
	s_mov_b32 s5, exec_lo
	v_lshlrev_b32_e32 v62, 3, v62
	ds_store_b64 v34, v[22:23] offset:1024
	ds_store_b64 v53, v[28:29] offset:1024
	;; [unrolled: 1-line block ×5, first 2 shown]
	s_wait_dscnt 0x0
	s_barrier_signal -1
	s_barrier_wait -1
	global_inv scope:SCOPE_SE
	v_cmpx_gt_u32_e64 s33, v50
	s_cbranch_execz .LBB199_143
; %bb.142:                              ;   in Loop: Header=BB199_141 Depth=1
	scratch_load_b32 v34, off, s3 offset:-8
	s_wait_loadcnt 0x0
	v_lshlrev_b32_e32 v34, 2, v34
	ds_load_b32 v34, v34
	ds_load_b64 v[62:63], v47 offset:1024
	s_wait_dscnt 0x1
	v_add_nc_u32_e32 v34, v50, v34
	s_delay_alu instid0(VALU_DEP_1) | instskip(NEXT) | instid1(VALU_DEP_1)
	v_lshlrev_b64_e32 v[64:65], 3, v[34:35]
	v_add_co_u32 v64, vcc_lo, s42, v64
	s_wait_alu 0xfffd
	s_delay_alu instid0(VALU_DEP_2)
	v_add_co_ci_u32_e64 v65, null, s43, v65, vcc_lo
	s_wait_dscnt 0x0
	global_store_b64 v[64:65], v[62:63], off
.LBB199_143:                            ;   in Loop: Header=BB199_141 Depth=1
	s_wait_alu 0xfffe
	s_or_b32 exec_lo, exec_lo, s5
	v_add_nc_u32_e32 v34, 0x400, v50
	s_mov_b32 s5, exec_lo
	s_delay_alu instid0(VALU_DEP_1)
	v_cmpx_gt_u32_e64 s33, v34
	s_cbranch_execz .LBB199_145
; %bb.144:                              ;   in Loop: Header=BB199_141 Depth=1
	scratch_load_b32 v34, off, s3 offset:-4
	s_wait_loadcnt 0x0
	v_lshlrev_b32_e32 v34, 2, v34
	ds_load_b32 v34, v34
	ds_load_b64 v[62:63], v47 offset:9216
	s_wait_dscnt 0x1
	v_add3_u32 v34, v50, v34, 0x400
	s_delay_alu instid0(VALU_DEP_1) | instskip(NEXT) | instid1(VALU_DEP_1)
	v_lshlrev_b64_e32 v[64:65], 3, v[34:35]
	v_add_co_u32 v64, vcc_lo, s42, v64
	s_wait_alu 0xfffd
	s_delay_alu instid0(VALU_DEP_2)
	v_add_co_ci_u32_e64 v65, null, s43, v65, vcc_lo
	s_wait_dscnt 0x0
	global_store_b64 v[64:65], v[62:63], off
.LBB199_145:                            ;   in Loop: Header=BB199_141 Depth=1
	s_wait_alu 0xfffe
	s_or_b32 exec_lo, exec_lo, s5
	v_add_nc_u32_e32 v34, 0x800, v50
	s_mov_b32 s5, exec_lo
	s_delay_alu instid0(VALU_DEP_1)
	v_cmpx_gt_u32_e64 s33, v34
	s_cbranch_execz .LBB199_147
; %bb.146:                              ;   in Loop: Header=BB199_141 Depth=1
	scratch_load_b32 v34, off, s3
	s_wait_loadcnt 0x0
	v_lshlrev_b32_e32 v34, 2, v34
	ds_load_b32 v34, v34
	ds_load_b64 v[62:63], v47 offset:17408
	s_wait_dscnt 0x1
	v_add3_u32 v34, v50, v34, 0x800
	s_delay_alu instid0(VALU_DEP_1) | instskip(NEXT) | instid1(VALU_DEP_1)
	v_lshlrev_b64_e32 v[64:65], 3, v[34:35]
	v_add_co_u32 v64, vcc_lo, s42, v64
	s_wait_alu 0xfffd
	s_delay_alu instid0(VALU_DEP_2)
	v_add_co_ci_u32_e64 v65, null, s43, v65, vcc_lo
	s_wait_dscnt 0x0
	global_store_b64 v[64:65], v[62:63], off
.LBB199_147:                            ;   in Loop: Header=BB199_141 Depth=1
	s_wait_alu 0xfffe
	s_or_b32 exec_lo, exec_lo, s5
	v_add_nc_u32_e32 v34, 0xc00, v50
	s_mov_b32 s5, exec_lo
	s_delay_alu instid0(VALU_DEP_1)
	v_cmpx_gt_u32_e64 s33, v34
	s_cbranch_execz .LBB199_140
; %bb.148:                              ;   in Loop: Header=BB199_141 Depth=1
	scratch_load_b32 v34, off, s3 offset:4
	s_wait_loadcnt 0x0
	v_lshlrev_b32_e32 v34, 2, v34
	ds_load_b32 v34, v34
	ds_load_b64 v[62:63], v47 offset:25600
	s_wait_dscnt 0x1
	v_add3_u32 v34, v50, v34, 0xc00
	s_delay_alu instid0(VALU_DEP_1) | instskip(NEXT) | instid1(VALU_DEP_1)
	v_lshlrev_b64_e32 v[64:65], 3, v[34:35]
	v_add_co_u32 v64, vcc_lo, s42, v64
	s_wait_alu 0xfffd
	s_delay_alu instid0(VALU_DEP_2)
	v_add_co_ci_u32_e64 v65, null, s43, v65, vcc_lo
	s_wait_dscnt 0x0
	global_store_b64 v[64:65], v[62:63], off
	s_branch .LBB199_140
.LBB199_149:
	s_add_co_i32 s48, s48, -1
	s_wait_alu 0xfffe
	s_cmp_eq_u32 s25, s48
	s_cselect_b32 s3, -1, 0
	s_xor_b32 s4, s19, -1
	s_wait_alu 0xfffe
	s_and_b32 s4, s4, s3
	s_wait_alu 0xfffe
	s_and_saveexec_b32 s3, s4
	s_cbranch_execz .LBB199_151
; %bb.150:
	ds_load_b32 v2, v45
	s_wait_dscnt 0x0
	v_add3_u32 v2, v39, v42, v2
	global_store_b32 v45, v2, s[30:31]
.LBB199_151:
	s_wait_alu 0xfffe
	s_or_b32 exec_lo, exec_lo, s3
	s_mov_b32 s4, 0
.LBB199_152:
	s_wait_alu 0xfffe
	s_and_b32 vcc_lo, exec_lo, s4
	s_wait_alu 0xfffe
	s_cbranch_vccz .LBB199_211
; %bb.153:
	s_lshl_b32 s8, s25, 14
	s_mov_b32 s9, 0
	v_and_b32_e32 v10, 0x3e00, v37
	v_lshlrev_b32_e32 v2, 2, v36
	s_lshl_b64 s[4:5], s[8:9], 2
	s_wait_alu 0xfffe
	s_add_nc_u64 s[4:5], s[36:37], s[4:5]
	v_lshlrev_b32_e32 v3, 2, v10
	s_wait_alu 0xfffe
	v_add_co_u32 v2, s3, s4, v2
	s_wait_alu 0xf1ff
	v_add_co_ci_u32_e64 v4, null, s5, 0, s3
	s_delay_alu instid0(VALU_DEP_2) | instskip(SKIP_1) | instid1(VALU_DEP_2)
	v_add_co_u32 v2, vcc_lo, v2, v3
	s_wait_alu 0xfffd
	v_add_co_ci_u32_e64 v3, null, 0, v4, vcc_lo
	s_clause 0xf
	global_load_b32 v11, v[2:3], off
	global_load_b32 v12, v[2:3], off offset:128
	global_load_b32 v13, v[2:3], off offset:256
	;; [unrolled: 1-line block ×15, first 2 shown]
	s_clause 0x1
	s_load_b32 s7, s[0:1], 0x58
	s_load_u16 s3, s[0:1], 0x66
	s_wait_kmcnt 0x0
	s_cmp_lt_u32 ttmp9, s7
	s_cselect_b32 s0, 12, 18
	s_lshl_b32 s1, -1, s45
	s_delay_alu instid0(SALU_CYCLE_1) | instskip(SKIP_1) | instid1(SALU_CYCLE_1)
	s_not_b32 s10, s1
	s_mov_b32 s1, s9
	s_add_nc_u64 s[0:1], s[34:35], s[0:1]
	s_load_u16 s1, s[0:1], 0x0
	s_wait_loadcnt 0xf
	v_lshrrev_b32_e32 v2, s44, v11
	s_delay_alu instid0(VALU_DEP_1) | instskip(SKIP_2) | instid1(VALU_DEP_3)
	v_and_b32_e32 v4, s10, v2
	v_bfe_u32 v2, v0, 10, 10
	v_bfe_u32 v0, v0, 20, 10
	v_and_b32_e32 v3, 1, v4
	v_lshlrev_b32_e32 v5, 30, v4
	v_lshlrev_b32_e32 v6, 29, v4
	;; [unrolled: 1-line block ×4, first 2 shown]
	v_add_co_u32 v3, s0, v3, -1
	s_delay_alu instid0(VALU_DEP_1)
	v_cndmask_b32_e64 v8, 0, 1, s0
	v_not_b32_e32 v29, v5
	v_cmp_gt_i32_e64 s0, 0, v5
	v_not_b32_e32 v5, v6
	v_lshlrev_b32_e32 v27, 26, v4
	v_cmp_ne_u32_e32 vcc_lo, 0, v8
	v_ashrrev_i32_e32 v29, 31, v29
	v_lshlrev_b32_e32 v28, 25, v4
	v_ashrrev_i32_e32 v5, 31, v5
	v_lshlrev_b32_e32 v8, 24, v4
	s_wait_alu 0xfffd
	v_xor_b32_e32 v3, vcc_lo, v3
	v_cmp_gt_i32_e32 vcc_lo, 0, v6
	v_not_b32_e32 v6, v7
	s_wait_alu 0xf1ff
	v_xor_b32_e32 v29, s0, v29
	v_cmp_gt_i32_e64 s0, 0, v7
	v_and_b32_e32 v3, exec_lo, v3
	v_not_b32_e32 v7, v9
	v_ashrrev_i32_e32 v6, 31, v6
	s_wait_alu 0xfffd
	v_xor_b32_e32 v5, vcc_lo, v5
	v_cmp_gt_i32_e32 vcc_lo, 0, v9
	v_and_b32_e32 v3, v3, v29
	v_not_b32_e32 v9, v27
	v_ashrrev_i32_e32 v7, 31, v7
	s_wait_alu 0xf1ff
	v_xor_b32_e32 v6, s0, v6
	v_cmp_gt_i32_e64 s0, 0, v27
	v_and_b32_e32 v3, v3, v5
	v_not_b32_e32 v5, v28
	v_ashrrev_i32_e32 v9, 31, v9
	s_wait_alu 0xfffd
	v_xor_b32_e32 v7, vcc_lo, v7
	v_cmp_gt_i32_e32 vcc_lo, 0, v28
	v_and_b32_e32 v3, v3, v6
	v_ashrrev_i32_e32 v5, 31, v5
	s_wait_alu 0xf1ff
	v_xor_b32_e32 v9, s0, v9
	v_not_b32_e32 v6, v8
	v_mad_u32_u24 v0, v0, s3, v2
	v_and_b32_e32 v3, v3, v7
	s_wait_alu 0xfffd
	v_xor_b32_e32 v5, vcc_lo, v5
	v_cmp_gt_i32_e64 s0, 0, v8
	v_ashrrev_i32_e32 v6, 31, v6
	v_mul_lo_u32 v4, 0x84, v4
	v_and_b32_e32 v3, v3, v9
	v_mul_u32_u24_e32 v29, 36, v1
	v_mov_b32_e32 v7, 0
	s_wait_alu 0xf1ff
	v_xor_b32_e32 v6, s0, v6
	ds_store_2addr_b32 v29, v7, v7 offset0:32 offset1:33
	ds_store_2addr_b32 v29, v7, v7 offset0:34 offset1:35
	;; [unrolled: 1-line block ×4, first 2 shown]
	v_and_b32_e32 v5, v3, v5
	s_wait_kmcnt 0x0
	v_mad_co_u64_u32 v[2:3], null, v0, s1, v[1:2]
	ds_store_b32 v29, v7 offset:160
	s_wait_storecnt 0x0
	s_wait_loadcnt_dscnt 0x0
	v_and_b32_e32 v3, v5, v6
	s_barrier_signal -1
	s_barrier_wait -1
	global_inv scope:SCOPE_SE
	v_lshrrev_b32_e32 v2, 3, v2
	v_mbcnt_lo_u32_b32 v0, v3, 0
	v_cmp_ne_u32_e64 s0, 0, v3
	; wave barrier
	s_delay_alu instid0(VALU_DEP_3) | instskip(NEXT) | instid1(VALU_DEP_3)
	v_and_b32_e32 v2, 0x1ffffffc, v2
	v_cmp_eq_u32_e32 vcc_lo, 0, v0
	s_delay_alu instid0(VALU_DEP_2)
	v_add_nc_u32_e32 v30, v2, v4
	s_and_b32 s1, s0, vcc_lo
	s_wait_alu 0xfffe
	s_and_saveexec_b32 s0, s1
; %bb.154:
	v_bcnt_u32_b32 v3, v3, 0
	ds_store_b32 v30, v3 offset:128
; %bb.155:
	s_wait_alu 0xfffe
	s_or_b32 exec_lo, exec_lo, s0
	v_lshrrev_b32_e32 v3, s44, v12
	; wave barrier
	s_delay_alu instid0(VALU_DEP_1) | instskip(NEXT) | instid1(VALU_DEP_1)
	v_and_b32_e32 v3, s10, v3
	v_and_b32_e32 v5, 1, v3
	v_lshlrev_b32_e32 v6, 30, v3
	v_lshlrev_b32_e32 v7, 29, v3
	;; [unrolled: 1-line block ×4, first 2 shown]
	v_add_co_u32 v5, s0, v5, -1
	s_wait_alu 0xf1ff
	v_cndmask_b32_e64 v9, 0, 1, s0
	v_not_b32_e32 v32, v6
	v_cmp_gt_i32_e64 s0, 0, v6
	v_not_b32_e32 v6, v7
	v_lshlrev_b32_e32 v28, 26, v3
	v_cmp_ne_u32_e32 vcc_lo, 0, v9
	v_ashrrev_i32_e32 v9, 31, v32
	v_lshlrev_b32_e32 v31, 25, v3
	v_ashrrev_i32_e32 v6, 31, v6
	v_mul_lo_u32 v4, 0x84, v3
	s_wait_alu 0xfffd
	v_xor_b32_e32 v5, vcc_lo, v5
	v_cmp_gt_i32_e32 vcc_lo, 0, v7
	v_not_b32_e32 v7, v8
	s_wait_alu 0xf1ff
	v_xor_b32_e32 v9, s0, v9
	v_cmp_gt_i32_e64 s0, 0, v8
	v_and_b32_e32 v5, exec_lo, v5
	v_not_b32_e32 v8, v27
	v_ashrrev_i32_e32 v7, 31, v7
	s_wait_alu 0xfffd
	v_xor_b32_e32 v6, vcc_lo, v6
	v_cmp_gt_i32_e32 vcc_lo, 0, v27
	v_and_b32_e32 v5, v5, v9
	v_not_b32_e32 v9, v28
	v_ashrrev_i32_e32 v8, 31, v8
	s_wait_alu 0xf1ff
	v_xor_b32_e32 v7, s0, v7
	v_lshlrev_b32_e32 v3, 24, v3
	v_and_b32_e32 v5, v5, v6
	v_cmp_gt_i32_e64 s0, 0, v28
	v_not_b32_e32 v6, v31
	v_ashrrev_i32_e32 v9, 31, v9
	s_wait_alu 0xfffd
	v_xor_b32_e32 v8, vcc_lo, v8
	v_and_b32_e32 v5, v5, v7
	v_cmp_gt_i32_e32 vcc_lo, 0, v31
	v_not_b32_e32 v7, v3
	v_ashrrev_i32_e32 v6, 31, v6
	s_wait_alu 0xf1ff
	v_xor_b32_e32 v9, s0, v9
	v_and_b32_e32 v5, v5, v8
	v_cmp_gt_i32_e64 s0, 0, v3
	v_ashrrev_i32_e32 v3, 31, v7
	s_wait_alu 0xfffd
	v_xor_b32_e32 v6, vcc_lo, v6
	v_add_nc_u32_e32 v33, v2, v4
	v_and_b32_e32 v5, v5, v9
	s_wait_alu 0xf1ff
	v_xor_b32_e32 v3, s0, v3
	ds_load_b32 v27, v33 offset:128
	v_and_b32_e32 v4, v5, v6
	; wave barrier
	s_delay_alu instid0(VALU_DEP_1) | instskip(NEXT) | instid1(VALU_DEP_1)
	v_and_b32_e32 v3, v4, v3
	v_mbcnt_lo_u32_b32 v28, v3, 0
	v_cmp_ne_u32_e64 s0, 0, v3
	s_delay_alu instid0(VALU_DEP_2)
	v_cmp_eq_u32_e32 vcc_lo, 0, v28
	s_and_b32 s1, s0, vcc_lo
	s_wait_alu 0xfffe
	s_and_saveexec_b32 s0, s1
	s_cbranch_execz .LBB199_157
; %bb.156:
	s_wait_dscnt 0x0
	v_bcnt_u32_b32 v3, v3, v27
	ds_store_b32 v33, v3 offset:128
.LBB199_157:
	s_wait_alu 0xfffe
	s_or_b32 exec_lo, exec_lo, s0
	v_lshrrev_b32_e32 v3, s44, v13
	; wave barrier
	s_delay_alu instid0(VALU_DEP_1) | instskip(NEXT) | instid1(VALU_DEP_1)
	v_and_b32_e32 v3, s10, v3
	v_and_b32_e32 v5, 1, v3
	v_lshlrev_b32_e32 v6, 30, v3
	v_lshlrev_b32_e32 v7, 29, v3
	;; [unrolled: 1-line block ×4, first 2 shown]
	v_add_co_u32 v5, s0, v5, -1
	s_wait_alu 0xf1ff
	v_cndmask_b32_e64 v9, 0, 1, s0
	v_not_b32_e32 v35, v6
	v_cmp_gt_i32_e64 s0, 0, v6
	v_not_b32_e32 v6, v7
	v_lshlrev_b32_e32 v32, 26, v3
	v_cmp_ne_u32_e32 vcc_lo, 0, v9
	v_ashrrev_i32_e32 v9, 31, v35
	v_lshlrev_b32_e32 v34, 25, v3
	v_ashrrev_i32_e32 v6, 31, v6
	v_mul_lo_u32 v4, 0x84, v3
	s_wait_alu 0xfffd
	v_xor_b32_e32 v5, vcc_lo, v5
	v_cmp_gt_i32_e32 vcc_lo, 0, v7
	v_not_b32_e32 v7, v8
	s_wait_alu 0xf1ff
	v_xor_b32_e32 v9, s0, v9
	v_cmp_gt_i32_e64 s0, 0, v8
	v_and_b32_e32 v5, exec_lo, v5
	v_not_b32_e32 v8, v31
	v_ashrrev_i32_e32 v7, 31, v7
	s_wait_alu 0xfffd
	v_xor_b32_e32 v6, vcc_lo, v6
	v_cmp_gt_i32_e32 vcc_lo, 0, v31
	v_and_b32_e32 v5, v5, v9
	v_not_b32_e32 v9, v32
	v_ashrrev_i32_e32 v8, 31, v8
	s_wait_alu 0xf1ff
	v_xor_b32_e32 v7, s0, v7
	v_lshlrev_b32_e32 v3, 24, v3
	v_and_b32_e32 v5, v5, v6
	v_cmp_gt_i32_e64 s0, 0, v32
	v_not_b32_e32 v6, v34
	v_ashrrev_i32_e32 v9, 31, v9
	s_wait_alu 0xfffd
	v_xor_b32_e32 v8, vcc_lo, v8
	v_and_b32_e32 v5, v5, v7
	v_cmp_gt_i32_e32 vcc_lo, 0, v34
	v_not_b32_e32 v7, v3
	v_ashrrev_i32_e32 v6, 31, v6
	s_wait_alu 0xf1ff
	v_xor_b32_e32 v9, s0, v9
	v_and_b32_e32 v5, v5, v8
	v_cmp_gt_i32_e64 s0, 0, v3
	v_ashrrev_i32_e32 v3, 31, v7
	s_wait_alu 0xfffd
	v_xor_b32_e32 v6, vcc_lo, v6
	v_add_nc_u32_e32 v37, v2, v4
	v_and_b32_e32 v5, v5, v9
	s_wait_alu 0xf1ff
	v_xor_b32_e32 v3, s0, v3
	ds_load_b32 v31, v37 offset:128
	v_and_b32_e32 v4, v5, v6
	; wave barrier
	s_delay_alu instid0(VALU_DEP_1) | instskip(NEXT) | instid1(VALU_DEP_1)
	v_and_b32_e32 v3, v4, v3
	v_mbcnt_lo_u32_b32 v32, v3, 0
	v_cmp_ne_u32_e64 s0, 0, v3
	s_delay_alu instid0(VALU_DEP_2)
	v_cmp_eq_u32_e32 vcc_lo, 0, v32
	s_and_b32 s1, s0, vcc_lo
	s_wait_alu 0xfffe
	s_and_saveexec_b32 s0, s1
	s_cbranch_execz .LBB199_159
; %bb.158:
	s_wait_dscnt 0x0
	v_bcnt_u32_b32 v3, v3, v31
	ds_store_b32 v37, v3 offset:128
.LBB199_159:
	s_wait_alu 0xfffe
	s_or_b32 exec_lo, exec_lo, s0
	v_lshrrev_b32_e32 v3, s44, v14
	; wave barrier
	s_delay_alu instid0(VALU_DEP_1) | instskip(NEXT) | instid1(VALU_DEP_1)
	v_and_b32_e32 v3, s10, v3
	v_and_b32_e32 v5, 1, v3
	v_lshlrev_b32_e32 v6, 30, v3
	v_lshlrev_b32_e32 v7, 29, v3
	;; [unrolled: 1-line block ×4, first 2 shown]
	v_add_co_u32 v5, s0, v5, -1
	s_wait_alu 0xf1ff
	v_cndmask_b32_e64 v9, 0, 1, s0
	v_not_b32_e32 v39, v6
	v_cmp_gt_i32_e64 s0, 0, v6
	v_not_b32_e32 v6, v7
	v_lshlrev_b32_e32 v35, 26, v3
	v_cmp_ne_u32_e32 vcc_lo, 0, v9
	v_ashrrev_i32_e32 v9, 31, v39
	v_lshlrev_b32_e32 v38, 25, v3
	v_ashrrev_i32_e32 v6, 31, v6
	v_mul_lo_u32 v4, 0x84, v3
	s_wait_alu 0xfffd
	v_xor_b32_e32 v5, vcc_lo, v5
	v_cmp_gt_i32_e32 vcc_lo, 0, v7
	v_not_b32_e32 v7, v8
	s_wait_alu 0xf1ff
	v_xor_b32_e32 v9, s0, v9
	v_cmp_gt_i32_e64 s0, 0, v8
	v_and_b32_e32 v5, exec_lo, v5
	v_not_b32_e32 v8, v34
	v_ashrrev_i32_e32 v7, 31, v7
	s_wait_alu 0xfffd
	v_xor_b32_e32 v6, vcc_lo, v6
	v_cmp_gt_i32_e32 vcc_lo, 0, v34
	v_and_b32_e32 v5, v5, v9
	v_not_b32_e32 v9, v35
	v_ashrrev_i32_e32 v8, 31, v8
	s_wait_alu 0xf1ff
	v_xor_b32_e32 v7, s0, v7
	v_lshlrev_b32_e32 v3, 24, v3
	v_and_b32_e32 v5, v5, v6
	v_cmp_gt_i32_e64 s0, 0, v35
	v_not_b32_e32 v6, v38
	v_ashrrev_i32_e32 v9, 31, v9
	s_wait_alu 0xfffd
	v_xor_b32_e32 v8, vcc_lo, v8
	v_and_b32_e32 v5, v5, v7
	v_cmp_gt_i32_e32 vcc_lo, 0, v38
	v_not_b32_e32 v7, v3
	v_ashrrev_i32_e32 v6, 31, v6
	s_wait_alu 0xf1ff
	v_xor_b32_e32 v9, s0, v9
	v_and_b32_e32 v5, v5, v8
	v_cmp_gt_i32_e64 s0, 0, v3
	v_ashrrev_i32_e32 v3, 31, v7
	s_wait_alu 0xfffd
	v_xor_b32_e32 v6, vcc_lo, v6
	v_add_nc_u32_e32 v40, v2, v4
	v_and_b32_e32 v5, v5, v9
	s_wait_alu 0xf1ff
	v_xor_b32_e32 v3, s0, v3
	ds_load_b32 v34, v40 offset:128
	v_and_b32_e32 v4, v5, v6
	; wave barrier
	s_delay_alu instid0(VALU_DEP_1) | instskip(NEXT) | instid1(VALU_DEP_1)
	v_and_b32_e32 v3, v4, v3
	v_mbcnt_lo_u32_b32 v35, v3, 0
	v_cmp_ne_u32_e64 s0, 0, v3
	s_delay_alu instid0(VALU_DEP_2)
	v_cmp_eq_u32_e32 vcc_lo, 0, v35
	s_and_b32 s1, s0, vcc_lo
	s_wait_alu 0xfffe
	s_and_saveexec_b32 s0, s1
	s_cbranch_execz .LBB199_161
; %bb.160:
	s_wait_dscnt 0x0
	v_bcnt_u32_b32 v3, v3, v34
	ds_store_b32 v40, v3 offset:128
.LBB199_161:
	s_wait_alu 0xfffe
	s_or_b32 exec_lo, exec_lo, s0
	v_lshrrev_b32_e32 v3, s44, v15
	; wave barrier
	s_delay_alu instid0(VALU_DEP_1) | instskip(NEXT) | instid1(VALU_DEP_1)
	v_and_b32_e32 v3, s10, v3
	v_and_b32_e32 v5, 1, v3
	v_lshlrev_b32_e32 v6, 30, v3
	v_lshlrev_b32_e32 v7, 29, v3
	;; [unrolled: 1-line block ×4, first 2 shown]
	v_add_co_u32 v5, s0, v5, -1
	s_wait_alu 0xf1ff
	v_cndmask_b32_e64 v9, 0, 1, s0
	v_not_b32_e32 v42, v6
	v_cmp_gt_i32_e64 s0, 0, v6
	v_not_b32_e32 v6, v7
	v_lshlrev_b32_e32 v39, 26, v3
	v_cmp_ne_u32_e32 vcc_lo, 0, v9
	v_ashrrev_i32_e32 v9, 31, v42
	v_lshlrev_b32_e32 v41, 25, v3
	v_ashrrev_i32_e32 v6, 31, v6
	v_mul_lo_u32 v4, 0x84, v3
	s_wait_alu 0xfffd
	v_xor_b32_e32 v5, vcc_lo, v5
	v_cmp_gt_i32_e32 vcc_lo, 0, v7
	v_not_b32_e32 v7, v8
	s_wait_alu 0xf1ff
	v_xor_b32_e32 v9, s0, v9
	v_cmp_gt_i32_e64 s0, 0, v8
	v_and_b32_e32 v5, exec_lo, v5
	v_not_b32_e32 v8, v38
	v_ashrrev_i32_e32 v7, 31, v7
	s_wait_alu 0xfffd
	v_xor_b32_e32 v6, vcc_lo, v6
	v_cmp_gt_i32_e32 vcc_lo, 0, v38
	v_and_b32_e32 v5, v5, v9
	v_not_b32_e32 v9, v39
	v_ashrrev_i32_e32 v8, 31, v8
	s_wait_alu 0xf1ff
	v_xor_b32_e32 v7, s0, v7
	v_lshlrev_b32_e32 v3, 24, v3
	v_and_b32_e32 v5, v5, v6
	v_cmp_gt_i32_e64 s0, 0, v39
	v_not_b32_e32 v6, v41
	v_ashrrev_i32_e32 v9, 31, v9
	s_wait_alu 0xfffd
	v_xor_b32_e32 v8, vcc_lo, v8
	v_and_b32_e32 v5, v5, v7
	v_cmp_gt_i32_e32 vcc_lo, 0, v41
	v_not_b32_e32 v7, v3
	v_ashrrev_i32_e32 v6, 31, v6
	s_wait_alu 0xf1ff
	v_xor_b32_e32 v9, s0, v9
	v_and_b32_e32 v5, v5, v8
	v_cmp_gt_i32_e64 s0, 0, v3
	v_ashrrev_i32_e32 v3, 31, v7
	s_wait_alu 0xfffd
	v_xor_b32_e32 v6, vcc_lo, v6
	v_add_nc_u32_e32 v43, v2, v4
	v_and_b32_e32 v5, v5, v9
	s_wait_alu 0xf1ff
	v_xor_b32_e32 v3, s0, v3
	ds_load_b32 v38, v43 offset:128
	v_and_b32_e32 v4, v5, v6
	; wave barrier
	s_delay_alu instid0(VALU_DEP_1) | instskip(NEXT) | instid1(VALU_DEP_1)
	v_and_b32_e32 v3, v4, v3
	v_mbcnt_lo_u32_b32 v39, v3, 0
	v_cmp_ne_u32_e64 s0, 0, v3
	s_delay_alu instid0(VALU_DEP_2)
	v_cmp_eq_u32_e32 vcc_lo, 0, v39
	s_and_b32 s1, s0, vcc_lo
	s_wait_alu 0xfffe
	s_and_saveexec_b32 s0, s1
	s_cbranch_execz .LBB199_163
; %bb.162:
	s_wait_dscnt 0x0
	v_bcnt_u32_b32 v3, v3, v38
	ds_store_b32 v43, v3 offset:128
.LBB199_163:
	s_wait_alu 0xfffe
	s_or_b32 exec_lo, exec_lo, s0
	v_lshrrev_b32_e32 v3, s44, v16
	; wave barrier
	s_delay_alu instid0(VALU_DEP_1) | instskip(NEXT) | instid1(VALU_DEP_1)
	v_and_b32_e32 v3, s10, v3
	v_and_b32_e32 v5, 1, v3
	v_lshlrev_b32_e32 v6, 30, v3
	v_lshlrev_b32_e32 v7, 29, v3
	;; [unrolled: 1-line block ×4, first 2 shown]
	v_add_co_u32 v5, s0, v5, -1
	s_wait_alu 0xf1ff
	v_cndmask_b32_e64 v9, 0, 1, s0
	v_not_b32_e32 v45, v6
	v_cmp_gt_i32_e64 s0, 0, v6
	v_not_b32_e32 v6, v7
	v_lshlrev_b32_e32 v42, 26, v3
	v_cmp_ne_u32_e32 vcc_lo, 0, v9
	v_ashrrev_i32_e32 v9, 31, v45
	v_lshlrev_b32_e32 v44, 25, v3
	v_ashrrev_i32_e32 v6, 31, v6
	v_mul_lo_u32 v4, 0x84, v3
	s_wait_alu 0xfffd
	v_xor_b32_e32 v5, vcc_lo, v5
	v_cmp_gt_i32_e32 vcc_lo, 0, v7
	v_not_b32_e32 v7, v8
	s_wait_alu 0xf1ff
	v_xor_b32_e32 v9, s0, v9
	v_cmp_gt_i32_e64 s0, 0, v8
	v_and_b32_e32 v5, exec_lo, v5
	v_not_b32_e32 v8, v41
	v_ashrrev_i32_e32 v7, 31, v7
	s_wait_alu 0xfffd
	v_xor_b32_e32 v6, vcc_lo, v6
	v_cmp_gt_i32_e32 vcc_lo, 0, v41
	v_and_b32_e32 v5, v5, v9
	v_not_b32_e32 v9, v42
	v_ashrrev_i32_e32 v8, 31, v8
	s_wait_alu 0xf1ff
	v_xor_b32_e32 v7, s0, v7
	v_lshlrev_b32_e32 v3, 24, v3
	v_and_b32_e32 v5, v5, v6
	v_cmp_gt_i32_e64 s0, 0, v42
	v_not_b32_e32 v6, v44
	v_ashrrev_i32_e32 v9, 31, v9
	s_wait_alu 0xfffd
	v_xor_b32_e32 v8, vcc_lo, v8
	v_and_b32_e32 v5, v5, v7
	v_cmp_gt_i32_e32 vcc_lo, 0, v44
	v_not_b32_e32 v7, v3
	v_ashrrev_i32_e32 v6, 31, v6
	s_wait_alu 0xf1ff
	v_xor_b32_e32 v9, s0, v9
	v_and_b32_e32 v5, v5, v8
	v_cmp_gt_i32_e64 s0, 0, v3
	v_ashrrev_i32_e32 v3, 31, v7
	s_wait_alu 0xfffd
	v_xor_b32_e32 v6, vcc_lo, v6
	v_add_nc_u32_e32 v46, v2, v4
	v_and_b32_e32 v5, v5, v9
	s_wait_alu 0xf1ff
	v_xor_b32_e32 v3, s0, v3
	ds_load_b32 v41, v46 offset:128
	v_and_b32_e32 v4, v5, v6
	; wave barrier
	s_delay_alu instid0(VALU_DEP_1) | instskip(NEXT) | instid1(VALU_DEP_1)
	v_and_b32_e32 v3, v4, v3
	v_mbcnt_lo_u32_b32 v42, v3, 0
	v_cmp_ne_u32_e64 s0, 0, v3
	s_delay_alu instid0(VALU_DEP_2)
	v_cmp_eq_u32_e32 vcc_lo, 0, v42
	s_and_b32 s1, s0, vcc_lo
	s_wait_alu 0xfffe
	s_and_saveexec_b32 s0, s1
	s_cbranch_execz .LBB199_165
; %bb.164:
	s_wait_dscnt 0x0
	v_bcnt_u32_b32 v3, v3, v41
	ds_store_b32 v46, v3 offset:128
.LBB199_165:
	s_wait_alu 0xfffe
	s_or_b32 exec_lo, exec_lo, s0
	v_lshrrev_b32_e32 v3, s44, v17
	; wave barrier
	s_delay_alu instid0(VALU_DEP_1) | instskip(NEXT) | instid1(VALU_DEP_1)
	v_and_b32_e32 v3, s10, v3
	v_and_b32_e32 v5, 1, v3
	v_lshlrev_b32_e32 v6, 30, v3
	v_lshlrev_b32_e32 v7, 29, v3
	;; [unrolled: 1-line block ×4, first 2 shown]
	v_add_co_u32 v5, s0, v5, -1
	s_wait_alu 0xf1ff
	v_cndmask_b32_e64 v9, 0, 1, s0
	v_not_b32_e32 v48, v6
	v_cmp_gt_i32_e64 s0, 0, v6
	v_not_b32_e32 v6, v7
	v_lshlrev_b32_e32 v45, 26, v3
	v_cmp_ne_u32_e32 vcc_lo, 0, v9
	v_ashrrev_i32_e32 v9, 31, v48
	v_lshlrev_b32_e32 v47, 25, v3
	v_ashrrev_i32_e32 v6, 31, v6
	v_mul_lo_u32 v4, 0x84, v3
	s_wait_alu 0xfffd
	v_xor_b32_e32 v5, vcc_lo, v5
	v_cmp_gt_i32_e32 vcc_lo, 0, v7
	v_not_b32_e32 v7, v8
	s_wait_alu 0xf1ff
	v_xor_b32_e32 v9, s0, v9
	v_cmp_gt_i32_e64 s0, 0, v8
	v_and_b32_e32 v5, exec_lo, v5
	v_not_b32_e32 v8, v44
	v_ashrrev_i32_e32 v7, 31, v7
	s_wait_alu 0xfffd
	v_xor_b32_e32 v6, vcc_lo, v6
	v_cmp_gt_i32_e32 vcc_lo, 0, v44
	v_and_b32_e32 v5, v5, v9
	v_not_b32_e32 v9, v45
	v_ashrrev_i32_e32 v8, 31, v8
	s_wait_alu 0xf1ff
	v_xor_b32_e32 v7, s0, v7
	v_lshlrev_b32_e32 v3, 24, v3
	v_and_b32_e32 v5, v5, v6
	v_cmp_gt_i32_e64 s0, 0, v45
	v_not_b32_e32 v6, v47
	v_ashrrev_i32_e32 v9, 31, v9
	s_wait_alu 0xfffd
	v_xor_b32_e32 v8, vcc_lo, v8
	v_and_b32_e32 v5, v5, v7
	v_cmp_gt_i32_e32 vcc_lo, 0, v47
	v_not_b32_e32 v7, v3
	v_ashrrev_i32_e32 v6, 31, v6
	s_wait_alu 0xf1ff
	v_xor_b32_e32 v9, s0, v9
	v_and_b32_e32 v5, v5, v8
	v_cmp_gt_i32_e64 s0, 0, v3
	v_ashrrev_i32_e32 v3, 31, v7
	s_wait_alu 0xfffd
	v_xor_b32_e32 v6, vcc_lo, v6
	v_add_nc_u32_e32 v49, v2, v4
	v_and_b32_e32 v5, v5, v9
	s_wait_alu 0xf1ff
	v_xor_b32_e32 v3, s0, v3
	ds_load_b32 v44, v49 offset:128
	v_and_b32_e32 v4, v5, v6
	; wave barrier
	s_delay_alu instid0(VALU_DEP_1) | instskip(NEXT) | instid1(VALU_DEP_1)
	v_and_b32_e32 v3, v4, v3
	v_mbcnt_lo_u32_b32 v45, v3, 0
	v_cmp_ne_u32_e64 s0, 0, v3
	s_delay_alu instid0(VALU_DEP_2)
	v_cmp_eq_u32_e32 vcc_lo, 0, v45
	s_and_b32 s1, s0, vcc_lo
	s_wait_alu 0xfffe
	s_and_saveexec_b32 s0, s1
	s_cbranch_execz .LBB199_167
; %bb.166:
	s_wait_dscnt 0x0
	v_bcnt_u32_b32 v3, v3, v44
	ds_store_b32 v49, v3 offset:128
.LBB199_167:
	s_wait_alu 0xfffe
	s_or_b32 exec_lo, exec_lo, s0
	v_lshrrev_b32_e32 v3, s44, v18
	; wave barrier
	s_delay_alu instid0(VALU_DEP_1) | instskip(NEXT) | instid1(VALU_DEP_1)
	v_and_b32_e32 v3, s10, v3
	v_and_b32_e32 v5, 1, v3
	v_lshlrev_b32_e32 v6, 30, v3
	v_lshlrev_b32_e32 v7, 29, v3
	;; [unrolled: 1-line block ×4, first 2 shown]
	v_add_co_u32 v5, s0, v5, -1
	s_wait_alu 0xf1ff
	v_cndmask_b32_e64 v9, 0, 1, s0
	v_not_b32_e32 v51, v6
	v_cmp_gt_i32_e64 s0, 0, v6
	v_not_b32_e32 v6, v7
	v_lshlrev_b32_e32 v48, 26, v3
	v_cmp_ne_u32_e32 vcc_lo, 0, v9
	v_ashrrev_i32_e32 v9, 31, v51
	v_lshlrev_b32_e32 v50, 25, v3
	v_ashrrev_i32_e32 v6, 31, v6
	v_mul_lo_u32 v4, 0x84, v3
	s_wait_alu 0xfffd
	v_xor_b32_e32 v5, vcc_lo, v5
	v_cmp_gt_i32_e32 vcc_lo, 0, v7
	v_not_b32_e32 v7, v8
	s_wait_alu 0xf1ff
	v_xor_b32_e32 v9, s0, v9
	v_cmp_gt_i32_e64 s0, 0, v8
	v_and_b32_e32 v5, exec_lo, v5
	v_not_b32_e32 v8, v47
	v_ashrrev_i32_e32 v7, 31, v7
	s_wait_alu 0xfffd
	v_xor_b32_e32 v6, vcc_lo, v6
	v_cmp_gt_i32_e32 vcc_lo, 0, v47
	v_and_b32_e32 v5, v5, v9
	v_not_b32_e32 v9, v48
	v_ashrrev_i32_e32 v8, 31, v8
	s_wait_alu 0xf1ff
	v_xor_b32_e32 v7, s0, v7
	v_lshlrev_b32_e32 v3, 24, v3
	v_and_b32_e32 v5, v5, v6
	v_cmp_gt_i32_e64 s0, 0, v48
	v_not_b32_e32 v6, v50
	v_ashrrev_i32_e32 v9, 31, v9
	s_wait_alu 0xfffd
	v_xor_b32_e32 v8, vcc_lo, v8
	v_and_b32_e32 v5, v5, v7
	v_cmp_gt_i32_e32 vcc_lo, 0, v50
	v_not_b32_e32 v7, v3
	v_ashrrev_i32_e32 v6, 31, v6
	s_wait_alu 0xf1ff
	v_xor_b32_e32 v9, s0, v9
	v_and_b32_e32 v5, v5, v8
	v_cmp_gt_i32_e64 s0, 0, v3
	v_ashrrev_i32_e32 v3, 31, v7
	s_wait_alu 0xfffd
	v_xor_b32_e32 v6, vcc_lo, v6
	v_add_nc_u32_e32 v52, v2, v4
	v_and_b32_e32 v5, v5, v9
	s_wait_alu 0xf1ff
	v_xor_b32_e32 v3, s0, v3
	ds_load_b32 v47, v52 offset:128
	v_and_b32_e32 v4, v5, v6
	; wave barrier
	s_delay_alu instid0(VALU_DEP_1) | instskip(NEXT) | instid1(VALU_DEP_1)
	v_and_b32_e32 v3, v4, v3
	v_mbcnt_lo_u32_b32 v48, v3, 0
	v_cmp_ne_u32_e64 s0, 0, v3
	s_delay_alu instid0(VALU_DEP_2)
	v_cmp_eq_u32_e32 vcc_lo, 0, v48
	s_and_b32 s1, s0, vcc_lo
	s_wait_alu 0xfffe
	s_and_saveexec_b32 s0, s1
	s_cbranch_execz .LBB199_169
; %bb.168:
	s_wait_dscnt 0x0
	v_bcnt_u32_b32 v3, v3, v47
	ds_store_b32 v52, v3 offset:128
.LBB199_169:
	s_wait_alu 0xfffe
	s_or_b32 exec_lo, exec_lo, s0
	v_lshrrev_b32_e32 v3, s44, v19
	; wave barrier
	s_delay_alu instid0(VALU_DEP_1) | instskip(NEXT) | instid1(VALU_DEP_1)
	v_and_b32_e32 v3, s10, v3
	v_and_b32_e32 v5, 1, v3
	v_lshlrev_b32_e32 v6, 30, v3
	v_lshlrev_b32_e32 v7, 29, v3
	;; [unrolled: 1-line block ×4, first 2 shown]
	v_add_co_u32 v5, s0, v5, -1
	s_wait_alu 0xf1ff
	v_cndmask_b32_e64 v9, 0, 1, s0
	v_not_b32_e32 v54, v6
	v_cmp_gt_i32_e64 s0, 0, v6
	v_not_b32_e32 v6, v7
	v_lshlrev_b32_e32 v51, 26, v3
	v_cmp_ne_u32_e32 vcc_lo, 0, v9
	v_ashrrev_i32_e32 v9, 31, v54
	v_lshlrev_b32_e32 v53, 25, v3
	v_ashrrev_i32_e32 v6, 31, v6
	v_mul_lo_u32 v4, 0x84, v3
	s_wait_alu 0xfffd
	v_xor_b32_e32 v5, vcc_lo, v5
	v_cmp_gt_i32_e32 vcc_lo, 0, v7
	v_not_b32_e32 v7, v8
	s_wait_alu 0xf1ff
	v_xor_b32_e32 v9, s0, v9
	v_cmp_gt_i32_e64 s0, 0, v8
	v_and_b32_e32 v5, exec_lo, v5
	v_not_b32_e32 v8, v50
	v_ashrrev_i32_e32 v7, 31, v7
	s_wait_alu 0xfffd
	v_xor_b32_e32 v6, vcc_lo, v6
	v_cmp_gt_i32_e32 vcc_lo, 0, v50
	v_and_b32_e32 v5, v5, v9
	v_not_b32_e32 v9, v51
	v_ashrrev_i32_e32 v8, 31, v8
	s_wait_alu 0xf1ff
	v_xor_b32_e32 v7, s0, v7
	v_lshlrev_b32_e32 v3, 24, v3
	v_and_b32_e32 v5, v5, v6
	v_cmp_gt_i32_e64 s0, 0, v51
	v_not_b32_e32 v6, v53
	v_ashrrev_i32_e32 v9, 31, v9
	s_wait_alu 0xfffd
	v_xor_b32_e32 v8, vcc_lo, v8
	v_and_b32_e32 v5, v5, v7
	v_cmp_gt_i32_e32 vcc_lo, 0, v53
	v_not_b32_e32 v7, v3
	v_ashrrev_i32_e32 v6, 31, v6
	s_wait_alu 0xf1ff
	v_xor_b32_e32 v9, s0, v9
	v_and_b32_e32 v5, v5, v8
	v_cmp_gt_i32_e64 s0, 0, v3
	v_ashrrev_i32_e32 v3, 31, v7
	s_wait_alu 0xfffd
	v_xor_b32_e32 v6, vcc_lo, v6
	v_add_nc_u32_e32 v55, v2, v4
	v_and_b32_e32 v5, v5, v9
	s_wait_alu 0xf1ff
	v_xor_b32_e32 v3, s0, v3
	ds_load_b32 v50, v55 offset:128
	v_and_b32_e32 v4, v5, v6
	; wave barrier
	s_delay_alu instid0(VALU_DEP_1) | instskip(NEXT) | instid1(VALU_DEP_1)
	v_and_b32_e32 v3, v4, v3
	v_mbcnt_lo_u32_b32 v51, v3, 0
	v_cmp_ne_u32_e64 s0, 0, v3
	s_delay_alu instid0(VALU_DEP_2)
	v_cmp_eq_u32_e32 vcc_lo, 0, v51
	s_and_b32 s1, s0, vcc_lo
	s_wait_alu 0xfffe
	s_and_saveexec_b32 s0, s1
	s_cbranch_execz .LBB199_171
; %bb.170:
	s_wait_dscnt 0x0
	v_bcnt_u32_b32 v3, v3, v50
	ds_store_b32 v55, v3 offset:128
.LBB199_171:
	s_wait_alu 0xfffe
	s_or_b32 exec_lo, exec_lo, s0
	v_lshrrev_b32_e32 v3, s44, v20
	; wave barrier
	s_delay_alu instid0(VALU_DEP_1) | instskip(NEXT) | instid1(VALU_DEP_1)
	v_and_b32_e32 v3, s10, v3
	v_and_b32_e32 v5, 1, v3
	v_lshlrev_b32_e32 v6, 30, v3
	v_lshlrev_b32_e32 v7, 29, v3
	;; [unrolled: 1-line block ×4, first 2 shown]
	v_add_co_u32 v5, s0, v5, -1
	s_wait_alu 0xf1ff
	v_cndmask_b32_e64 v9, 0, 1, s0
	v_not_b32_e32 v57, v6
	v_cmp_gt_i32_e64 s0, 0, v6
	v_not_b32_e32 v6, v7
	v_lshlrev_b32_e32 v54, 26, v3
	v_cmp_ne_u32_e32 vcc_lo, 0, v9
	v_ashrrev_i32_e32 v9, 31, v57
	v_lshlrev_b32_e32 v56, 25, v3
	v_ashrrev_i32_e32 v6, 31, v6
	v_mul_lo_u32 v4, 0x84, v3
	s_wait_alu 0xfffd
	v_xor_b32_e32 v5, vcc_lo, v5
	v_cmp_gt_i32_e32 vcc_lo, 0, v7
	v_not_b32_e32 v7, v8
	s_wait_alu 0xf1ff
	v_xor_b32_e32 v9, s0, v9
	v_cmp_gt_i32_e64 s0, 0, v8
	v_and_b32_e32 v5, exec_lo, v5
	v_not_b32_e32 v8, v53
	v_ashrrev_i32_e32 v7, 31, v7
	s_wait_alu 0xfffd
	v_xor_b32_e32 v6, vcc_lo, v6
	v_cmp_gt_i32_e32 vcc_lo, 0, v53
	v_and_b32_e32 v5, v5, v9
	v_not_b32_e32 v9, v54
	v_ashrrev_i32_e32 v8, 31, v8
	s_wait_alu 0xf1ff
	v_xor_b32_e32 v7, s0, v7
	v_lshlrev_b32_e32 v3, 24, v3
	v_and_b32_e32 v5, v5, v6
	v_cmp_gt_i32_e64 s0, 0, v54
	v_not_b32_e32 v6, v56
	v_ashrrev_i32_e32 v9, 31, v9
	s_wait_alu 0xfffd
	v_xor_b32_e32 v8, vcc_lo, v8
	v_and_b32_e32 v5, v5, v7
	v_cmp_gt_i32_e32 vcc_lo, 0, v56
	v_not_b32_e32 v7, v3
	v_ashrrev_i32_e32 v6, 31, v6
	s_wait_alu 0xf1ff
	v_xor_b32_e32 v9, s0, v9
	v_and_b32_e32 v5, v5, v8
	v_cmp_gt_i32_e64 s0, 0, v3
	v_ashrrev_i32_e32 v3, 31, v7
	s_wait_alu 0xfffd
	v_xor_b32_e32 v6, vcc_lo, v6
	v_add_nc_u32_e32 v59, v2, v4
	v_and_b32_e32 v5, v5, v9
	s_wait_alu 0xf1ff
	v_xor_b32_e32 v3, s0, v3
	ds_load_b32 v53, v59 offset:128
	v_and_b32_e32 v4, v5, v6
	; wave barrier
	s_delay_alu instid0(VALU_DEP_1) | instskip(NEXT) | instid1(VALU_DEP_1)
	v_and_b32_e32 v3, v4, v3
	v_mbcnt_lo_u32_b32 v54, v3, 0
	v_cmp_ne_u32_e64 s0, 0, v3
	s_delay_alu instid0(VALU_DEP_2)
	v_cmp_eq_u32_e32 vcc_lo, 0, v54
	s_and_b32 s1, s0, vcc_lo
	s_wait_alu 0xfffe
	s_and_saveexec_b32 s0, s1
	s_cbranch_execz .LBB199_173
; %bb.172:
	s_wait_dscnt 0x0
	v_bcnt_u32_b32 v3, v3, v53
	ds_store_b32 v59, v3 offset:128
.LBB199_173:
	s_wait_alu 0xfffe
	s_or_b32 exec_lo, exec_lo, s0
	v_lshrrev_b32_e32 v3, s44, v21
	; wave barrier
	s_delay_alu instid0(VALU_DEP_1) | instskip(NEXT) | instid1(VALU_DEP_1)
	v_and_b32_e32 v3, s10, v3
	v_and_b32_e32 v5, 1, v3
	v_lshlrev_b32_e32 v6, 30, v3
	v_lshlrev_b32_e32 v7, 29, v3
	;; [unrolled: 1-line block ×4, first 2 shown]
	v_add_co_u32 v5, s0, v5, -1
	s_wait_alu 0xf1ff
	v_cndmask_b32_e64 v9, 0, 1, s0
	v_not_b32_e32 v60, v6
	v_cmp_gt_i32_e64 s0, 0, v6
	v_not_b32_e32 v6, v7
	v_lshlrev_b32_e32 v57, 26, v3
	v_cmp_ne_u32_e32 vcc_lo, 0, v9
	v_ashrrev_i32_e32 v9, 31, v60
	v_lshlrev_b32_e32 v58, 25, v3
	v_ashrrev_i32_e32 v6, 31, v6
	v_mul_lo_u32 v4, 0x84, v3
	s_wait_alu 0xfffd
	v_xor_b32_e32 v5, vcc_lo, v5
	v_cmp_gt_i32_e32 vcc_lo, 0, v7
	v_not_b32_e32 v7, v8
	s_wait_alu 0xf1ff
	v_xor_b32_e32 v9, s0, v9
	v_cmp_gt_i32_e64 s0, 0, v8
	v_and_b32_e32 v5, exec_lo, v5
	v_not_b32_e32 v8, v56
	v_ashrrev_i32_e32 v7, 31, v7
	s_wait_alu 0xfffd
	v_xor_b32_e32 v6, vcc_lo, v6
	v_cmp_gt_i32_e32 vcc_lo, 0, v56
	v_and_b32_e32 v5, v5, v9
	v_not_b32_e32 v9, v57
	v_ashrrev_i32_e32 v8, 31, v8
	s_wait_alu 0xf1ff
	v_xor_b32_e32 v7, s0, v7
	v_lshlrev_b32_e32 v3, 24, v3
	v_and_b32_e32 v5, v5, v6
	v_cmp_gt_i32_e64 s0, 0, v57
	v_not_b32_e32 v6, v58
	v_ashrrev_i32_e32 v9, 31, v9
	s_wait_alu 0xfffd
	v_xor_b32_e32 v8, vcc_lo, v8
	v_and_b32_e32 v5, v5, v7
	v_cmp_gt_i32_e32 vcc_lo, 0, v58
	v_not_b32_e32 v7, v3
	v_ashrrev_i32_e32 v6, 31, v6
	s_wait_alu 0xf1ff
	v_xor_b32_e32 v9, s0, v9
	v_and_b32_e32 v5, v5, v8
	v_cmp_gt_i32_e64 s0, 0, v3
	v_ashrrev_i32_e32 v3, 31, v7
	s_wait_alu 0xfffd
	v_xor_b32_e32 v6, vcc_lo, v6
	v_add_nc_u32_e32 v62, v2, v4
	v_and_b32_e32 v5, v5, v9
	s_wait_alu 0xf1ff
	v_xor_b32_e32 v3, s0, v3
	ds_load_b32 v56, v62 offset:128
	v_and_b32_e32 v4, v5, v6
	; wave barrier
	s_delay_alu instid0(VALU_DEP_1) | instskip(NEXT) | instid1(VALU_DEP_1)
	v_and_b32_e32 v3, v4, v3
	v_mbcnt_lo_u32_b32 v57, v3, 0
	v_cmp_ne_u32_e64 s0, 0, v3
	s_delay_alu instid0(VALU_DEP_2)
	v_cmp_eq_u32_e32 vcc_lo, 0, v57
	s_and_b32 s1, s0, vcc_lo
	s_wait_alu 0xfffe
	s_and_saveexec_b32 s0, s1
	s_cbranch_execz .LBB199_175
; %bb.174:
	s_wait_dscnt 0x0
	v_bcnt_u32_b32 v3, v3, v56
	ds_store_b32 v62, v3 offset:128
.LBB199_175:
	s_wait_alu 0xfffe
	s_or_b32 exec_lo, exec_lo, s0
	v_lshrrev_b32_e32 v3, s44, v22
	; wave barrier
	s_delay_alu instid0(VALU_DEP_1) | instskip(NEXT) | instid1(VALU_DEP_1)
	v_and_b32_e32 v3, s10, v3
	v_and_b32_e32 v5, 1, v3
	v_lshlrev_b32_e32 v6, 30, v3
	v_lshlrev_b32_e32 v7, 29, v3
	v_lshlrev_b32_e32 v8, 28, v3
	v_lshlrev_b32_e32 v58, 27, v3
	v_add_co_u32 v5, s0, v5, -1
	s_wait_alu 0xf1ff
	v_cndmask_b32_e64 v9, 0, 1, s0
	v_not_b32_e32 v63, v6
	v_cmp_gt_i32_e64 s0, 0, v6
	v_not_b32_e32 v6, v7
	v_lshlrev_b32_e32 v60, 26, v3
	v_cmp_ne_u32_e32 vcc_lo, 0, v9
	v_ashrrev_i32_e32 v9, 31, v63
	v_lshlrev_b32_e32 v61, 25, v3
	v_ashrrev_i32_e32 v6, 31, v6
	v_mul_lo_u32 v4, 0x84, v3
	s_wait_alu 0xfffd
	v_xor_b32_e32 v5, vcc_lo, v5
	v_cmp_gt_i32_e32 vcc_lo, 0, v7
	v_not_b32_e32 v7, v8
	s_wait_alu 0xf1ff
	v_xor_b32_e32 v9, s0, v9
	v_cmp_gt_i32_e64 s0, 0, v8
	v_and_b32_e32 v5, exec_lo, v5
	v_not_b32_e32 v8, v58
	v_ashrrev_i32_e32 v7, 31, v7
	s_wait_alu 0xfffd
	v_xor_b32_e32 v6, vcc_lo, v6
	v_cmp_gt_i32_e32 vcc_lo, 0, v58
	v_and_b32_e32 v5, v5, v9
	v_not_b32_e32 v9, v60
	v_ashrrev_i32_e32 v8, 31, v8
	s_wait_alu 0xf1ff
	v_xor_b32_e32 v7, s0, v7
	v_lshlrev_b32_e32 v3, 24, v3
	v_and_b32_e32 v5, v5, v6
	v_cmp_gt_i32_e64 s0, 0, v60
	v_not_b32_e32 v6, v61
	v_ashrrev_i32_e32 v9, 31, v9
	s_wait_alu 0xfffd
	v_xor_b32_e32 v8, vcc_lo, v8
	v_and_b32_e32 v5, v5, v7
	v_cmp_gt_i32_e32 vcc_lo, 0, v61
	v_not_b32_e32 v7, v3
	v_ashrrev_i32_e32 v6, 31, v6
	s_wait_alu 0xf1ff
	v_xor_b32_e32 v9, s0, v9
	v_and_b32_e32 v5, v5, v8
	v_cmp_gt_i32_e64 s0, 0, v3
	v_ashrrev_i32_e32 v3, 31, v7
	s_wait_alu 0xfffd
	v_xor_b32_e32 v6, vcc_lo, v6
	v_add_nc_u32_e32 v65, v2, v4
	v_and_b32_e32 v5, v5, v9
	s_wait_alu 0xf1ff
	v_xor_b32_e32 v3, s0, v3
	ds_load_b32 v60, v65 offset:128
	v_and_b32_e32 v4, v5, v6
	; wave barrier
	s_delay_alu instid0(VALU_DEP_1) | instskip(NEXT) | instid1(VALU_DEP_1)
	v_and_b32_e32 v3, v4, v3
	v_mbcnt_lo_u32_b32 v61, v3, 0
	v_cmp_ne_u32_e64 s0, 0, v3
	s_delay_alu instid0(VALU_DEP_2)
	v_cmp_eq_u32_e32 vcc_lo, 0, v61
	s_and_b32 s1, s0, vcc_lo
	s_wait_alu 0xfffe
	s_and_saveexec_b32 s0, s1
	s_cbranch_execz .LBB199_177
; %bb.176:
	s_wait_dscnt 0x0
	v_bcnt_u32_b32 v3, v3, v60
	ds_store_b32 v65, v3 offset:128
.LBB199_177:
	s_wait_alu 0xfffe
	s_or_b32 exec_lo, exec_lo, s0
	v_lshrrev_b32_e32 v3, s44, v23
	; wave barrier
	s_delay_alu instid0(VALU_DEP_1) | instskip(NEXT) | instid1(VALU_DEP_1)
	v_and_b32_e32 v3, s10, v3
	v_and_b32_e32 v5, 1, v3
	v_lshlrev_b32_e32 v6, 30, v3
	v_lshlrev_b32_e32 v7, 29, v3
	;; [unrolled: 1-line block ×4, first 2 shown]
	v_add_co_u32 v5, s0, v5, -1
	s_wait_alu 0xf1ff
	v_cndmask_b32_e64 v9, 0, 1, s0
	v_not_b32_e32 v66, v6
	v_cmp_gt_i32_e64 s0, 0, v6
	v_not_b32_e32 v6, v7
	v_lshlrev_b32_e32 v63, 26, v3
	v_cmp_ne_u32_e32 vcc_lo, 0, v9
	v_ashrrev_i32_e32 v9, 31, v66
	v_lshlrev_b32_e32 v64, 25, v3
	v_ashrrev_i32_e32 v6, 31, v6
	v_mul_lo_u32 v4, 0x84, v3
	s_wait_alu 0xfffd
	v_xor_b32_e32 v5, vcc_lo, v5
	v_cmp_gt_i32_e32 vcc_lo, 0, v7
	v_not_b32_e32 v7, v8
	s_wait_alu 0xf1ff
	v_xor_b32_e32 v9, s0, v9
	v_cmp_gt_i32_e64 s0, 0, v8
	v_and_b32_e32 v5, exec_lo, v5
	v_not_b32_e32 v8, v58
	v_ashrrev_i32_e32 v7, 31, v7
	s_wait_alu 0xfffd
	v_xor_b32_e32 v6, vcc_lo, v6
	v_cmp_gt_i32_e32 vcc_lo, 0, v58
	v_and_b32_e32 v5, v5, v9
	v_not_b32_e32 v9, v63
	v_ashrrev_i32_e32 v8, 31, v8
	s_wait_alu 0xf1ff
	v_xor_b32_e32 v7, s0, v7
	v_lshlrev_b32_e32 v3, 24, v3
	v_and_b32_e32 v5, v5, v6
	v_cmp_gt_i32_e64 s0, 0, v63
	v_not_b32_e32 v6, v64
	v_ashrrev_i32_e32 v9, 31, v9
	s_wait_alu 0xfffd
	v_xor_b32_e32 v8, vcc_lo, v8
	v_and_b32_e32 v5, v5, v7
	v_cmp_gt_i32_e32 vcc_lo, 0, v64
	v_not_b32_e32 v7, v3
	v_ashrrev_i32_e32 v6, 31, v6
	s_wait_alu 0xf1ff
	v_xor_b32_e32 v9, s0, v9
	v_and_b32_e32 v5, v5, v8
	v_cmp_gt_i32_e64 s0, 0, v3
	v_ashrrev_i32_e32 v3, 31, v7
	s_wait_alu 0xfffd
	v_xor_b32_e32 v6, vcc_lo, v6
	v_add_nc_u32_e32 v68, v2, v4
	v_and_b32_e32 v5, v5, v9
	s_wait_alu 0xf1ff
	v_xor_b32_e32 v3, s0, v3
	ds_load_b32 v63, v68 offset:128
	v_and_b32_e32 v4, v5, v6
	; wave barrier
	s_delay_alu instid0(VALU_DEP_1) | instskip(NEXT) | instid1(VALU_DEP_1)
	v_and_b32_e32 v3, v4, v3
	v_mbcnt_lo_u32_b32 v64, v3, 0
	v_cmp_ne_u32_e64 s0, 0, v3
	s_delay_alu instid0(VALU_DEP_2)
	v_cmp_eq_u32_e32 vcc_lo, 0, v64
	s_and_b32 s1, s0, vcc_lo
	s_wait_alu 0xfffe
	s_and_saveexec_b32 s0, s1
	s_cbranch_execz .LBB199_179
; %bb.178:
	s_wait_dscnt 0x0
	v_bcnt_u32_b32 v3, v3, v63
	ds_store_b32 v68, v3 offset:128
.LBB199_179:
	s_wait_alu 0xfffe
	s_or_b32 exec_lo, exec_lo, s0
	v_lshrrev_b32_e32 v3, s44, v24
	; wave barrier
	s_delay_alu instid0(VALU_DEP_1) | instskip(NEXT) | instid1(VALU_DEP_1)
	v_and_b32_e32 v3, s10, v3
	v_and_b32_e32 v5, 1, v3
	v_lshlrev_b32_e32 v6, 30, v3
	v_lshlrev_b32_e32 v7, 29, v3
	;; [unrolled: 1-line block ×4, first 2 shown]
	v_add_co_u32 v5, s0, v5, -1
	s_wait_alu 0xf1ff
	v_cndmask_b32_e64 v9, 0, 1, s0
	v_not_b32_e32 v69, v6
	v_cmp_gt_i32_e64 s0, 0, v6
	v_not_b32_e32 v6, v7
	v_lshlrev_b32_e32 v66, 26, v3
	v_cmp_ne_u32_e32 vcc_lo, 0, v9
	v_ashrrev_i32_e32 v9, 31, v69
	v_lshlrev_b32_e32 v67, 25, v3
	v_ashrrev_i32_e32 v6, 31, v6
	v_mul_lo_u32 v4, 0x84, v3
	s_wait_alu 0xfffd
	v_xor_b32_e32 v5, vcc_lo, v5
	v_cmp_gt_i32_e32 vcc_lo, 0, v7
	v_not_b32_e32 v7, v8
	s_wait_alu 0xf1ff
	v_xor_b32_e32 v9, s0, v9
	v_cmp_gt_i32_e64 s0, 0, v8
	v_and_b32_e32 v5, exec_lo, v5
	v_not_b32_e32 v8, v58
	v_ashrrev_i32_e32 v7, 31, v7
	s_wait_alu 0xfffd
	v_xor_b32_e32 v6, vcc_lo, v6
	v_cmp_gt_i32_e32 vcc_lo, 0, v58
	v_and_b32_e32 v5, v5, v9
	v_not_b32_e32 v9, v66
	v_ashrrev_i32_e32 v8, 31, v8
	s_wait_alu 0xf1ff
	v_xor_b32_e32 v7, s0, v7
	v_lshlrev_b32_e32 v3, 24, v3
	v_and_b32_e32 v5, v5, v6
	v_cmp_gt_i32_e64 s0, 0, v66
	v_not_b32_e32 v6, v67
	v_ashrrev_i32_e32 v9, 31, v9
	s_wait_alu 0xfffd
	v_xor_b32_e32 v8, vcc_lo, v8
	v_and_b32_e32 v5, v5, v7
	v_cmp_gt_i32_e32 vcc_lo, 0, v67
	v_not_b32_e32 v7, v3
	v_ashrrev_i32_e32 v6, 31, v6
	s_wait_alu 0xf1ff
	v_xor_b32_e32 v9, s0, v9
	v_and_b32_e32 v5, v5, v8
	v_cmp_gt_i32_e64 s0, 0, v3
	v_ashrrev_i32_e32 v3, 31, v7
	s_wait_alu 0xfffd
	v_xor_b32_e32 v6, vcc_lo, v6
	v_add_nc_u32_e32 v71, v2, v4
	v_and_b32_e32 v5, v5, v9
	s_wait_alu 0xf1ff
	v_xor_b32_e32 v3, s0, v3
	ds_load_b32 v66, v71 offset:128
	v_and_b32_e32 v4, v5, v6
	; wave barrier
	s_delay_alu instid0(VALU_DEP_1) | instskip(NEXT) | instid1(VALU_DEP_1)
	v_and_b32_e32 v3, v4, v3
	v_mbcnt_lo_u32_b32 v67, v3, 0
	v_cmp_ne_u32_e64 s0, 0, v3
	s_delay_alu instid0(VALU_DEP_2)
	v_cmp_eq_u32_e32 vcc_lo, 0, v67
	s_and_b32 s1, s0, vcc_lo
	s_wait_alu 0xfffe
	s_and_saveexec_b32 s0, s1
	s_cbranch_execz .LBB199_181
; %bb.180:
	s_wait_dscnt 0x0
	v_bcnt_u32_b32 v3, v3, v66
	ds_store_b32 v71, v3 offset:128
.LBB199_181:
	s_wait_alu 0xfffe
	s_or_b32 exec_lo, exec_lo, s0
	v_lshrrev_b32_e32 v3, s44, v25
	; wave barrier
	s_delay_alu instid0(VALU_DEP_1) | instskip(NEXT) | instid1(VALU_DEP_1)
	v_and_b32_e32 v3, s10, v3
	v_and_b32_e32 v5, 1, v3
	v_lshlrev_b32_e32 v6, 30, v3
	v_lshlrev_b32_e32 v7, 29, v3
	v_lshlrev_b32_e32 v8, 28, v3
	v_lshlrev_b32_e32 v58, 27, v3
	v_add_co_u32 v5, s0, v5, -1
	s_wait_alu 0xf1ff
	v_cndmask_b32_e64 v9, 0, 1, s0
	v_not_b32_e32 v72, v6
	v_cmp_gt_i32_e64 s0, 0, v6
	v_not_b32_e32 v6, v7
	v_lshlrev_b32_e32 v69, 26, v3
	v_cmp_ne_u32_e32 vcc_lo, 0, v9
	v_ashrrev_i32_e32 v9, 31, v72
	v_lshlrev_b32_e32 v70, 25, v3
	v_ashrrev_i32_e32 v6, 31, v6
	v_mul_lo_u32 v4, 0x84, v3
	s_wait_alu 0xfffd
	v_xor_b32_e32 v5, vcc_lo, v5
	v_cmp_gt_i32_e32 vcc_lo, 0, v7
	v_not_b32_e32 v7, v8
	s_wait_alu 0xf1ff
	v_xor_b32_e32 v9, s0, v9
	v_cmp_gt_i32_e64 s0, 0, v8
	v_and_b32_e32 v5, exec_lo, v5
	v_not_b32_e32 v8, v58
	v_ashrrev_i32_e32 v7, 31, v7
	s_wait_alu 0xfffd
	v_xor_b32_e32 v6, vcc_lo, v6
	v_cmp_gt_i32_e32 vcc_lo, 0, v58
	v_and_b32_e32 v5, v5, v9
	v_not_b32_e32 v9, v69
	v_ashrrev_i32_e32 v8, 31, v8
	s_wait_alu 0xf1ff
	v_xor_b32_e32 v7, s0, v7
	v_lshlrev_b32_e32 v3, 24, v3
	v_and_b32_e32 v5, v5, v6
	v_cmp_gt_i32_e64 s0, 0, v69
	v_not_b32_e32 v6, v70
	v_ashrrev_i32_e32 v9, 31, v9
	s_wait_alu 0xfffd
	v_xor_b32_e32 v8, vcc_lo, v8
	v_and_b32_e32 v5, v5, v7
	v_cmp_gt_i32_e32 vcc_lo, 0, v70
	v_not_b32_e32 v7, v3
	v_ashrrev_i32_e32 v6, 31, v6
	s_wait_alu 0xf1ff
	v_xor_b32_e32 v9, s0, v9
	v_and_b32_e32 v5, v5, v8
	v_cmp_gt_i32_e64 s0, 0, v3
	v_ashrrev_i32_e32 v3, 31, v7
	s_wait_alu 0xfffd
	v_xor_b32_e32 v6, vcc_lo, v6
	v_add_nc_u32_e32 v74, v2, v4
	v_and_b32_e32 v5, v5, v9
	s_wait_alu 0xf1ff
	v_xor_b32_e32 v3, s0, v3
	ds_load_b32 v69, v74 offset:128
	v_and_b32_e32 v4, v5, v6
	; wave barrier
	s_delay_alu instid0(VALU_DEP_1) | instskip(NEXT) | instid1(VALU_DEP_1)
	v_and_b32_e32 v3, v4, v3
	v_mbcnt_lo_u32_b32 v70, v3, 0
	v_cmp_ne_u32_e64 s0, 0, v3
	s_delay_alu instid0(VALU_DEP_2)
	v_cmp_eq_u32_e32 vcc_lo, 0, v70
	s_and_b32 s1, s0, vcc_lo
	s_wait_alu 0xfffe
	s_and_saveexec_b32 s0, s1
	s_cbranch_execz .LBB199_183
; %bb.182:
	s_wait_dscnt 0x0
	v_bcnt_u32_b32 v3, v3, v69
	ds_store_b32 v74, v3 offset:128
.LBB199_183:
	s_wait_alu 0xfffe
	s_or_b32 exec_lo, exec_lo, s0
	v_lshrrev_b32_e32 v3, s44, v26
	; wave barrier
	s_delay_alu instid0(VALU_DEP_1) | instskip(NEXT) | instid1(VALU_DEP_1)
	v_and_b32_e32 v3, s10, v3
	v_and_b32_e32 v5, 1, v3
	v_lshlrev_b32_e32 v6, 30, v3
	v_lshlrev_b32_e32 v7, 29, v3
	;; [unrolled: 1-line block ×4, first 2 shown]
	v_add_co_u32 v5, s0, v5, -1
	s_wait_alu 0xf1ff
	v_cndmask_b32_e64 v9, 0, 1, s0
	v_not_b32_e32 v75, v6
	v_cmp_gt_i32_e64 s0, 0, v6
	v_not_b32_e32 v6, v7
	v_lshlrev_b32_e32 v72, 26, v3
	v_cmp_ne_u32_e32 vcc_lo, 0, v9
	v_ashrrev_i32_e32 v9, 31, v75
	v_lshlrev_b32_e32 v73, 25, v3
	v_ashrrev_i32_e32 v6, 31, v6
	v_mul_lo_u32 v4, 0x84, v3
	s_wait_alu 0xfffd
	v_xor_b32_e32 v5, vcc_lo, v5
	v_cmp_gt_i32_e32 vcc_lo, 0, v7
	v_not_b32_e32 v7, v8
	s_wait_alu 0xf1ff
	v_xor_b32_e32 v9, s0, v9
	v_cmp_gt_i32_e64 s0, 0, v8
	v_and_b32_e32 v5, exec_lo, v5
	v_not_b32_e32 v8, v58
	v_ashrrev_i32_e32 v7, 31, v7
	s_wait_alu 0xfffd
	v_xor_b32_e32 v6, vcc_lo, v6
	v_cmp_gt_i32_e32 vcc_lo, 0, v58
	v_and_b32_e32 v5, v5, v9
	v_not_b32_e32 v9, v72
	v_ashrrev_i32_e32 v8, 31, v8
	s_wait_alu 0xf1ff
	v_xor_b32_e32 v7, s0, v7
	v_lshlrev_b32_e32 v3, 24, v3
	v_and_b32_e32 v5, v5, v6
	v_cmp_gt_i32_e64 s0, 0, v72
	v_not_b32_e32 v6, v73
	v_ashrrev_i32_e32 v9, 31, v9
	s_wait_alu 0xfffd
	v_xor_b32_e32 v8, vcc_lo, v8
	v_and_b32_e32 v5, v5, v7
	v_cmp_gt_i32_e32 vcc_lo, 0, v73
	v_not_b32_e32 v7, v3
	v_ashrrev_i32_e32 v6, 31, v6
	s_wait_alu 0xf1ff
	v_xor_b32_e32 v9, s0, v9
	v_and_b32_e32 v5, v5, v8
	v_cmp_gt_i32_e64 s0, 0, v3
	v_ashrrev_i32_e32 v3, 31, v7
	s_wait_alu 0xfffd
	v_xor_b32_e32 v6, vcc_lo, v6
	v_add_nc_u32_e32 v78, v2, v4
	v_and_b32_e32 v5, v5, v9
	s_wait_alu 0xf1ff
	v_xor_b32_e32 v2, s0, v3
	ds_load_b32 v72, v78 offset:128
	v_and_b32_e32 v3, v5, v6
	; wave barrier
	s_delay_alu instid0(VALU_DEP_1) | instskip(NEXT) | instid1(VALU_DEP_1)
	v_and_b32_e32 v2, v3, v2
	v_mbcnt_lo_u32_b32 v73, v2, 0
	v_cmp_ne_u32_e64 s0, 0, v2
	s_delay_alu instid0(VALU_DEP_2)
	v_cmp_eq_u32_e32 vcc_lo, 0, v73
	s_and_b32 s1, s0, vcc_lo
	s_wait_alu 0xfffe
	s_and_saveexec_b32 s0, s1
	s_cbranch_execz .LBB199_185
; %bb.184:
	s_wait_dscnt 0x0
	v_bcnt_u32_b32 v2, v2, v72
	ds_store_b32 v78, v2 offset:128
.LBB199_185:
	s_wait_alu 0xfffe
	s_or_b32 exec_lo, exec_lo, s0
	; wave barrier
	s_wait_loadcnt_dscnt 0x0
	s_barrier_signal -1
	s_barrier_wait -1
	global_inv scope:SCOPE_SE
	ds_load_2addr_b32 v[8:9], v29 offset0:32 offset1:33
	ds_load_2addr_b32 v[6:7], v29 offset0:34 offset1:35
	;; [unrolled: 1-line block ×4, first 2 shown]
	ds_load_b32 v58, v29 offset:160
	v_and_b32_e32 v77, 16, v36
	v_and_b32_e32 v79, 31, v1
	s_mov_b32 s6, exec_lo
	s_delay_alu instid0(VALU_DEP_2) | instskip(SKIP_3) | instid1(VALU_DEP_1)
	v_cmp_eq_u32_e64 s4, 0, v77
	s_wait_dscnt 0x3
	v_add3_u32 v75, v9, v8, v6
	s_wait_dscnt 0x2
	v_add3_u32 v75, v75, v7, v4
	s_wait_dscnt 0x1
	s_delay_alu instid0(VALU_DEP_1) | instskip(SKIP_1) | instid1(VALU_DEP_1)
	v_add3_u32 v75, v75, v5, v2
	s_wait_dscnt 0x0
	v_add3_u32 v58, v75, v3, v58
	v_and_b32_e32 v75, 15, v36
	s_delay_alu instid0(VALU_DEP_2) | instskip(NEXT) | instid1(VALU_DEP_2)
	v_mov_b32_dpp v76, v58 row_shr:1 row_mask:0xf bank_mask:0xf
	v_cmp_eq_u32_e32 vcc_lo, 0, v75
	v_cmp_lt_u32_e64 s0, 1, v75
	v_cmp_lt_u32_e64 s1, 3, v75
	;; [unrolled: 1-line block ×3, first 2 shown]
	s_wait_alu 0xfffd
	v_cndmask_b32_e64 v76, v76, 0, vcc_lo
	s_delay_alu instid0(VALU_DEP_1) | instskip(NEXT) | instid1(VALU_DEP_1)
	v_add_nc_u32_e32 v58, v76, v58
	v_mov_b32_dpp v76, v58 row_shr:2 row_mask:0xf bank_mask:0xf
	s_wait_alu 0xf1ff
	s_delay_alu instid0(VALU_DEP_1) | instskip(NEXT) | instid1(VALU_DEP_1)
	v_cndmask_b32_e64 v76, 0, v76, s0
	v_add_nc_u32_e32 v58, v58, v76
	s_delay_alu instid0(VALU_DEP_1) | instskip(NEXT) | instid1(VALU_DEP_1)
	v_mov_b32_dpp v76, v58 row_shr:4 row_mask:0xf bank_mask:0xf
	v_cndmask_b32_e64 v76, 0, v76, s1
	s_delay_alu instid0(VALU_DEP_1) | instskip(NEXT) | instid1(VALU_DEP_1)
	v_add_nc_u32_e32 v58, v58, v76
	v_mov_b32_dpp v76, v58 row_shr:8 row_mask:0xf bank_mask:0xf
	s_delay_alu instid0(VALU_DEP_1) | instskip(SKIP_1) | instid1(VALU_DEP_2)
	v_cndmask_b32_e64 v75, 0, v76, s3
	v_bfe_i32 v76, v36, 4, 1
	v_add_nc_u32_e32 v58, v58, v75
	ds_swizzle_b32 v75, v58 offset:swizzle(BROADCAST,32,15)
	s_wait_dscnt 0x0
	v_and_b32_e32 v75, v76, v75
	v_lshrrev_b32_e32 v76, 5, v1
	s_delay_alu instid0(VALU_DEP_2)
	v_add_nc_u32_e32 v75, v58, v75
	v_cmpx_eq_u32_e32 31, v79
; %bb.186:
	s_delay_alu instid0(VALU_DEP_3)
	v_lshlrev_b32_e32 v58, 2, v76
	ds_store_b32 v58, v75
; %bb.187:
	s_or_b32 exec_lo, exec_lo, s6
	v_cmp_lt_u32_e64 s5, 31, v1
	v_lshlrev_b32_e32 v58, 2, v1
	s_mov_b32 s11, exec_lo
	s_wait_loadcnt_dscnt 0x0
	s_barrier_signal -1
	s_barrier_wait -1
	global_inv scope:SCOPE_SE
	v_cmpx_gt_u32_e32 32, v1
	s_cbranch_execz .LBB199_189
; %bb.188:
	ds_load_b32 v77, v58
	s_wait_dscnt 0x0
	v_mov_b32_dpp v79, v77 row_shr:1 row_mask:0xf bank_mask:0xf
	s_delay_alu instid0(VALU_DEP_1) | instskip(NEXT) | instid1(VALU_DEP_1)
	v_cndmask_b32_e64 v79, v79, 0, vcc_lo
	v_add_nc_u32_e32 v77, v79, v77
	s_delay_alu instid0(VALU_DEP_1) | instskip(NEXT) | instid1(VALU_DEP_1)
	v_mov_b32_dpp v79, v77 row_shr:2 row_mask:0xf bank_mask:0xf
	v_cndmask_b32_e64 v79, 0, v79, s0
	s_delay_alu instid0(VALU_DEP_1) | instskip(NEXT) | instid1(VALU_DEP_1)
	v_add_nc_u32_e32 v77, v77, v79
	v_mov_b32_dpp v79, v77 row_shr:4 row_mask:0xf bank_mask:0xf
	s_delay_alu instid0(VALU_DEP_1) | instskip(NEXT) | instid1(VALU_DEP_1)
	v_cndmask_b32_e64 v79, 0, v79, s1
	v_add_nc_u32_e32 v77, v77, v79
	s_delay_alu instid0(VALU_DEP_1) | instskip(NEXT) | instid1(VALU_DEP_1)
	v_mov_b32_dpp v79, v77 row_shr:8 row_mask:0xf bank_mask:0xf
	v_cndmask_b32_e64 v79, 0, v79, s3
	s_delay_alu instid0(VALU_DEP_1) | instskip(SKIP_3) | instid1(VALU_DEP_1)
	v_add_nc_u32_e32 v77, v77, v79
	ds_swizzle_b32 v79, v77 offset:swizzle(BROADCAST,32,15)
	s_wait_dscnt 0x0
	v_cndmask_b32_e64 v79, v79, 0, s4
	v_add_nc_u32_e32 v77, v77, v79
	ds_store_b32 v58, v77
.LBB199_189:
	s_wait_alu 0xfffe
	s_or_b32 exec_lo, exec_lo, s11
	v_mov_b32_e32 v77, 0
	s_wait_loadcnt_dscnt 0x0
	s_barrier_signal -1
	s_barrier_wait -1
	global_inv scope:SCOPE_SE
	s_and_saveexec_b32 s0, s5
; %bb.190:
	v_lshl_add_u32 v76, v76, 2, -4
	ds_load_b32 v77, v76
; %bb.191:
	s_wait_alu 0xfffe
	s_or_b32 exec_lo, exec_lo, s0
	v_sub_co_u32 v76, vcc_lo, v36, 1
	s_wait_dscnt 0x0
	v_add_nc_u32_e32 v75, v77, v75
	s_delay_alu instid0(VALU_DEP_2) | instskip(SKIP_1) | instid1(VALU_DEP_1)
	v_cmp_gt_i32_e64 s0, 0, v76
	s_wait_alu 0xf1ff
	v_cndmask_b32_e64 v76, v76, v36, s0
	v_cmp_lt_u32_e64 s0, 0xff, v1
	s_delay_alu instid0(VALU_DEP_2)
	v_lshlrev_b32_e32 v76, 2, v76
	ds_bpermute_b32 v75, v76, v75
	s_wait_dscnt 0x0
	s_wait_alu 0xfffd
	v_cndmask_b32_e32 v75, v75, v77, vcc_lo
	v_cmp_gt_u32_e32 vcc_lo, 0x100, v1
	s_delay_alu instid0(VALU_DEP_2) | instskip(NEXT) | instid1(VALU_DEP_1)
	v_cndmask_b32_e64 v75, v75, 0, s2
	v_add_nc_u32_e32 v8, v75, v8
	s_delay_alu instid0(VALU_DEP_1) | instskip(NEXT) | instid1(VALU_DEP_1)
	v_add_nc_u32_e32 v9, v8, v9
	v_add_nc_u32_e32 v6, v9, v6
	s_delay_alu instid0(VALU_DEP_1) | instskip(NEXT) | instid1(VALU_DEP_1)
	v_add_nc_u32_e32 v7, v6, v7
	v_add_nc_u32_e32 v4, v7, v4
	s_delay_alu instid0(VALU_DEP_1) | instskip(NEXT) | instid1(VALU_DEP_1)
	v_add_nc_u32_e32 v5, v4, v5
	v_add_nc_u32_e32 v2, v5, v2
	s_delay_alu instid0(VALU_DEP_1)
	v_add_nc_u32_e32 v3, v2, v3
	ds_store_2addr_b32 v29, v75, v8 offset0:32 offset1:33
	ds_store_2addr_b32 v29, v9, v6 offset0:34 offset1:35
	;; [unrolled: 1-line block ×4, first 2 shown]
	ds_store_b32 v29, v3 offset:160
	s_wait_loadcnt_dscnt 0x0
	s_barrier_signal -1
	s_barrier_wait -1
	global_inv scope:SCOPE_SE
	ds_load_b32 v8, v33 offset:128
	ds_load_b32 v9, v37 offset:128
	;; [unrolled: 1-line block ×16, first 2 shown]
                                        ; implicit-def: $vgpr37
                                        ; implicit-def: $vgpr40
	s_and_saveexec_b32 s2, vcc_lo
	s_cbranch_execz .LBB199_195
; %bb.192:
	v_mul_u32_u24_e32 v2, 0x84, v1
	v_add_nc_u32_e32 v3, 1, v1
	s_mov_b32 s3, exec_lo
	ds_load_b32 v37, v2 offset:128
	v_mov_b32_e32 v2, 0x4000
	v_cmpx_ne_u32_e32 0x100, v3
; %bb.193:
	v_mul_u32_u24_e32 v2, 0x84, v3
	ds_load_b32 v2, v2 offset:128
; %bb.194:
	s_wait_alu 0xfffe
	s_or_b32 exec_lo, exec_lo, s3
	s_wait_dscnt 0x0
	v_sub_nc_u32_e32 v40, v2, v37
.LBB199_195:
	s_wait_alu 0xfffe
	s_or_b32 exec_lo, exec_lo, s2
	v_mov_b32_e32 v3, 0
	s_wait_loadcnt_dscnt 0x0
	s_barrier_signal -1
	s_barrier_wait -1
	global_inv scope:SCOPE_SE
	s_and_saveexec_b32 s1, vcc_lo
	s_cbranch_execz .LBB199_205
; %bb.196:
	v_lshl_add_u32 v2, s25, 8, v1
	v_mov_b32_e32 v65, 0
	s_mov_b32 s2, 0
	s_mov_b32 s3, s25
                                        ; implicit-def: $sgpr4
	s_delay_alu instid0(VALU_DEP_2) | instskip(SKIP_1) | instid1(VALU_DEP_2)
	v_lshlrev_b64_e32 v[4:5], 2, v[2:3]
	v_or_b32_e32 v2, 2.0, v40
	v_add_co_u32 v4, vcc_lo, s26, v4
	s_wait_alu 0xfffd
	s_delay_alu instid0(VALU_DEP_3)
	v_add_co_ci_u32_e64 v5, null, s27, v5, vcc_lo
	global_store_b32 v[4:5], v2, off scope:SCOPE_DEV
	s_branch .LBB199_199
.LBB199_197:                            ;   in Loop: Header=BB199_199 Depth=1
	s_or_b32 exec_lo, exec_lo, s5
.LBB199_198:                            ;   in Loop: Header=BB199_199 Depth=1
	s_delay_alu instid0(SALU_CYCLE_1) | instskip(SKIP_2) | instid1(VALU_DEP_2)
	s_or_b32 exec_lo, exec_lo, s4
	v_and_b32_e32 v6, 0x3fffffff, v2
	v_cmp_gt_i32_e64 s4, -2.0, v2
	v_add_nc_u32_e32 v65, v6, v65
	s_and_b32 s5, exec_lo, s4
	s_wait_alu 0xfffe
	s_or_b32 s2, s5, s2
	s_wait_alu 0xfffe
	s_and_not1_b32 exec_lo, exec_lo, s2
	s_cbranch_execz .LBB199_204
.LBB199_199:                            ; =>This Loop Header: Depth=1
                                        ;     Child Loop BB199_202 Depth 2
	s_or_b32 s4, s4, exec_lo
	s_wait_alu 0xfffe
	s_cmp_eq_u32 s3, 0
	s_cbranch_scc1 .LBB199_203
; %bb.200:                              ;   in Loop: Header=BB199_199 Depth=1
	s_add_co_i32 s3, s3, -1
	s_mov_b32 s4, exec_lo
	s_wait_alu 0xfffe
	v_lshl_or_b32 v2, s3, 8, v1
	s_delay_alu instid0(VALU_DEP_1) | instskip(NEXT) | instid1(VALU_DEP_1)
	v_lshlrev_b64_e32 v[6:7], 2, v[2:3]
	v_add_co_u32 v6, vcc_lo, s26, v6
	s_wait_alu 0xfffd
	s_delay_alu instid0(VALU_DEP_2)
	v_add_co_ci_u32_e64 v7, null, s27, v7, vcc_lo
	global_load_b32 v2, v[6:7], off scope:SCOPE_DEV
	s_wait_loadcnt 0x0
	v_cmpx_gt_u32_e32 2.0, v2
	s_cbranch_execz .LBB199_198
; %bb.201:                              ;   in Loop: Header=BB199_199 Depth=1
	s_mov_b32 s5, 0
.LBB199_202:                            ;   Parent Loop BB199_199 Depth=1
                                        ; =>  This Inner Loop Header: Depth=2
	global_load_b32 v2, v[6:7], off scope:SCOPE_DEV
	s_wait_loadcnt 0x0
	v_cmp_lt_u32_e32 vcc_lo, 0x3fffffff, v2
	s_wait_alu 0xfffe
	s_or_b32 s5, vcc_lo, s5
	s_wait_alu 0xfffe
	s_and_not1_b32 exec_lo, exec_lo, s5
	s_cbranch_execnz .LBB199_202
	s_branch .LBB199_197
.LBB199_203:                            ;   in Loop: Header=BB199_199 Depth=1
                                        ; implicit-def: $sgpr3
	s_and_b32 s5, exec_lo, s4
	s_wait_alu 0xfffe
	s_or_b32 s2, s5, s2
	s_wait_alu 0xfffe
	s_and_not1_b32 exec_lo, exec_lo, s2
	s_cbranch_execnz .LBB199_199
.LBB199_204:
	s_or_b32 exec_lo, exec_lo, s2
	v_add_nc_u32_e32 v2, v65, v40
	v_sub_nc_u32_e32 v3, v65, v37
	s_delay_alu instid0(VALU_DEP_2)
	v_or_b32_e32 v2, 0x80000000, v2
	global_store_b32 v[4:5], v2, off scope:SCOPE_DEV
	global_load_b32 v2, v58, s[28:29]
	s_wait_loadcnt 0x0
	v_add_nc_u32_e32 v2, v3, v2
	ds_store_b32 v58, v2
.LBB199_205:
	s_wait_alu 0xfffe
	s_or_b32 exec_lo, exec_lo, s1
	v_dual_mov_b32 v3, 0 :: v_dual_add_nc_u32 v0, v43, v0
	v_or_b32_e32 v4, 0x1c00, v1
	v_add3_u32 v43, v73, v62, v72
	v_add3_u32 v46, v70, v46, v69
	;; [unrolled: 1-line block ×15, first 2 shown]
	s_mov_b32 s2, 32
	s_mov_b32 s3, 0
	s_mov_b32 s5, -1
	s_mov_b32 s4, 0
.LBB199_206:                            ; =>This Inner Loop Header: Depth=1
	s_wait_alu 0xfffe
	v_add_nc_u32_e32 v2, s4, v0
	v_add_nc_u32_e32 v5, s4, v45
	;; [unrolled: 1-line block ×16, first 2 shown]
	v_min_u32_e32 v2, 0x2000, v2
	v_min_u32_e32 v5, 0x2000, v5
	;; [unrolled: 1-line block ×16, first 2 shown]
	v_lshlrev_b32_e32 v2, 2, v2
	v_lshlrev_b32_e32 v5, 2, v5
	;; [unrolled: 1-line block ×16, first 2 shown]
	ds_store_b32 v2, v11 offset:1024
	ds_store_b32 v5, v12 offset:1024
	;; [unrolled: 1-line block ×16, first 2 shown]
	s_wait_storecnt 0x0
	s_wait_loadcnt_dscnt 0x0
	s_barrier_signal -1
	s_barrier_wait -1
	global_inv scope:SCOPE_SE
	ds_load_2addr_stride64_b32 v[31:32], v58 offset0:4 offset1:20
	ds_load_2addr_stride64_b32 v[33:34], v58 offset0:36 offset1:52
	;; [unrolled: 1-line block ×4, first 2 shown]
	s_addk_co_i32 s4, 0xe000
	s_and_b32 vcc_lo, exec_lo, s5
	s_mov_b32 s5, 0
	s_wait_dscnt 0x3
	v_lshrrev_b32_e32 v2, s44, v31
	v_lshrrev_b32_e32 v6, s44, v32
	s_wait_dscnt 0x2
	v_lshrrev_b32_e32 v7, s44, v33
	v_lshrrev_b32_e32 v8, s44, v34
	;; [unrolled: 3-line block ×4, first 2 shown]
	v_and_b32_e32 v5, s10, v2
	v_and_b32_e32 v6, s10, v6
	;; [unrolled: 1-line block ×8, first 2 shown]
	v_lshlrev_b32_e32 v2, 2, v5
	v_lshlrev_b32_e32 v9, 2, v6
	;; [unrolled: 1-line block ×5, first 2 shown]
	s_clause 0x1
	scratch_store_b128 off, v[5:8], s3
	scratch_store_b128 off, v[27:30], s3 offset:16
	v_lshlrev_b32_e32 v54, 2, v28
	v_lshlrev_b32_e32 v57, 2, v29
	;; [unrolled: 1-line block ×3, first 2 shown]
	ds_load_b32 v2, v2
	ds_load_b32 v7, v9
	;; [unrolled: 1-line block ×8, first 2 shown]
	s_mov_b32 s3, s2
	s_wait_dscnt 0x7
	v_add3_u32 v2, v4, v2, 0xffffe400
	s_delay_alu instid0(VALU_DEP_1) | instskip(SKIP_2) | instid1(VALU_DEP_1)
	v_lshlrev_b64_e32 v[5:6], 2, v[2:3]
	s_wait_dscnt 0x6
	v_add3_u32 v2, v4, v7, 0xffffe800
	v_lshlrev_b64_e32 v[7:8], 2, v[2:3]
	s_wait_dscnt 0x5
	v_add3_u32 v2, v4, v9, 0xffffec00
	v_add_co_u32 v5, s1, s38, v5
	s_wait_alu 0xf1ff
	v_add_co_ci_u32_e64 v6, null, s39, v6, s1
	s_delay_alu instid0(VALU_DEP_3)
	v_lshlrev_b64_e32 v[27:28], 2, v[2:3]
	s_wait_dscnt 0x4
	v_add3_u32 v2, v4, v29, 0xfffff000
	v_add_co_u32 v7, s1, s38, v7
	s_wait_alu 0xf1ff
	v_add_co_ci_u32_e64 v8, null, s39, v8, s1
	global_store_b32 v[5:6], v31, off
	v_lshlrev_b64_e32 v[5:6], 2, v[2:3]
	s_wait_dscnt 0x3
	v_add3_u32 v2, v4, v30, 0xfffff400
	global_store_b32 v[7:8], v32, off
	v_add_co_u32 v7, s1, s38, v27
	s_wait_alu 0xf1ff
	v_add_co_ci_u32_e64 v8, null, s39, v28, s1
	v_lshlrev_b64_e32 v[27:28], 2, v[2:3]
	s_wait_dscnt 0x2
	v_add3_u32 v2, v4, v35, 0xfffff800
	v_add_co_u32 v5, s1, s38, v5
	s_wait_alu 0xf1ff
	v_add_co_ci_u32_e64 v6, null, s39, v6, s1
	global_store_b32 v[7:8], v33, off
	v_lshlrev_b64_e32 v[7:8], 2, v[2:3]
	s_wait_dscnt 0x1
	v_add3_u32 v2, v4, v48, 0xfffffc00
	global_store_b32 v[5:6], v34, off
	v_add_co_u32 v5, s1, s38, v27
	s_wait_alu 0xf1ff
	v_add_co_ci_u32_e64 v6, null, s39, v28, s1
	v_lshlrev_b64_e32 v[27:28], 2, v[2:3]
	s_wait_dscnt 0x0
	v_add_nc_u32_e32 v2, v4, v51
	v_add_co_u32 v7, s1, s38, v7
	s_wait_alu 0xf1ff
	v_add_co_ci_u32_e64 v8, null, s39, v8, s1
	global_store_b32 v[5:6], v59, off
	v_lshlrev_b64_e32 v[5:6], 2, v[2:3]
	v_add_nc_u32_e32 v4, 0x2000, v4
	global_store_b32 v[7:8], v60, off
	v_add_co_u32 v7, s1, s38, v27
	s_wait_alu 0xf1ff
	v_add_co_ci_u32_e64 v8, null, s39, v28, s1
	v_add_co_u32 v5, s1, s38, v5
	s_wait_alu 0xf1ff
	v_add_co_ci_u32_e64 v6, null, s39, v6, s1
	s_clause 0x1
	global_store_b32 v[7:8], v61, off
	global_store_b32 v[5:6], v62, off
	s_wait_loadcnt 0x0
	s_wait_storecnt 0x0
	s_barrier_signal -1
	s_barrier_wait -1
	global_inv scope:SCOPE_SE
	s_wait_alu 0xfffe
	s_cbranch_vccnz .LBB199_206
; %bb.207:
	v_dual_mov_b32 v35, 0 :: v_dual_lshlrev_b32 v2, 3, v36
	s_lshl_b64 s[2:3], s[8:9], 3
	v_lshlrev_b32_e32 v3, 3, v10
	s_wait_alu 0xfffe
	s_add_nc_u64 s[2:3], s[40:41], s[2:3]
	v_lshlrev_b32_e32 v36, 3, v1
	s_wait_alu 0xfffe
	v_add_co_u32 v2, s1, s2, v2
	s_wait_alu 0xf1ff
	v_add_co_ci_u32_e64 v4, null, s3, 0, s1
	v_or_b32_e32 v1, 0xc00, v1
	s_delay_alu instid0(VALU_DEP_3) | instskip(SKIP_1) | instid1(VALU_DEP_3)
	v_add_co_u32 v32, vcc_lo, v2, v3
	s_wait_alu 0xfffd
	v_add_co_ci_u32_e64 v33, null, 0, v4, vcc_lo
	s_or_b32 s1, 0, 8
	s_mov_b32 s2, 0
	s_clause 0xf
	global_load_b64 v[2:3], v[32:33], off
	global_load_b64 v[4:5], v[32:33], off offset:256
	global_load_b64 v[6:7], v[32:33], off offset:512
	;; [unrolled: 1-line block ×15, first 2 shown]
.LBB199_208:                            ; =>This Inner Loop Header: Depth=1
	s_wait_alu 0xfffe
	v_add_nc_u32_e32 v34, s2, v0
	v_add_nc_u32_e32 v48, s2, v45
	;; [unrolled: 1-line block ×16, first 2 shown]
	v_min_u32_e32 v34, 0x1000, v34
	v_min_u32_e32 v48, 0x1000, v48
	;; [unrolled: 1-line block ×16, first 2 shown]
	v_lshlrev_b32_e32 v34, 3, v34
	v_lshlrev_b32_e32 v48, 3, v48
	;; [unrolled: 1-line block ×16, first 2 shown]
	s_wait_loadcnt 0xf
	ds_store_b64 v34, v[2:3] offset:1024
	s_wait_loadcnt 0xe
	ds_store_b64 v48, v[4:5] offset:1024
	;; [unrolled: 2-line block ×16, first 2 shown]
	s_wait_dscnt 0x0
	s_barrier_signal -1
	s_barrier_wait -1
	global_inv scope:SCOPE_SE
	scratch_load_b128 v[59:62], off, s1 offset:-8
	ds_load_2addr_stride64_b64 v[63:66], v36 offset0:2 offset1:18
	ds_load_2addr_stride64_b64 v[67:70], v36 offset0:34 offset1:50
	s_addk_co_i32 s2, 0xf000
	s_add_co_i32 s1, s1, 16
	s_wait_alu 0xfffe
	s_cmp_lg_u32 s2, 0xffffc000
	s_wait_loadcnt 0x0
	v_lshlrev_b32_e32 v34, 2, v59
	v_lshlrev_b32_e32 v48, 2, v60
	;; [unrolled: 1-line block ×4, first 2 shown]
	ds_load_b32 v34, v34
	ds_load_b32 v48, v48
	;; [unrolled: 1-line block ×4, first 2 shown]
	s_wait_dscnt 0x3
	v_add3_u32 v34, v1, v34, 0xfffff400
	s_delay_alu instid0(VALU_DEP_1) | instskip(SKIP_2) | instid1(VALU_DEP_1)
	v_lshlrev_b64_e32 v[59:60], 3, v[34:35]
	s_wait_dscnt 0x2
	v_add3_u32 v34, v1, v48, 0xfffff800
	v_lshlrev_b64_e32 v[61:62], 3, v[34:35]
	s_wait_dscnt 0x1
	v_add3_u32 v34, v1, v51, 0xfffffc00
	v_add_co_u32 v59, vcc_lo, s42, v59
	s_wait_alu 0xfffd
	v_add_co_ci_u32_e64 v60, null, s43, v60, vcc_lo
	s_delay_alu instid0(VALU_DEP_3)
	v_lshlrev_b64_e32 v[71:72], 3, v[34:35]
	s_wait_dscnt 0x0
	v_add_nc_u32_e32 v34, v1, v54
	v_add_co_u32 v61, vcc_lo, s42, v61
	s_wait_alu 0xfffd
	v_add_co_ci_u32_e64 v62, null, s43, v62, vcc_lo
	global_store_b64 v[59:60], v[63:64], off
	v_lshlrev_b64_e32 v[59:60], 3, v[34:35]
	v_add_nc_u32_e32 v1, 0x1000, v1
	global_store_b64 v[61:62], v[65:66], off
	v_add_co_u32 v61, vcc_lo, s42, v71
	s_wait_alu 0xfffd
	v_add_co_ci_u32_e64 v62, null, s43, v72, vcc_lo
	v_add_co_u32 v59, vcc_lo, s42, v59
	s_wait_alu 0xfffd
	v_add_co_ci_u32_e64 v60, null, s43, v60, vcc_lo
	s_clause 0x1
	global_store_b64 v[61:62], v[67:68], off
	global_store_b64 v[59:60], v[69:70], off
	s_wait_storecnt 0x0
	s_barrier_signal -1
	s_barrier_wait -1
	global_inv scope:SCOPE_SE
	s_cbranch_scc1 .LBB199_208
; %bb.209:
	s_add_co_i32 s7, s7, -1
	s_delay_alu instid0(SALU_CYCLE_1)
	s_cmp_eq_u32 s25, s7
	s_cselect_b32 s1, -1, 0
	s_xor_b32 s0, s0, -1
	s_wait_alu 0xfffe
	s_and_b32 s0, s0, s1
	s_wait_alu 0xfffe
	s_and_saveexec_b32 s1, s0
	s_cbranch_execz .LBB199_211
; %bb.210:
	ds_load_b32 v0, v58
	s_wait_dscnt 0x0
	v_add3_u32 v0, v37, v40, v0
	global_store_b32 v58, v0, s[30:31]
.LBB199_211:
	s_endpgm
	.section	.rodata,"a",@progbits
	.p2align	6, 0x0
	.amdhsa_kernel _ZN7rocprim17ROCPRIM_400000_NS6detail17trampoline_kernelINS0_14default_configENS1_35radix_sort_onesweep_config_selectorIjN6thrust23THRUST_200600_302600_NS5tupleIffNS6_9null_typeES8_S8_S8_S8_S8_S8_S8_EEEEZZNS1_29radix_sort_onesweep_iterationIS3_Lb0ENS6_6detail15normal_iteratorINS6_10device_ptrIjEEEESG_NSD_INSE_IS9_EEEESI_jNS0_19identity_decomposerENS1_16block_id_wrapperIjLb1EEEEE10hipError_tT1_PNSt15iterator_traitsISN_E10value_typeET2_T3_PNSO_IST_E10value_typeET4_T5_PSY_SZ_PNS1_23onesweep_lookback_stateEbbT6_jjT7_P12ihipStream_tbENKUlT_T0_SN_SS_E_clIPjSG_PS9_SI_EEDaS16_S17_SN_SS_EUlS16_E_NS1_11comp_targetILNS1_3genE10ELNS1_11target_archE1201ELNS1_3gpuE5ELNS1_3repE0EEENS1_47radix_sort_onesweep_sort_config_static_selectorELNS0_4arch9wavefront6targetE0EEEvSN_
		.amdhsa_group_segment_fixed_size 37000
		.amdhsa_private_segment_fixed_size 80
		.amdhsa_kernarg_size 344
		.amdhsa_user_sgpr_count 2
		.amdhsa_user_sgpr_dispatch_ptr 0
		.amdhsa_user_sgpr_queue_ptr 0
		.amdhsa_user_sgpr_kernarg_segment_ptr 1
		.amdhsa_user_sgpr_dispatch_id 0
		.amdhsa_user_sgpr_private_segment_size 0
		.amdhsa_wavefront_size32 1
		.amdhsa_uses_dynamic_stack 0
		.amdhsa_enable_private_segment 1
		.amdhsa_system_sgpr_workgroup_id_x 1
		.amdhsa_system_sgpr_workgroup_id_y 0
		.amdhsa_system_sgpr_workgroup_id_z 0
		.amdhsa_system_sgpr_workgroup_info 0
		.amdhsa_system_vgpr_workitem_id 2
		.amdhsa_next_free_vgpr 82
		.amdhsa_next_free_sgpr 51
		.amdhsa_reserve_vcc 1
		.amdhsa_float_round_mode_32 0
		.amdhsa_float_round_mode_16_64 0
		.amdhsa_float_denorm_mode_32 3
		.amdhsa_float_denorm_mode_16_64 3
		.amdhsa_fp16_overflow 0
		.amdhsa_workgroup_processor_mode 1
		.amdhsa_memory_ordered 1
		.amdhsa_forward_progress 1
		.amdhsa_inst_pref_size 174
		.amdhsa_round_robin_scheduling 0
		.amdhsa_exception_fp_ieee_invalid_op 0
		.amdhsa_exception_fp_denorm_src 0
		.amdhsa_exception_fp_ieee_div_zero 0
		.amdhsa_exception_fp_ieee_overflow 0
		.amdhsa_exception_fp_ieee_underflow 0
		.amdhsa_exception_fp_ieee_inexact 0
		.amdhsa_exception_int_div_zero 0
	.end_amdhsa_kernel
	.section	.text._ZN7rocprim17ROCPRIM_400000_NS6detail17trampoline_kernelINS0_14default_configENS1_35radix_sort_onesweep_config_selectorIjN6thrust23THRUST_200600_302600_NS5tupleIffNS6_9null_typeES8_S8_S8_S8_S8_S8_S8_EEEEZZNS1_29radix_sort_onesweep_iterationIS3_Lb0ENS6_6detail15normal_iteratorINS6_10device_ptrIjEEEESG_NSD_INSE_IS9_EEEESI_jNS0_19identity_decomposerENS1_16block_id_wrapperIjLb1EEEEE10hipError_tT1_PNSt15iterator_traitsISN_E10value_typeET2_T3_PNSO_IST_E10value_typeET4_T5_PSY_SZ_PNS1_23onesweep_lookback_stateEbbT6_jjT7_P12ihipStream_tbENKUlT_T0_SN_SS_E_clIPjSG_PS9_SI_EEDaS16_S17_SN_SS_EUlS16_E_NS1_11comp_targetILNS1_3genE10ELNS1_11target_archE1201ELNS1_3gpuE5ELNS1_3repE0EEENS1_47radix_sort_onesweep_sort_config_static_selectorELNS0_4arch9wavefront6targetE0EEEvSN_,"axG",@progbits,_ZN7rocprim17ROCPRIM_400000_NS6detail17trampoline_kernelINS0_14default_configENS1_35radix_sort_onesweep_config_selectorIjN6thrust23THRUST_200600_302600_NS5tupleIffNS6_9null_typeES8_S8_S8_S8_S8_S8_S8_EEEEZZNS1_29radix_sort_onesweep_iterationIS3_Lb0ENS6_6detail15normal_iteratorINS6_10device_ptrIjEEEESG_NSD_INSE_IS9_EEEESI_jNS0_19identity_decomposerENS1_16block_id_wrapperIjLb1EEEEE10hipError_tT1_PNSt15iterator_traitsISN_E10value_typeET2_T3_PNSO_IST_E10value_typeET4_T5_PSY_SZ_PNS1_23onesweep_lookback_stateEbbT6_jjT7_P12ihipStream_tbENKUlT_T0_SN_SS_E_clIPjSG_PS9_SI_EEDaS16_S17_SN_SS_EUlS16_E_NS1_11comp_targetILNS1_3genE10ELNS1_11target_archE1201ELNS1_3gpuE5ELNS1_3repE0EEENS1_47radix_sort_onesweep_sort_config_static_selectorELNS0_4arch9wavefront6targetE0EEEvSN_,comdat
.Lfunc_end199:
	.size	_ZN7rocprim17ROCPRIM_400000_NS6detail17trampoline_kernelINS0_14default_configENS1_35radix_sort_onesweep_config_selectorIjN6thrust23THRUST_200600_302600_NS5tupleIffNS6_9null_typeES8_S8_S8_S8_S8_S8_S8_EEEEZZNS1_29radix_sort_onesweep_iterationIS3_Lb0ENS6_6detail15normal_iteratorINS6_10device_ptrIjEEEESG_NSD_INSE_IS9_EEEESI_jNS0_19identity_decomposerENS1_16block_id_wrapperIjLb1EEEEE10hipError_tT1_PNSt15iterator_traitsISN_E10value_typeET2_T3_PNSO_IST_E10value_typeET4_T5_PSY_SZ_PNS1_23onesweep_lookback_stateEbbT6_jjT7_P12ihipStream_tbENKUlT_T0_SN_SS_E_clIPjSG_PS9_SI_EEDaS16_S17_SN_SS_EUlS16_E_NS1_11comp_targetILNS1_3genE10ELNS1_11target_archE1201ELNS1_3gpuE5ELNS1_3repE0EEENS1_47radix_sort_onesweep_sort_config_static_selectorELNS0_4arch9wavefront6targetE0EEEvSN_, .Lfunc_end199-_ZN7rocprim17ROCPRIM_400000_NS6detail17trampoline_kernelINS0_14default_configENS1_35radix_sort_onesweep_config_selectorIjN6thrust23THRUST_200600_302600_NS5tupleIffNS6_9null_typeES8_S8_S8_S8_S8_S8_S8_EEEEZZNS1_29radix_sort_onesweep_iterationIS3_Lb0ENS6_6detail15normal_iteratorINS6_10device_ptrIjEEEESG_NSD_INSE_IS9_EEEESI_jNS0_19identity_decomposerENS1_16block_id_wrapperIjLb1EEEEE10hipError_tT1_PNSt15iterator_traitsISN_E10value_typeET2_T3_PNSO_IST_E10value_typeET4_T5_PSY_SZ_PNS1_23onesweep_lookback_stateEbbT6_jjT7_P12ihipStream_tbENKUlT_T0_SN_SS_E_clIPjSG_PS9_SI_EEDaS16_S17_SN_SS_EUlS16_E_NS1_11comp_targetILNS1_3genE10ELNS1_11target_archE1201ELNS1_3gpuE5ELNS1_3repE0EEENS1_47radix_sort_onesweep_sort_config_static_selectorELNS0_4arch9wavefront6targetE0EEEvSN_
                                        ; -- End function
	.set _ZN7rocprim17ROCPRIM_400000_NS6detail17trampoline_kernelINS0_14default_configENS1_35radix_sort_onesweep_config_selectorIjN6thrust23THRUST_200600_302600_NS5tupleIffNS6_9null_typeES8_S8_S8_S8_S8_S8_S8_EEEEZZNS1_29radix_sort_onesweep_iterationIS3_Lb0ENS6_6detail15normal_iteratorINS6_10device_ptrIjEEEESG_NSD_INSE_IS9_EEEESI_jNS0_19identity_decomposerENS1_16block_id_wrapperIjLb1EEEEE10hipError_tT1_PNSt15iterator_traitsISN_E10value_typeET2_T3_PNSO_IST_E10value_typeET4_T5_PSY_SZ_PNS1_23onesweep_lookback_stateEbbT6_jjT7_P12ihipStream_tbENKUlT_T0_SN_SS_E_clIPjSG_PS9_SI_EEDaS16_S17_SN_SS_EUlS16_E_NS1_11comp_targetILNS1_3genE10ELNS1_11target_archE1201ELNS1_3gpuE5ELNS1_3repE0EEENS1_47radix_sort_onesweep_sort_config_static_selectorELNS0_4arch9wavefront6targetE0EEEvSN_.num_vgpr, 82
	.set _ZN7rocprim17ROCPRIM_400000_NS6detail17trampoline_kernelINS0_14default_configENS1_35radix_sort_onesweep_config_selectorIjN6thrust23THRUST_200600_302600_NS5tupleIffNS6_9null_typeES8_S8_S8_S8_S8_S8_S8_EEEEZZNS1_29radix_sort_onesweep_iterationIS3_Lb0ENS6_6detail15normal_iteratorINS6_10device_ptrIjEEEESG_NSD_INSE_IS9_EEEESI_jNS0_19identity_decomposerENS1_16block_id_wrapperIjLb1EEEEE10hipError_tT1_PNSt15iterator_traitsISN_E10value_typeET2_T3_PNSO_IST_E10value_typeET4_T5_PSY_SZ_PNS1_23onesweep_lookback_stateEbbT6_jjT7_P12ihipStream_tbENKUlT_T0_SN_SS_E_clIPjSG_PS9_SI_EEDaS16_S17_SN_SS_EUlS16_E_NS1_11comp_targetILNS1_3genE10ELNS1_11target_archE1201ELNS1_3gpuE5ELNS1_3repE0EEENS1_47radix_sort_onesweep_sort_config_static_selectorELNS0_4arch9wavefront6targetE0EEEvSN_.num_agpr, 0
	.set _ZN7rocprim17ROCPRIM_400000_NS6detail17trampoline_kernelINS0_14default_configENS1_35radix_sort_onesweep_config_selectorIjN6thrust23THRUST_200600_302600_NS5tupleIffNS6_9null_typeES8_S8_S8_S8_S8_S8_S8_EEEEZZNS1_29radix_sort_onesweep_iterationIS3_Lb0ENS6_6detail15normal_iteratorINS6_10device_ptrIjEEEESG_NSD_INSE_IS9_EEEESI_jNS0_19identity_decomposerENS1_16block_id_wrapperIjLb1EEEEE10hipError_tT1_PNSt15iterator_traitsISN_E10value_typeET2_T3_PNSO_IST_E10value_typeET4_T5_PSY_SZ_PNS1_23onesweep_lookback_stateEbbT6_jjT7_P12ihipStream_tbENKUlT_T0_SN_SS_E_clIPjSG_PS9_SI_EEDaS16_S17_SN_SS_EUlS16_E_NS1_11comp_targetILNS1_3genE10ELNS1_11target_archE1201ELNS1_3gpuE5ELNS1_3repE0EEENS1_47radix_sort_onesweep_sort_config_static_selectorELNS0_4arch9wavefront6targetE0EEEvSN_.numbered_sgpr, 51
	.set _ZN7rocprim17ROCPRIM_400000_NS6detail17trampoline_kernelINS0_14default_configENS1_35radix_sort_onesweep_config_selectorIjN6thrust23THRUST_200600_302600_NS5tupleIffNS6_9null_typeES8_S8_S8_S8_S8_S8_S8_EEEEZZNS1_29radix_sort_onesweep_iterationIS3_Lb0ENS6_6detail15normal_iteratorINS6_10device_ptrIjEEEESG_NSD_INSE_IS9_EEEESI_jNS0_19identity_decomposerENS1_16block_id_wrapperIjLb1EEEEE10hipError_tT1_PNSt15iterator_traitsISN_E10value_typeET2_T3_PNSO_IST_E10value_typeET4_T5_PSY_SZ_PNS1_23onesweep_lookback_stateEbbT6_jjT7_P12ihipStream_tbENKUlT_T0_SN_SS_E_clIPjSG_PS9_SI_EEDaS16_S17_SN_SS_EUlS16_E_NS1_11comp_targetILNS1_3genE10ELNS1_11target_archE1201ELNS1_3gpuE5ELNS1_3repE0EEENS1_47radix_sort_onesweep_sort_config_static_selectorELNS0_4arch9wavefront6targetE0EEEvSN_.num_named_barrier, 0
	.set _ZN7rocprim17ROCPRIM_400000_NS6detail17trampoline_kernelINS0_14default_configENS1_35radix_sort_onesweep_config_selectorIjN6thrust23THRUST_200600_302600_NS5tupleIffNS6_9null_typeES8_S8_S8_S8_S8_S8_S8_EEEEZZNS1_29radix_sort_onesweep_iterationIS3_Lb0ENS6_6detail15normal_iteratorINS6_10device_ptrIjEEEESG_NSD_INSE_IS9_EEEESI_jNS0_19identity_decomposerENS1_16block_id_wrapperIjLb1EEEEE10hipError_tT1_PNSt15iterator_traitsISN_E10value_typeET2_T3_PNSO_IST_E10value_typeET4_T5_PSY_SZ_PNS1_23onesweep_lookback_stateEbbT6_jjT7_P12ihipStream_tbENKUlT_T0_SN_SS_E_clIPjSG_PS9_SI_EEDaS16_S17_SN_SS_EUlS16_E_NS1_11comp_targetILNS1_3genE10ELNS1_11target_archE1201ELNS1_3gpuE5ELNS1_3repE0EEENS1_47radix_sort_onesweep_sort_config_static_selectorELNS0_4arch9wavefront6targetE0EEEvSN_.private_seg_size, 80
	.set _ZN7rocprim17ROCPRIM_400000_NS6detail17trampoline_kernelINS0_14default_configENS1_35radix_sort_onesweep_config_selectorIjN6thrust23THRUST_200600_302600_NS5tupleIffNS6_9null_typeES8_S8_S8_S8_S8_S8_S8_EEEEZZNS1_29radix_sort_onesweep_iterationIS3_Lb0ENS6_6detail15normal_iteratorINS6_10device_ptrIjEEEESG_NSD_INSE_IS9_EEEESI_jNS0_19identity_decomposerENS1_16block_id_wrapperIjLb1EEEEE10hipError_tT1_PNSt15iterator_traitsISN_E10value_typeET2_T3_PNSO_IST_E10value_typeET4_T5_PSY_SZ_PNS1_23onesweep_lookback_stateEbbT6_jjT7_P12ihipStream_tbENKUlT_T0_SN_SS_E_clIPjSG_PS9_SI_EEDaS16_S17_SN_SS_EUlS16_E_NS1_11comp_targetILNS1_3genE10ELNS1_11target_archE1201ELNS1_3gpuE5ELNS1_3repE0EEENS1_47radix_sort_onesweep_sort_config_static_selectorELNS0_4arch9wavefront6targetE0EEEvSN_.uses_vcc, 1
	.set _ZN7rocprim17ROCPRIM_400000_NS6detail17trampoline_kernelINS0_14default_configENS1_35radix_sort_onesweep_config_selectorIjN6thrust23THRUST_200600_302600_NS5tupleIffNS6_9null_typeES8_S8_S8_S8_S8_S8_S8_EEEEZZNS1_29radix_sort_onesweep_iterationIS3_Lb0ENS6_6detail15normal_iteratorINS6_10device_ptrIjEEEESG_NSD_INSE_IS9_EEEESI_jNS0_19identity_decomposerENS1_16block_id_wrapperIjLb1EEEEE10hipError_tT1_PNSt15iterator_traitsISN_E10value_typeET2_T3_PNSO_IST_E10value_typeET4_T5_PSY_SZ_PNS1_23onesweep_lookback_stateEbbT6_jjT7_P12ihipStream_tbENKUlT_T0_SN_SS_E_clIPjSG_PS9_SI_EEDaS16_S17_SN_SS_EUlS16_E_NS1_11comp_targetILNS1_3genE10ELNS1_11target_archE1201ELNS1_3gpuE5ELNS1_3repE0EEENS1_47radix_sort_onesweep_sort_config_static_selectorELNS0_4arch9wavefront6targetE0EEEvSN_.uses_flat_scratch, 1
	.set _ZN7rocprim17ROCPRIM_400000_NS6detail17trampoline_kernelINS0_14default_configENS1_35radix_sort_onesweep_config_selectorIjN6thrust23THRUST_200600_302600_NS5tupleIffNS6_9null_typeES8_S8_S8_S8_S8_S8_S8_EEEEZZNS1_29radix_sort_onesweep_iterationIS3_Lb0ENS6_6detail15normal_iteratorINS6_10device_ptrIjEEEESG_NSD_INSE_IS9_EEEESI_jNS0_19identity_decomposerENS1_16block_id_wrapperIjLb1EEEEE10hipError_tT1_PNSt15iterator_traitsISN_E10value_typeET2_T3_PNSO_IST_E10value_typeET4_T5_PSY_SZ_PNS1_23onesweep_lookback_stateEbbT6_jjT7_P12ihipStream_tbENKUlT_T0_SN_SS_E_clIPjSG_PS9_SI_EEDaS16_S17_SN_SS_EUlS16_E_NS1_11comp_targetILNS1_3genE10ELNS1_11target_archE1201ELNS1_3gpuE5ELNS1_3repE0EEENS1_47radix_sort_onesweep_sort_config_static_selectorELNS0_4arch9wavefront6targetE0EEEvSN_.has_dyn_sized_stack, 0
	.set _ZN7rocprim17ROCPRIM_400000_NS6detail17trampoline_kernelINS0_14default_configENS1_35radix_sort_onesweep_config_selectorIjN6thrust23THRUST_200600_302600_NS5tupleIffNS6_9null_typeES8_S8_S8_S8_S8_S8_S8_EEEEZZNS1_29radix_sort_onesweep_iterationIS3_Lb0ENS6_6detail15normal_iteratorINS6_10device_ptrIjEEEESG_NSD_INSE_IS9_EEEESI_jNS0_19identity_decomposerENS1_16block_id_wrapperIjLb1EEEEE10hipError_tT1_PNSt15iterator_traitsISN_E10value_typeET2_T3_PNSO_IST_E10value_typeET4_T5_PSY_SZ_PNS1_23onesweep_lookback_stateEbbT6_jjT7_P12ihipStream_tbENKUlT_T0_SN_SS_E_clIPjSG_PS9_SI_EEDaS16_S17_SN_SS_EUlS16_E_NS1_11comp_targetILNS1_3genE10ELNS1_11target_archE1201ELNS1_3gpuE5ELNS1_3repE0EEENS1_47radix_sort_onesweep_sort_config_static_selectorELNS0_4arch9wavefront6targetE0EEEvSN_.has_recursion, 0
	.set _ZN7rocprim17ROCPRIM_400000_NS6detail17trampoline_kernelINS0_14default_configENS1_35radix_sort_onesweep_config_selectorIjN6thrust23THRUST_200600_302600_NS5tupleIffNS6_9null_typeES8_S8_S8_S8_S8_S8_S8_EEEEZZNS1_29radix_sort_onesweep_iterationIS3_Lb0ENS6_6detail15normal_iteratorINS6_10device_ptrIjEEEESG_NSD_INSE_IS9_EEEESI_jNS0_19identity_decomposerENS1_16block_id_wrapperIjLb1EEEEE10hipError_tT1_PNSt15iterator_traitsISN_E10value_typeET2_T3_PNSO_IST_E10value_typeET4_T5_PSY_SZ_PNS1_23onesweep_lookback_stateEbbT6_jjT7_P12ihipStream_tbENKUlT_T0_SN_SS_E_clIPjSG_PS9_SI_EEDaS16_S17_SN_SS_EUlS16_E_NS1_11comp_targetILNS1_3genE10ELNS1_11target_archE1201ELNS1_3gpuE5ELNS1_3repE0EEENS1_47radix_sort_onesweep_sort_config_static_selectorELNS0_4arch9wavefront6targetE0EEEvSN_.has_indirect_call, 0
	.section	.AMDGPU.csdata,"",@progbits
; Kernel info:
; codeLenInByte = 22180
; TotalNumSgprs: 53
; NumVgprs: 82
; ScratchSize: 80
; MemoryBound: 0
; FloatMode: 240
; IeeeMode: 1
; LDSByteSize: 37000 bytes/workgroup (compile time only)
; SGPRBlocks: 0
; VGPRBlocks: 10
; NumSGPRsForWavesPerEU: 53
; NumVGPRsForWavesPerEU: 82
; Occupancy: 16
; WaveLimiterHint : 1
; COMPUTE_PGM_RSRC2:SCRATCH_EN: 1
; COMPUTE_PGM_RSRC2:USER_SGPR: 2
; COMPUTE_PGM_RSRC2:TRAP_HANDLER: 0
; COMPUTE_PGM_RSRC2:TGID_X_EN: 1
; COMPUTE_PGM_RSRC2:TGID_Y_EN: 0
; COMPUTE_PGM_RSRC2:TGID_Z_EN: 0
; COMPUTE_PGM_RSRC2:TIDIG_COMP_CNT: 2
	.section	.text._ZN7rocprim17ROCPRIM_400000_NS6detail17trampoline_kernelINS0_14default_configENS1_35radix_sort_onesweep_config_selectorIjN6thrust23THRUST_200600_302600_NS5tupleIffNS6_9null_typeES8_S8_S8_S8_S8_S8_S8_EEEEZZNS1_29radix_sort_onesweep_iterationIS3_Lb0ENS6_6detail15normal_iteratorINS6_10device_ptrIjEEEESG_NSD_INSE_IS9_EEEESI_jNS0_19identity_decomposerENS1_16block_id_wrapperIjLb1EEEEE10hipError_tT1_PNSt15iterator_traitsISN_E10value_typeET2_T3_PNSO_IST_E10value_typeET4_T5_PSY_SZ_PNS1_23onesweep_lookback_stateEbbT6_jjT7_P12ihipStream_tbENKUlT_T0_SN_SS_E_clIPjSG_PS9_SI_EEDaS16_S17_SN_SS_EUlS16_E_NS1_11comp_targetILNS1_3genE9ELNS1_11target_archE1100ELNS1_3gpuE3ELNS1_3repE0EEENS1_47radix_sort_onesweep_sort_config_static_selectorELNS0_4arch9wavefront6targetE0EEEvSN_,"axG",@progbits,_ZN7rocprim17ROCPRIM_400000_NS6detail17trampoline_kernelINS0_14default_configENS1_35radix_sort_onesweep_config_selectorIjN6thrust23THRUST_200600_302600_NS5tupleIffNS6_9null_typeES8_S8_S8_S8_S8_S8_S8_EEEEZZNS1_29radix_sort_onesweep_iterationIS3_Lb0ENS6_6detail15normal_iteratorINS6_10device_ptrIjEEEESG_NSD_INSE_IS9_EEEESI_jNS0_19identity_decomposerENS1_16block_id_wrapperIjLb1EEEEE10hipError_tT1_PNSt15iterator_traitsISN_E10value_typeET2_T3_PNSO_IST_E10value_typeET4_T5_PSY_SZ_PNS1_23onesweep_lookback_stateEbbT6_jjT7_P12ihipStream_tbENKUlT_T0_SN_SS_E_clIPjSG_PS9_SI_EEDaS16_S17_SN_SS_EUlS16_E_NS1_11comp_targetILNS1_3genE9ELNS1_11target_archE1100ELNS1_3gpuE3ELNS1_3repE0EEENS1_47radix_sort_onesweep_sort_config_static_selectorELNS0_4arch9wavefront6targetE0EEEvSN_,comdat
	.protected	_ZN7rocprim17ROCPRIM_400000_NS6detail17trampoline_kernelINS0_14default_configENS1_35radix_sort_onesweep_config_selectorIjN6thrust23THRUST_200600_302600_NS5tupleIffNS6_9null_typeES8_S8_S8_S8_S8_S8_S8_EEEEZZNS1_29radix_sort_onesweep_iterationIS3_Lb0ENS6_6detail15normal_iteratorINS6_10device_ptrIjEEEESG_NSD_INSE_IS9_EEEESI_jNS0_19identity_decomposerENS1_16block_id_wrapperIjLb1EEEEE10hipError_tT1_PNSt15iterator_traitsISN_E10value_typeET2_T3_PNSO_IST_E10value_typeET4_T5_PSY_SZ_PNS1_23onesweep_lookback_stateEbbT6_jjT7_P12ihipStream_tbENKUlT_T0_SN_SS_E_clIPjSG_PS9_SI_EEDaS16_S17_SN_SS_EUlS16_E_NS1_11comp_targetILNS1_3genE9ELNS1_11target_archE1100ELNS1_3gpuE3ELNS1_3repE0EEENS1_47radix_sort_onesweep_sort_config_static_selectorELNS0_4arch9wavefront6targetE0EEEvSN_ ; -- Begin function _ZN7rocprim17ROCPRIM_400000_NS6detail17trampoline_kernelINS0_14default_configENS1_35radix_sort_onesweep_config_selectorIjN6thrust23THRUST_200600_302600_NS5tupleIffNS6_9null_typeES8_S8_S8_S8_S8_S8_S8_EEEEZZNS1_29radix_sort_onesweep_iterationIS3_Lb0ENS6_6detail15normal_iteratorINS6_10device_ptrIjEEEESG_NSD_INSE_IS9_EEEESI_jNS0_19identity_decomposerENS1_16block_id_wrapperIjLb1EEEEE10hipError_tT1_PNSt15iterator_traitsISN_E10value_typeET2_T3_PNSO_IST_E10value_typeET4_T5_PSY_SZ_PNS1_23onesweep_lookback_stateEbbT6_jjT7_P12ihipStream_tbENKUlT_T0_SN_SS_E_clIPjSG_PS9_SI_EEDaS16_S17_SN_SS_EUlS16_E_NS1_11comp_targetILNS1_3genE9ELNS1_11target_archE1100ELNS1_3gpuE3ELNS1_3repE0EEENS1_47radix_sort_onesweep_sort_config_static_selectorELNS0_4arch9wavefront6targetE0EEEvSN_
	.globl	_ZN7rocprim17ROCPRIM_400000_NS6detail17trampoline_kernelINS0_14default_configENS1_35radix_sort_onesweep_config_selectorIjN6thrust23THRUST_200600_302600_NS5tupleIffNS6_9null_typeES8_S8_S8_S8_S8_S8_S8_EEEEZZNS1_29radix_sort_onesweep_iterationIS3_Lb0ENS6_6detail15normal_iteratorINS6_10device_ptrIjEEEESG_NSD_INSE_IS9_EEEESI_jNS0_19identity_decomposerENS1_16block_id_wrapperIjLb1EEEEE10hipError_tT1_PNSt15iterator_traitsISN_E10value_typeET2_T3_PNSO_IST_E10value_typeET4_T5_PSY_SZ_PNS1_23onesweep_lookback_stateEbbT6_jjT7_P12ihipStream_tbENKUlT_T0_SN_SS_E_clIPjSG_PS9_SI_EEDaS16_S17_SN_SS_EUlS16_E_NS1_11comp_targetILNS1_3genE9ELNS1_11target_archE1100ELNS1_3gpuE3ELNS1_3repE0EEENS1_47radix_sort_onesweep_sort_config_static_selectorELNS0_4arch9wavefront6targetE0EEEvSN_
	.p2align	8
	.type	_ZN7rocprim17ROCPRIM_400000_NS6detail17trampoline_kernelINS0_14default_configENS1_35radix_sort_onesweep_config_selectorIjN6thrust23THRUST_200600_302600_NS5tupleIffNS6_9null_typeES8_S8_S8_S8_S8_S8_S8_EEEEZZNS1_29radix_sort_onesweep_iterationIS3_Lb0ENS6_6detail15normal_iteratorINS6_10device_ptrIjEEEESG_NSD_INSE_IS9_EEEESI_jNS0_19identity_decomposerENS1_16block_id_wrapperIjLb1EEEEE10hipError_tT1_PNSt15iterator_traitsISN_E10value_typeET2_T3_PNSO_IST_E10value_typeET4_T5_PSY_SZ_PNS1_23onesweep_lookback_stateEbbT6_jjT7_P12ihipStream_tbENKUlT_T0_SN_SS_E_clIPjSG_PS9_SI_EEDaS16_S17_SN_SS_EUlS16_E_NS1_11comp_targetILNS1_3genE9ELNS1_11target_archE1100ELNS1_3gpuE3ELNS1_3repE0EEENS1_47radix_sort_onesweep_sort_config_static_selectorELNS0_4arch9wavefront6targetE0EEEvSN_,@function
_ZN7rocprim17ROCPRIM_400000_NS6detail17trampoline_kernelINS0_14default_configENS1_35radix_sort_onesweep_config_selectorIjN6thrust23THRUST_200600_302600_NS5tupleIffNS6_9null_typeES8_S8_S8_S8_S8_S8_S8_EEEEZZNS1_29radix_sort_onesweep_iterationIS3_Lb0ENS6_6detail15normal_iteratorINS6_10device_ptrIjEEEESG_NSD_INSE_IS9_EEEESI_jNS0_19identity_decomposerENS1_16block_id_wrapperIjLb1EEEEE10hipError_tT1_PNSt15iterator_traitsISN_E10value_typeET2_T3_PNSO_IST_E10value_typeET4_T5_PSY_SZ_PNS1_23onesweep_lookback_stateEbbT6_jjT7_P12ihipStream_tbENKUlT_T0_SN_SS_E_clIPjSG_PS9_SI_EEDaS16_S17_SN_SS_EUlS16_E_NS1_11comp_targetILNS1_3genE9ELNS1_11target_archE1100ELNS1_3gpuE3ELNS1_3repE0EEENS1_47radix_sort_onesweep_sort_config_static_selectorELNS0_4arch9wavefront6targetE0EEEvSN_: ; @_ZN7rocprim17ROCPRIM_400000_NS6detail17trampoline_kernelINS0_14default_configENS1_35radix_sort_onesweep_config_selectorIjN6thrust23THRUST_200600_302600_NS5tupleIffNS6_9null_typeES8_S8_S8_S8_S8_S8_S8_EEEEZZNS1_29radix_sort_onesweep_iterationIS3_Lb0ENS6_6detail15normal_iteratorINS6_10device_ptrIjEEEESG_NSD_INSE_IS9_EEEESI_jNS0_19identity_decomposerENS1_16block_id_wrapperIjLb1EEEEE10hipError_tT1_PNSt15iterator_traitsISN_E10value_typeET2_T3_PNSO_IST_E10value_typeET4_T5_PSY_SZ_PNS1_23onesweep_lookback_stateEbbT6_jjT7_P12ihipStream_tbENKUlT_T0_SN_SS_E_clIPjSG_PS9_SI_EEDaS16_S17_SN_SS_EUlS16_E_NS1_11comp_targetILNS1_3genE9ELNS1_11target_archE1100ELNS1_3gpuE3ELNS1_3repE0EEENS1_47radix_sort_onesweep_sort_config_static_selectorELNS0_4arch9wavefront6targetE0EEEvSN_
; %bb.0:
	.section	.rodata,"a",@progbits
	.p2align	6, 0x0
	.amdhsa_kernel _ZN7rocprim17ROCPRIM_400000_NS6detail17trampoline_kernelINS0_14default_configENS1_35radix_sort_onesweep_config_selectorIjN6thrust23THRUST_200600_302600_NS5tupleIffNS6_9null_typeES8_S8_S8_S8_S8_S8_S8_EEEEZZNS1_29radix_sort_onesweep_iterationIS3_Lb0ENS6_6detail15normal_iteratorINS6_10device_ptrIjEEEESG_NSD_INSE_IS9_EEEESI_jNS0_19identity_decomposerENS1_16block_id_wrapperIjLb1EEEEE10hipError_tT1_PNSt15iterator_traitsISN_E10value_typeET2_T3_PNSO_IST_E10value_typeET4_T5_PSY_SZ_PNS1_23onesweep_lookback_stateEbbT6_jjT7_P12ihipStream_tbENKUlT_T0_SN_SS_E_clIPjSG_PS9_SI_EEDaS16_S17_SN_SS_EUlS16_E_NS1_11comp_targetILNS1_3genE9ELNS1_11target_archE1100ELNS1_3gpuE3ELNS1_3repE0EEENS1_47radix_sort_onesweep_sort_config_static_selectorELNS0_4arch9wavefront6targetE0EEEvSN_
		.amdhsa_group_segment_fixed_size 0
		.amdhsa_private_segment_fixed_size 0
		.amdhsa_kernarg_size 88
		.amdhsa_user_sgpr_count 2
		.amdhsa_user_sgpr_dispatch_ptr 0
		.amdhsa_user_sgpr_queue_ptr 0
		.amdhsa_user_sgpr_kernarg_segment_ptr 1
		.amdhsa_user_sgpr_dispatch_id 0
		.amdhsa_user_sgpr_private_segment_size 0
		.amdhsa_wavefront_size32 1
		.amdhsa_uses_dynamic_stack 0
		.amdhsa_enable_private_segment 0
		.amdhsa_system_sgpr_workgroup_id_x 1
		.amdhsa_system_sgpr_workgroup_id_y 0
		.amdhsa_system_sgpr_workgroup_id_z 0
		.amdhsa_system_sgpr_workgroup_info 0
		.amdhsa_system_vgpr_workitem_id 0
		.amdhsa_next_free_vgpr 1
		.amdhsa_next_free_sgpr 1
		.amdhsa_reserve_vcc 0
		.amdhsa_float_round_mode_32 0
		.amdhsa_float_round_mode_16_64 0
		.amdhsa_float_denorm_mode_32 3
		.amdhsa_float_denorm_mode_16_64 3
		.amdhsa_fp16_overflow 0
		.amdhsa_workgroup_processor_mode 1
		.amdhsa_memory_ordered 1
		.amdhsa_forward_progress 1
		.amdhsa_inst_pref_size 0
		.amdhsa_round_robin_scheduling 0
		.amdhsa_exception_fp_ieee_invalid_op 0
		.amdhsa_exception_fp_denorm_src 0
		.amdhsa_exception_fp_ieee_div_zero 0
		.amdhsa_exception_fp_ieee_overflow 0
		.amdhsa_exception_fp_ieee_underflow 0
		.amdhsa_exception_fp_ieee_inexact 0
		.amdhsa_exception_int_div_zero 0
	.end_amdhsa_kernel
	.section	.text._ZN7rocprim17ROCPRIM_400000_NS6detail17trampoline_kernelINS0_14default_configENS1_35radix_sort_onesweep_config_selectorIjN6thrust23THRUST_200600_302600_NS5tupleIffNS6_9null_typeES8_S8_S8_S8_S8_S8_S8_EEEEZZNS1_29radix_sort_onesweep_iterationIS3_Lb0ENS6_6detail15normal_iteratorINS6_10device_ptrIjEEEESG_NSD_INSE_IS9_EEEESI_jNS0_19identity_decomposerENS1_16block_id_wrapperIjLb1EEEEE10hipError_tT1_PNSt15iterator_traitsISN_E10value_typeET2_T3_PNSO_IST_E10value_typeET4_T5_PSY_SZ_PNS1_23onesweep_lookback_stateEbbT6_jjT7_P12ihipStream_tbENKUlT_T0_SN_SS_E_clIPjSG_PS9_SI_EEDaS16_S17_SN_SS_EUlS16_E_NS1_11comp_targetILNS1_3genE9ELNS1_11target_archE1100ELNS1_3gpuE3ELNS1_3repE0EEENS1_47radix_sort_onesweep_sort_config_static_selectorELNS0_4arch9wavefront6targetE0EEEvSN_,"axG",@progbits,_ZN7rocprim17ROCPRIM_400000_NS6detail17trampoline_kernelINS0_14default_configENS1_35radix_sort_onesweep_config_selectorIjN6thrust23THRUST_200600_302600_NS5tupleIffNS6_9null_typeES8_S8_S8_S8_S8_S8_S8_EEEEZZNS1_29radix_sort_onesweep_iterationIS3_Lb0ENS6_6detail15normal_iteratorINS6_10device_ptrIjEEEESG_NSD_INSE_IS9_EEEESI_jNS0_19identity_decomposerENS1_16block_id_wrapperIjLb1EEEEE10hipError_tT1_PNSt15iterator_traitsISN_E10value_typeET2_T3_PNSO_IST_E10value_typeET4_T5_PSY_SZ_PNS1_23onesweep_lookback_stateEbbT6_jjT7_P12ihipStream_tbENKUlT_T0_SN_SS_E_clIPjSG_PS9_SI_EEDaS16_S17_SN_SS_EUlS16_E_NS1_11comp_targetILNS1_3genE9ELNS1_11target_archE1100ELNS1_3gpuE3ELNS1_3repE0EEENS1_47radix_sort_onesweep_sort_config_static_selectorELNS0_4arch9wavefront6targetE0EEEvSN_,comdat
.Lfunc_end200:
	.size	_ZN7rocprim17ROCPRIM_400000_NS6detail17trampoline_kernelINS0_14default_configENS1_35radix_sort_onesweep_config_selectorIjN6thrust23THRUST_200600_302600_NS5tupleIffNS6_9null_typeES8_S8_S8_S8_S8_S8_S8_EEEEZZNS1_29radix_sort_onesweep_iterationIS3_Lb0ENS6_6detail15normal_iteratorINS6_10device_ptrIjEEEESG_NSD_INSE_IS9_EEEESI_jNS0_19identity_decomposerENS1_16block_id_wrapperIjLb1EEEEE10hipError_tT1_PNSt15iterator_traitsISN_E10value_typeET2_T3_PNSO_IST_E10value_typeET4_T5_PSY_SZ_PNS1_23onesweep_lookback_stateEbbT6_jjT7_P12ihipStream_tbENKUlT_T0_SN_SS_E_clIPjSG_PS9_SI_EEDaS16_S17_SN_SS_EUlS16_E_NS1_11comp_targetILNS1_3genE9ELNS1_11target_archE1100ELNS1_3gpuE3ELNS1_3repE0EEENS1_47radix_sort_onesweep_sort_config_static_selectorELNS0_4arch9wavefront6targetE0EEEvSN_, .Lfunc_end200-_ZN7rocprim17ROCPRIM_400000_NS6detail17trampoline_kernelINS0_14default_configENS1_35radix_sort_onesweep_config_selectorIjN6thrust23THRUST_200600_302600_NS5tupleIffNS6_9null_typeES8_S8_S8_S8_S8_S8_S8_EEEEZZNS1_29radix_sort_onesweep_iterationIS3_Lb0ENS6_6detail15normal_iteratorINS6_10device_ptrIjEEEESG_NSD_INSE_IS9_EEEESI_jNS0_19identity_decomposerENS1_16block_id_wrapperIjLb1EEEEE10hipError_tT1_PNSt15iterator_traitsISN_E10value_typeET2_T3_PNSO_IST_E10value_typeET4_T5_PSY_SZ_PNS1_23onesweep_lookback_stateEbbT6_jjT7_P12ihipStream_tbENKUlT_T0_SN_SS_E_clIPjSG_PS9_SI_EEDaS16_S17_SN_SS_EUlS16_E_NS1_11comp_targetILNS1_3genE9ELNS1_11target_archE1100ELNS1_3gpuE3ELNS1_3repE0EEENS1_47radix_sort_onesweep_sort_config_static_selectorELNS0_4arch9wavefront6targetE0EEEvSN_
                                        ; -- End function
	.set _ZN7rocprim17ROCPRIM_400000_NS6detail17trampoline_kernelINS0_14default_configENS1_35radix_sort_onesweep_config_selectorIjN6thrust23THRUST_200600_302600_NS5tupleIffNS6_9null_typeES8_S8_S8_S8_S8_S8_S8_EEEEZZNS1_29radix_sort_onesweep_iterationIS3_Lb0ENS6_6detail15normal_iteratorINS6_10device_ptrIjEEEESG_NSD_INSE_IS9_EEEESI_jNS0_19identity_decomposerENS1_16block_id_wrapperIjLb1EEEEE10hipError_tT1_PNSt15iterator_traitsISN_E10value_typeET2_T3_PNSO_IST_E10value_typeET4_T5_PSY_SZ_PNS1_23onesweep_lookback_stateEbbT6_jjT7_P12ihipStream_tbENKUlT_T0_SN_SS_E_clIPjSG_PS9_SI_EEDaS16_S17_SN_SS_EUlS16_E_NS1_11comp_targetILNS1_3genE9ELNS1_11target_archE1100ELNS1_3gpuE3ELNS1_3repE0EEENS1_47radix_sort_onesweep_sort_config_static_selectorELNS0_4arch9wavefront6targetE0EEEvSN_.num_vgpr, 0
	.set _ZN7rocprim17ROCPRIM_400000_NS6detail17trampoline_kernelINS0_14default_configENS1_35radix_sort_onesweep_config_selectorIjN6thrust23THRUST_200600_302600_NS5tupleIffNS6_9null_typeES8_S8_S8_S8_S8_S8_S8_EEEEZZNS1_29radix_sort_onesweep_iterationIS3_Lb0ENS6_6detail15normal_iteratorINS6_10device_ptrIjEEEESG_NSD_INSE_IS9_EEEESI_jNS0_19identity_decomposerENS1_16block_id_wrapperIjLb1EEEEE10hipError_tT1_PNSt15iterator_traitsISN_E10value_typeET2_T3_PNSO_IST_E10value_typeET4_T5_PSY_SZ_PNS1_23onesweep_lookback_stateEbbT6_jjT7_P12ihipStream_tbENKUlT_T0_SN_SS_E_clIPjSG_PS9_SI_EEDaS16_S17_SN_SS_EUlS16_E_NS1_11comp_targetILNS1_3genE9ELNS1_11target_archE1100ELNS1_3gpuE3ELNS1_3repE0EEENS1_47radix_sort_onesweep_sort_config_static_selectorELNS0_4arch9wavefront6targetE0EEEvSN_.num_agpr, 0
	.set _ZN7rocprim17ROCPRIM_400000_NS6detail17trampoline_kernelINS0_14default_configENS1_35radix_sort_onesweep_config_selectorIjN6thrust23THRUST_200600_302600_NS5tupleIffNS6_9null_typeES8_S8_S8_S8_S8_S8_S8_EEEEZZNS1_29radix_sort_onesweep_iterationIS3_Lb0ENS6_6detail15normal_iteratorINS6_10device_ptrIjEEEESG_NSD_INSE_IS9_EEEESI_jNS0_19identity_decomposerENS1_16block_id_wrapperIjLb1EEEEE10hipError_tT1_PNSt15iterator_traitsISN_E10value_typeET2_T3_PNSO_IST_E10value_typeET4_T5_PSY_SZ_PNS1_23onesweep_lookback_stateEbbT6_jjT7_P12ihipStream_tbENKUlT_T0_SN_SS_E_clIPjSG_PS9_SI_EEDaS16_S17_SN_SS_EUlS16_E_NS1_11comp_targetILNS1_3genE9ELNS1_11target_archE1100ELNS1_3gpuE3ELNS1_3repE0EEENS1_47radix_sort_onesweep_sort_config_static_selectorELNS0_4arch9wavefront6targetE0EEEvSN_.numbered_sgpr, 0
	.set _ZN7rocprim17ROCPRIM_400000_NS6detail17trampoline_kernelINS0_14default_configENS1_35radix_sort_onesweep_config_selectorIjN6thrust23THRUST_200600_302600_NS5tupleIffNS6_9null_typeES8_S8_S8_S8_S8_S8_S8_EEEEZZNS1_29radix_sort_onesweep_iterationIS3_Lb0ENS6_6detail15normal_iteratorINS6_10device_ptrIjEEEESG_NSD_INSE_IS9_EEEESI_jNS0_19identity_decomposerENS1_16block_id_wrapperIjLb1EEEEE10hipError_tT1_PNSt15iterator_traitsISN_E10value_typeET2_T3_PNSO_IST_E10value_typeET4_T5_PSY_SZ_PNS1_23onesweep_lookback_stateEbbT6_jjT7_P12ihipStream_tbENKUlT_T0_SN_SS_E_clIPjSG_PS9_SI_EEDaS16_S17_SN_SS_EUlS16_E_NS1_11comp_targetILNS1_3genE9ELNS1_11target_archE1100ELNS1_3gpuE3ELNS1_3repE0EEENS1_47radix_sort_onesweep_sort_config_static_selectorELNS0_4arch9wavefront6targetE0EEEvSN_.num_named_barrier, 0
	.set _ZN7rocprim17ROCPRIM_400000_NS6detail17trampoline_kernelINS0_14default_configENS1_35radix_sort_onesweep_config_selectorIjN6thrust23THRUST_200600_302600_NS5tupleIffNS6_9null_typeES8_S8_S8_S8_S8_S8_S8_EEEEZZNS1_29radix_sort_onesweep_iterationIS3_Lb0ENS6_6detail15normal_iteratorINS6_10device_ptrIjEEEESG_NSD_INSE_IS9_EEEESI_jNS0_19identity_decomposerENS1_16block_id_wrapperIjLb1EEEEE10hipError_tT1_PNSt15iterator_traitsISN_E10value_typeET2_T3_PNSO_IST_E10value_typeET4_T5_PSY_SZ_PNS1_23onesweep_lookback_stateEbbT6_jjT7_P12ihipStream_tbENKUlT_T0_SN_SS_E_clIPjSG_PS9_SI_EEDaS16_S17_SN_SS_EUlS16_E_NS1_11comp_targetILNS1_3genE9ELNS1_11target_archE1100ELNS1_3gpuE3ELNS1_3repE0EEENS1_47radix_sort_onesweep_sort_config_static_selectorELNS0_4arch9wavefront6targetE0EEEvSN_.private_seg_size, 0
	.set _ZN7rocprim17ROCPRIM_400000_NS6detail17trampoline_kernelINS0_14default_configENS1_35radix_sort_onesweep_config_selectorIjN6thrust23THRUST_200600_302600_NS5tupleIffNS6_9null_typeES8_S8_S8_S8_S8_S8_S8_EEEEZZNS1_29radix_sort_onesweep_iterationIS3_Lb0ENS6_6detail15normal_iteratorINS6_10device_ptrIjEEEESG_NSD_INSE_IS9_EEEESI_jNS0_19identity_decomposerENS1_16block_id_wrapperIjLb1EEEEE10hipError_tT1_PNSt15iterator_traitsISN_E10value_typeET2_T3_PNSO_IST_E10value_typeET4_T5_PSY_SZ_PNS1_23onesweep_lookback_stateEbbT6_jjT7_P12ihipStream_tbENKUlT_T0_SN_SS_E_clIPjSG_PS9_SI_EEDaS16_S17_SN_SS_EUlS16_E_NS1_11comp_targetILNS1_3genE9ELNS1_11target_archE1100ELNS1_3gpuE3ELNS1_3repE0EEENS1_47radix_sort_onesweep_sort_config_static_selectorELNS0_4arch9wavefront6targetE0EEEvSN_.uses_vcc, 0
	.set _ZN7rocprim17ROCPRIM_400000_NS6detail17trampoline_kernelINS0_14default_configENS1_35radix_sort_onesweep_config_selectorIjN6thrust23THRUST_200600_302600_NS5tupleIffNS6_9null_typeES8_S8_S8_S8_S8_S8_S8_EEEEZZNS1_29radix_sort_onesweep_iterationIS3_Lb0ENS6_6detail15normal_iteratorINS6_10device_ptrIjEEEESG_NSD_INSE_IS9_EEEESI_jNS0_19identity_decomposerENS1_16block_id_wrapperIjLb1EEEEE10hipError_tT1_PNSt15iterator_traitsISN_E10value_typeET2_T3_PNSO_IST_E10value_typeET4_T5_PSY_SZ_PNS1_23onesweep_lookback_stateEbbT6_jjT7_P12ihipStream_tbENKUlT_T0_SN_SS_E_clIPjSG_PS9_SI_EEDaS16_S17_SN_SS_EUlS16_E_NS1_11comp_targetILNS1_3genE9ELNS1_11target_archE1100ELNS1_3gpuE3ELNS1_3repE0EEENS1_47radix_sort_onesweep_sort_config_static_selectorELNS0_4arch9wavefront6targetE0EEEvSN_.uses_flat_scratch, 0
	.set _ZN7rocprim17ROCPRIM_400000_NS6detail17trampoline_kernelINS0_14default_configENS1_35radix_sort_onesweep_config_selectorIjN6thrust23THRUST_200600_302600_NS5tupleIffNS6_9null_typeES8_S8_S8_S8_S8_S8_S8_EEEEZZNS1_29radix_sort_onesweep_iterationIS3_Lb0ENS6_6detail15normal_iteratorINS6_10device_ptrIjEEEESG_NSD_INSE_IS9_EEEESI_jNS0_19identity_decomposerENS1_16block_id_wrapperIjLb1EEEEE10hipError_tT1_PNSt15iterator_traitsISN_E10value_typeET2_T3_PNSO_IST_E10value_typeET4_T5_PSY_SZ_PNS1_23onesweep_lookback_stateEbbT6_jjT7_P12ihipStream_tbENKUlT_T0_SN_SS_E_clIPjSG_PS9_SI_EEDaS16_S17_SN_SS_EUlS16_E_NS1_11comp_targetILNS1_3genE9ELNS1_11target_archE1100ELNS1_3gpuE3ELNS1_3repE0EEENS1_47radix_sort_onesweep_sort_config_static_selectorELNS0_4arch9wavefront6targetE0EEEvSN_.has_dyn_sized_stack, 0
	.set _ZN7rocprim17ROCPRIM_400000_NS6detail17trampoline_kernelINS0_14default_configENS1_35radix_sort_onesweep_config_selectorIjN6thrust23THRUST_200600_302600_NS5tupleIffNS6_9null_typeES8_S8_S8_S8_S8_S8_S8_EEEEZZNS1_29radix_sort_onesweep_iterationIS3_Lb0ENS6_6detail15normal_iteratorINS6_10device_ptrIjEEEESG_NSD_INSE_IS9_EEEESI_jNS0_19identity_decomposerENS1_16block_id_wrapperIjLb1EEEEE10hipError_tT1_PNSt15iterator_traitsISN_E10value_typeET2_T3_PNSO_IST_E10value_typeET4_T5_PSY_SZ_PNS1_23onesweep_lookback_stateEbbT6_jjT7_P12ihipStream_tbENKUlT_T0_SN_SS_E_clIPjSG_PS9_SI_EEDaS16_S17_SN_SS_EUlS16_E_NS1_11comp_targetILNS1_3genE9ELNS1_11target_archE1100ELNS1_3gpuE3ELNS1_3repE0EEENS1_47radix_sort_onesweep_sort_config_static_selectorELNS0_4arch9wavefront6targetE0EEEvSN_.has_recursion, 0
	.set _ZN7rocprim17ROCPRIM_400000_NS6detail17trampoline_kernelINS0_14default_configENS1_35radix_sort_onesweep_config_selectorIjN6thrust23THRUST_200600_302600_NS5tupleIffNS6_9null_typeES8_S8_S8_S8_S8_S8_S8_EEEEZZNS1_29radix_sort_onesweep_iterationIS3_Lb0ENS6_6detail15normal_iteratorINS6_10device_ptrIjEEEESG_NSD_INSE_IS9_EEEESI_jNS0_19identity_decomposerENS1_16block_id_wrapperIjLb1EEEEE10hipError_tT1_PNSt15iterator_traitsISN_E10value_typeET2_T3_PNSO_IST_E10value_typeET4_T5_PSY_SZ_PNS1_23onesweep_lookback_stateEbbT6_jjT7_P12ihipStream_tbENKUlT_T0_SN_SS_E_clIPjSG_PS9_SI_EEDaS16_S17_SN_SS_EUlS16_E_NS1_11comp_targetILNS1_3genE9ELNS1_11target_archE1100ELNS1_3gpuE3ELNS1_3repE0EEENS1_47radix_sort_onesweep_sort_config_static_selectorELNS0_4arch9wavefront6targetE0EEEvSN_.has_indirect_call, 0
	.section	.AMDGPU.csdata,"",@progbits
; Kernel info:
; codeLenInByte = 0
; TotalNumSgprs: 0
; NumVgprs: 0
; ScratchSize: 0
; MemoryBound: 0
; FloatMode: 240
; IeeeMode: 1
; LDSByteSize: 0 bytes/workgroup (compile time only)
; SGPRBlocks: 0
; VGPRBlocks: 0
; NumSGPRsForWavesPerEU: 1
; NumVGPRsForWavesPerEU: 1
; Occupancy: 16
; WaveLimiterHint : 0
; COMPUTE_PGM_RSRC2:SCRATCH_EN: 0
; COMPUTE_PGM_RSRC2:USER_SGPR: 2
; COMPUTE_PGM_RSRC2:TRAP_HANDLER: 0
; COMPUTE_PGM_RSRC2:TGID_X_EN: 1
; COMPUTE_PGM_RSRC2:TGID_Y_EN: 0
; COMPUTE_PGM_RSRC2:TGID_Z_EN: 0
; COMPUTE_PGM_RSRC2:TIDIG_COMP_CNT: 0
	.section	.text._ZN7rocprim17ROCPRIM_400000_NS6detail17trampoline_kernelINS0_14default_configENS1_35radix_sort_onesweep_config_selectorIjN6thrust23THRUST_200600_302600_NS5tupleIffNS6_9null_typeES8_S8_S8_S8_S8_S8_S8_EEEEZZNS1_29radix_sort_onesweep_iterationIS3_Lb0ENS6_6detail15normal_iteratorINS6_10device_ptrIjEEEESG_NSD_INSE_IS9_EEEESI_jNS0_19identity_decomposerENS1_16block_id_wrapperIjLb1EEEEE10hipError_tT1_PNSt15iterator_traitsISN_E10value_typeET2_T3_PNSO_IST_E10value_typeET4_T5_PSY_SZ_PNS1_23onesweep_lookback_stateEbbT6_jjT7_P12ihipStream_tbENKUlT_T0_SN_SS_E_clIPjSG_PS9_SI_EEDaS16_S17_SN_SS_EUlS16_E_NS1_11comp_targetILNS1_3genE8ELNS1_11target_archE1030ELNS1_3gpuE2ELNS1_3repE0EEENS1_47radix_sort_onesweep_sort_config_static_selectorELNS0_4arch9wavefront6targetE0EEEvSN_,"axG",@progbits,_ZN7rocprim17ROCPRIM_400000_NS6detail17trampoline_kernelINS0_14default_configENS1_35radix_sort_onesweep_config_selectorIjN6thrust23THRUST_200600_302600_NS5tupleIffNS6_9null_typeES8_S8_S8_S8_S8_S8_S8_EEEEZZNS1_29radix_sort_onesweep_iterationIS3_Lb0ENS6_6detail15normal_iteratorINS6_10device_ptrIjEEEESG_NSD_INSE_IS9_EEEESI_jNS0_19identity_decomposerENS1_16block_id_wrapperIjLb1EEEEE10hipError_tT1_PNSt15iterator_traitsISN_E10value_typeET2_T3_PNSO_IST_E10value_typeET4_T5_PSY_SZ_PNS1_23onesweep_lookback_stateEbbT6_jjT7_P12ihipStream_tbENKUlT_T0_SN_SS_E_clIPjSG_PS9_SI_EEDaS16_S17_SN_SS_EUlS16_E_NS1_11comp_targetILNS1_3genE8ELNS1_11target_archE1030ELNS1_3gpuE2ELNS1_3repE0EEENS1_47radix_sort_onesweep_sort_config_static_selectorELNS0_4arch9wavefront6targetE0EEEvSN_,comdat
	.protected	_ZN7rocprim17ROCPRIM_400000_NS6detail17trampoline_kernelINS0_14default_configENS1_35radix_sort_onesweep_config_selectorIjN6thrust23THRUST_200600_302600_NS5tupleIffNS6_9null_typeES8_S8_S8_S8_S8_S8_S8_EEEEZZNS1_29radix_sort_onesweep_iterationIS3_Lb0ENS6_6detail15normal_iteratorINS6_10device_ptrIjEEEESG_NSD_INSE_IS9_EEEESI_jNS0_19identity_decomposerENS1_16block_id_wrapperIjLb1EEEEE10hipError_tT1_PNSt15iterator_traitsISN_E10value_typeET2_T3_PNSO_IST_E10value_typeET4_T5_PSY_SZ_PNS1_23onesweep_lookback_stateEbbT6_jjT7_P12ihipStream_tbENKUlT_T0_SN_SS_E_clIPjSG_PS9_SI_EEDaS16_S17_SN_SS_EUlS16_E_NS1_11comp_targetILNS1_3genE8ELNS1_11target_archE1030ELNS1_3gpuE2ELNS1_3repE0EEENS1_47radix_sort_onesweep_sort_config_static_selectorELNS0_4arch9wavefront6targetE0EEEvSN_ ; -- Begin function _ZN7rocprim17ROCPRIM_400000_NS6detail17trampoline_kernelINS0_14default_configENS1_35radix_sort_onesweep_config_selectorIjN6thrust23THRUST_200600_302600_NS5tupleIffNS6_9null_typeES8_S8_S8_S8_S8_S8_S8_EEEEZZNS1_29radix_sort_onesweep_iterationIS3_Lb0ENS6_6detail15normal_iteratorINS6_10device_ptrIjEEEESG_NSD_INSE_IS9_EEEESI_jNS0_19identity_decomposerENS1_16block_id_wrapperIjLb1EEEEE10hipError_tT1_PNSt15iterator_traitsISN_E10value_typeET2_T3_PNSO_IST_E10value_typeET4_T5_PSY_SZ_PNS1_23onesweep_lookback_stateEbbT6_jjT7_P12ihipStream_tbENKUlT_T0_SN_SS_E_clIPjSG_PS9_SI_EEDaS16_S17_SN_SS_EUlS16_E_NS1_11comp_targetILNS1_3genE8ELNS1_11target_archE1030ELNS1_3gpuE2ELNS1_3repE0EEENS1_47radix_sort_onesweep_sort_config_static_selectorELNS0_4arch9wavefront6targetE0EEEvSN_
	.globl	_ZN7rocprim17ROCPRIM_400000_NS6detail17trampoline_kernelINS0_14default_configENS1_35radix_sort_onesweep_config_selectorIjN6thrust23THRUST_200600_302600_NS5tupleIffNS6_9null_typeES8_S8_S8_S8_S8_S8_S8_EEEEZZNS1_29radix_sort_onesweep_iterationIS3_Lb0ENS6_6detail15normal_iteratorINS6_10device_ptrIjEEEESG_NSD_INSE_IS9_EEEESI_jNS0_19identity_decomposerENS1_16block_id_wrapperIjLb1EEEEE10hipError_tT1_PNSt15iterator_traitsISN_E10value_typeET2_T3_PNSO_IST_E10value_typeET4_T5_PSY_SZ_PNS1_23onesweep_lookback_stateEbbT6_jjT7_P12ihipStream_tbENKUlT_T0_SN_SS_E_clIPjSG_PS9_SI_EEDaS16_S17_SN_SS_EUlS16_E_NS1_11comp_targetILNS1_3genE8ELNS1_11target_archE1030ELNS1_3gpuE2ELNS1_3repE0EEENS1_47radix_sort_onesweep_sort_config_static_selectorELNS0_4arch9wavefront6targetE0EEEvSN_
	.p2align	8
	.type	_ZN7rocprim17ROCPRIM_400000_NS6detail17trampoline_kernelINS0_14default_configENS1_35radix_sort_onesweep_config_selectorIjN6thrust23THRUST_200600_302600_NS5tupleIffNS6_9null_typeES8_S8_S8_S8_S8_S8_S8_EEEEZZNS1_29radix_sort_onesweep_iterationIS3_Lb0ENS6_6detail15normal_iteratorINS6_10device_ptrIjEEEESG_NSD_INSE_IS9_EEEESI_jNS0_19identity_decomposerENS1_16block_id_wrapperIjLb1EEEEE10hipError_tT1_PNSt15iterator_traitsISN_E10value_typeET2_T3_PNSO_IST_E10value_typeET4_T5_PSY_SZ_PNS1_23onesweep_lookback_stateEbbT6_jjT7_P12ihipStream_tbENKUlT_T0_SN_SS_E_clIPjSG_PS9_SI_EEDaS16_S17_SN_SS_EUlS16_E_NS1_11comp_targetILNS1_3genE8ELNS1_11target_archE1030ELNS1_3gpuE2ELNS1_3repE0EEENS1_47radix_sort_onesweep_sort_config_static_selectorELNS0_4arch9wavefront6targetE0EEEvSN_,@function
_ZN7rocprim17ROCPRIM_400000_NS6detail17trampoline_kernelINS0_14default_configENS1_35radix_sort_onesweep_config_selectorIjN6thrust23THRUST_200600_302600_NS5tupleIffNS6_9null_typeES8_S8_S8_S8_S8_S8_S8_EEEEZZNS1_29radix_sort_onesweep_iterationIS3_Lb0ENS6_6detail15normal_iteratorINS6_10device_ptrIjEEEESG_NSD_INSE_IS9_EEEESI_jNS0_19identity_decomposerENS1_16block_id_wrapperIjLb1EEEEE10hipError_tT1_PNSt15iterator_traitsISN_E10value_typeET2_T3_PNSO_IST_E10value_typeET4_T5_PSY_SZ_PNS1_23onesweep_lookback_stateEbbT6_jjT7_P12ihipStream_tbENKUlT_T0_SN_SS_E_clIPjSG_PS9_SI_EEDaS16_S17_SN_SS_EUlS16_E_NS1_11comp_targetILNS1_3genE8ELNS1_11target_archE1030ELNS1_3gpuE2ELNS1_3repE0EEENS1_47radix_sort_onesweep_sort_config_static_selectorELNS0_4arch9wavefront6targetE0EEEvSN_: ; @_ZN7rocprim17ROCPRIM_400000_NS6detail17trampoline_kernelINS0_14default_configENS1_35radix_sort_onesweep_config_selectorIjN6thrust23THRUST_200600_302600_NS5tupleIffNS6_9null_typeES8_S8_S8_S8_S8_S8_S8_EEEEZZNS1_29radix_sort_onesweep_iterationIS3_Lb0ENS6_6detail15normal_iteratorINS6_10device_ptrIjEEEESG_NSD_INSE_IS9_EEEESI_jNS0_19identity_decomposerENS1_16block_id_wrapperIjLb1EEEEE10hipError_tT1_PNSt15iterator_traitsISN_E10value_typeET2_T3_PNSO_IST_E10value_typeET4_T5_PSY_SZ_PNS1_23onesweep_lookback_stateEbbT6_jjT7_P12ihipStream_tbENKUlT_T0_SN_SS_E_clIPjSG_PS9_SI_EEDaS16_S17_SN_SS_EUlS16_E_NS1_11comp_targetILNS1_3genE8ELNS1_11target_archE1030ELNS1_3gpuE2ELNS1_3repE0EEENS1_47radix_sort_onesweep_sort_config_static_selectorELNS0_4arch9wavefront6targetE0EEEvSN_
; %bb.0:
	.section	.rodata,"a",@progbits
	.p2align	6, 0x0
	.amdhsa_kernel _ZN7rocprim17ROCPRIM_400000_NS6detail17trampoline_kernelINS0_14default_configENS1_35radix_sort_onesweep_config_selectorIjN6thrust23THRUST_200600_302600_NS5tupleIffNS6_9null_typeES8_S8_S8_S8_S8_S8_S8_EEEEZZNS1_29radix_sort_onesweep_iterationIS3_Lb0ENS6_6detail15normal_iteratorINS6_10device_ptrIjEEEESG_NSD_INSE_IS9_EEEESI_jNS0_19identity_decomposerENS1_16block_id_wrapperIjLb1EEEEE10hipError_tT1_PNSt15iterator_traitsISN_E10value_typeET2_T3_PNSO_IST_E10value_typeET4_T5_PSY_SZ_PNS1_23onesweep_lookback_stateEbbT6_jjT7_P12ihipStream_tbENKUlT_T0_SN_SS_E_clIPjSG_PS9_SI_EEDaS16_S17_SN_SS_EUlS16_E_NS1_11comp_targetILNS1_3genE8ELNS1_11target_archE1030ELNS1_3gpuE2ELNS1_3repE0EEENS1_47radix_sort_onesweep_sort_config_static_selectorELNS0_4arch9wavefront6targetE0EEEvSN_
		.amdhsa_group_segment_fixed_size 0
		.amdhsa_private_segment_fixed_size 0
		.amdhsa_kernarg_size 88
		.amdhsa_user_sgpr_count 2
		.amdhsa_user_sgpr_dispatch_ptr 0
		.amdhsa_user_sgpr_queue_ptr 0
		.amdhsa_user_sgpr_kernarg_segment_ptr 1
		.amdhsa_user_sgpr_dispatch_id 0
		.amdhsa_user_sgpr_private_segment_size 0
		.amdhsa_wavefront_size32 1
		.amdhsa_uses_dynamic_stack 0
		.amdhsa_enable_private_segment 0
		.amdhsa_system_sgpr_workgroup_id_x 1
		.amdhsa_system_sgpr_workgroup_id_y 0
		.amdhsa_system_sgpr_workgroup_id_z 0
		.amdhsa_system_sgpr_workgroup_info 0
		.amdhsa_system_vgpr_workitem_id 0
		.amdhsa_next_free_vgpr 1
		.amdhsa_next_free_sgpr 1
		.amdhsa_reserve_vcc 0
		.amdhsa_float_round_mode_32 0
		.amdhsa_float_round_mode_16_64 0
		.amdhsa_float_denorm_mode_32 3
		.amdhsa_float_denorm_mode_16_64 3
		.amdhsa_fp16_overflow 0
		.amdhsa_workgroup_processor_mode 1
		.amdhsa_memory_ordered 1
		.amdhsa_forward_progress 1
		.amdhsa_inst_pref_size 0
		.amdhsa_round_robin_scheduling 0
		.amdhsa_exception_fp_ieee_invalid_op 0
		.amdhsa_exception_fp_denorm_src 0
		.amdhsa_exception_fp_ieee_div_zero 0
		.amdhsa_exception_fp_ieee_overflow 0
		.amdhsa_exception_fp_ieee_underflow 0
		.amdhsa_exception_fp_ieee_inexact 0
		.amdhsa_exception_int_div_zero 0
	.end_amdhsa_kernel
	.section	.text._ZN7rocprim17ROCPRIM_400000_NS6detail17trampoline_kernelINS0_14default_configENS1_35radix_sort_onesweep_config_selectorIjN6thrust23THRUST_200600_302600_NS5tupleIffNS6_9null_typeES8_S8_S8_S8_S8_S8_S8_EEEEZZNS1_29radix_sort_onesweep_iterationIS3_Lb0ENS6_6detail15normal_iteratorINS6_10device_ptrIjEEEESG_NSD_INSE_IS9_EEEESI_jNS0_19identity_decomposerENS1_16block_id_wrapperIjLb1EEEEE10hipError_tT1_PNSt15iterator_traitsISN_E10value_typeET2_T3_PNSO_IST_E10value_typeET4_T5_PSY_SZ_PNS1_23onesweep_lookback_stateEbbT6_jjT7_P12ihipStream_tbENKUlT_T0_SN_SS_E_clIPjSG_PS9_SI_EEDaS16_S17_SN_SS_EUlS16_E_NS1_11comp_targetILNS1_3genE8ELNS1_11target_archE1030ELNS1_3gpuE2ELNS1_3repE0EEENS1_47radix_sort_onesweep_sort_config_static_selectorELNS0_4arch9wavefront6targetE0EEEvSN_,"axG",@progbits,_ZN7rocprim17ROCPRIM_400000_NS6detail17trampoline_kernelINS0_14default_configENS1_35radix_sort_onesweep_config_selectorIjN6thrust23THRUST_200600_302600_NS5tupleIffNS6_9null_typeES8_S8_S8_S8_S8_S8_S8_EEEEZZNS1_29radix_sort_onesweep_iterationIS3_Lb0ENS6_6detail15normal_iteratorINS6_10device_ptrIjEEEESG_NSD_INSE_IS9_EEEESI_jNS0_19identity_decomposerENS1_16block_id_wrapperIjLb1EEEEE10hipError_tT1_PNSt15iterator_traitsISN_E10value_typeET2_T3_PNSO_IST_E10value_typeET4_T5_PSY_SZ_PNS1_23onesweep_lookback_stateEbbT6_jjT7_P12ihipStream_tbENKUlT_T0_SN_SS_E_clIPjSG_PS9_SI_EEDaS16_S17_SN_SS_EUlS16_E_NS1_11comp_targetILNS1_3genE8ELNS1_11target_archE1030ELNS1_3gpuE2ELNS1_3repE0EEENS1_47radix_sort_onesweep_sort_config_static_selectorELNS0_4arch9wavefront6targetE0EEEvSN_,comdat
.Lfunc_end201:
	.size	_ZN7rocprim17ROCPRIM_400000_NS6detail17trampoline_kernelINS0_14default_configENS1_35radix_sort_onesweep_config_selectorIjN6thrust23THRUST_200600_302600_NS5tupleIffNS6_9null_typeES8_S8_S8_S8_S8_S8_S8_EEEEZZNS1_29radix_sort_onesweep_iterationIS3_Lb0ENS6_6detail15normal_iteratorINS6_10device_ptrIjEEEESG_NSD_INSE_IS9_EEEESI_jNS0_19identity_decomposerENS1_16block_id_wrapperIjLb1EEEEE10hipError_tT1_PNSt15iterator_traitsISN_E10value_typeET2_T3_PNSO_IST_E10value_typeET4_T5_PSY_SZ_PNS1_23onesweep_lookback_stateEbbT6_jjT7_P12ihipStream_tbENKUlT_T0_SN_SS_E_clIPjSG_PS9_SI_EEDaS16_S17_SN_SS_EUlS16_E_NS1_11comp_targetILNS1_3genE8ELNS1_11target_archE1030ELNS1_3gpuE2ELNS1_3repE0EEENS1_47radix_sort_onesweep_sort_config_static_selectorELNS0_4arch9wavefront6targetE0EEEvSN_, .Lfunc_end201-_ZN7rocprim17ROCPRIM_400000_NS6detail17trampoline_kernelINS0_14default_configENS1_35radix_sort_onesweep_config_selectorIjN6thrust23THRUST_200600_302600_NS5tupleIffNS6_9null_typeES8_S8_S8_S8_S8_S8_S8_EEEEZZNS1_29radix_sort_onesweep_iterationIS3_Lb0ENS6_6detail15normal_iteratorINS6_10device_ptrIjEEEESG_NSD_INSE_IS9_EEEESI_jNS0_19identity_decomposerENS1_16block_id_wrapperIjLb1EEEEE10hipError_tT1_PNSt15iterator_traitsISN_E10value_typeET2_T3_PNSO_IST_E10value_typeET4_T5_PSY_SZ_PNS1_23onesweep_lookback_stateEbbT6_jjT7_P12ihipStream_tbENKUlT_T0_SN_SS_E_clIPjSG_PS9_SI_EEDaS16_S17_SN_SS_EUlS16_E_NS1_11comp_targetILNS1_3genE8ELNS1_11target_archE1030ELNS1_3gpuE2ELNS1_3repE0EEENS1_47radix_sort_onesweep_sort_config_static_selectorELNS0_4arch9wavefront6targetE0EEEvSN_
                                        ; -- End function
	.set _ZN7rocprim17ROCPRIM_400000_NS6detail17trampoline_kernelINS0_14default_configENS1_35radix_sort_onesweep_config_selectorIjN6thrust23THRUST_200600_302600_NS5tupleIffNS6_9null_typeES8_S8_S8_S8_S8_S8_S8_EEEEZZNS1_29radix_sort_onesweep_iterationIS3_Lb0ENS6_6detail15normal_iteratorINS6_10device_ptrIjEEEESG_NSD_INSE_IS9_EEEESI_jNS0_19identity_decomposerENS1_16block_id_wrapperIjLb1EEEEE10hipError_tT1_PNSt15iterator_traitsISN_E10value_typeET2_T3_PNSO_IST_E10value_typeET4_T5_PSY_SZ_PNS1_23onesweep_lookback_stateEbbT6_jjT7_P12ihipStream_tbENKUlT_T0_SN_SS_E_clIPjSG_PS9_SI_EEDaS16_S17_SN_SS_EUlS16_E_NS1_11comp_targetILNS1_3genE8ELNS1_11target_archE1030ELNS1_3gpuE2ELNS1_3repE0EEENS1_47radix_sort_onesweep_sort_config_static_selectorELNS0_4arch9wavefront6targetE0EEEvSN_.num_vgpr, 0
	.set _ZN7rocprim17ROCPRIM_400000_NS6detail17trampoline_kernelINS0_14default_configENS1_35radix_sort_onesweep_config_selectorIjN6thrust23THRUST_200600_302600_NS5tupleIffNS6_9null_typeES8_S8_S8_S8_S8_S8_S8_EEEEZZNS1_29radix_sort_onesweep_iterationIS3_Lb0ENS6_6detail15normal_iteratorINS6_10device_ptrIjEEEESG_NSD_INSE_IS9_EEEESI_jNS0_19identity_decomposerENS1_16block_id_wrapperIjLb1EEEEE10hipError_tT1_PNSt15iterator_traitsISN_E10value_typeET2_T3_PNSO_IST_E10value_typeET4_T5_PSY_SZ_PNS1_23onesweep_lookback_stateEbbT6_jjT7_P12ihipStream_tbENKUlT_T0_SN_SS_E_clIPjSG_PS9_SI_EEDaS16_S17_SN_SS_EUlS16_E_NS1_11comp_targetILNS1_3genE8ELNS1_11target_archE1030ELNS1_3gpuE2ELNS1_3repE0EEENS1_47radix_sort_onesweep_sort_config_static_selectorELNS0_4arch9wavefront6targetE0EEEvSN_.num_agpr, 0
	.set _ZN7rocprim17ROCPRIM_400000_NS6detail17trampoline_kernelINS0_14default_configENS1_35radix_sort_onesweep_config_selectorIjN6thrust23THRUST_200600_302600_NS5tupleIffNS6_9null_typeES8_S8_S8_S8_S8_S8_S8_EEEEZZNS1_29radix_sort_onesweep_iterationIS3_Lb0ENS6_6detail15normal_iteratorINS6_10device_ptrIjEEEESG_NSD_INSE_IS9_EEEESI_jNS0_19identity_decomposerENS1_16block_id_wrapperIjLb1EEEEE10hipError_tT1_PNSt15iterator_traitsISN_E10value_typeET2_T3_PNSO_IST_E10value_typeET4_T5_PSY_SZ_PNS1_23onesweep_lookback_stateEbbT6_jjT7_P12ihipStream_tbENKUlT_T0_SN_SS_E_clIPjSG_PS9_SI_EEDaS16_S17_SN_SS_EUlS16_E_NS1_11comp_targetILNS1_3genE8ELNS1_11target_archE1030ELNS1_3gpuE2ELNS1_3repE0EEENS1_47radix_sort_onesweep_sort_config_static_selectorELNS0_4arch9wavefront6targetE0EEEvSN_.numbered_sgpr, 0
	.set _ZN7rocprim17ROCPRIM_400000_NS6detail17trampoline_kernelINS0_14default_configENS1_35radix_sort_onesweep_config_selectorIjN6thrust23THRUST_200600_302600_NS5tupleIffNS6_9null_typeES8_S8_S8_S8_S8_S8_S8_EEEEZZNS1_29radix_sort_onesweep_iterationIS3_Lb0ENS6_6detail15normal_iteratorINS6_10device_ptrIjEEEESG_NSD_INSE_IS9_EEEESI_jNS0_19identity_decomposerENS1_16block_id_wrapperIjLb1EEEEE10hipError_tT1_PNSt15iterator_traitsISN_E10value_typeET2_T3_PNSO_IST_E10value_typeET4_T5_PSY_SZ_PNS1_23onesweep_lookback_stateEbbT6_jjT7_P12ihipStream_tbENKUlT_T0_SN_SS_E_clIPjSG_PS9_SI_EEDaS16_S17_SN_SS_EUlS16_E_NS1_11comp_targetILNS1_3genE8ELNS1_11target_archE1030ELNS1_3gpuE2ELNS1_3repE0EEENS1_47radix_sort_onesweep_sort_config_static_selectorELNS0_4arch9wavefront6targetE0EEEvSN_.num_named_barrier, 0
	.set _ZN7rocprim17ROCPRIM_400000_NS6detail17trampoline_kernelINS0_14default_configENS1_35radix_sort_onesweep_config_selectorIjN6thrust23THRUST_200600_302600_NS5tupleIffNS6_9null_typeES8_S8_S8_S8_S8_S8_S8_EEEEZZNS1_29radix_sort_onesweep_iterationIS3_Lb0ENS6_6detail15normal_iteratorINS6_10device_ptrIjEEEESG_NSD_INSE_IS9_EEEESI_jNS0_19identity_decomposerENS1_16block_id_wrapperIjLb1EEEEE10hipError_tT1_PNSt15iterator_traitsISN_E10value_typeET2_T3_PNSO_IST_E10value_typeET4_T5_PSY_SZ_PNS1_23onesweep_lookback_stateEbbT6_jjT7_P12ihipStream_tbENKUlT_T0_SN_SS_E_clIPjSG_PS9_SI_EEDaS16_S17_SN_SS_EUlS16_E_NS1_11comp_targetILNS1_3genE8ELNS1_11target_archE1030ELNS1_3gpuE2ELNS1_3repE0EEENS1_47radix_sort_onesweep_sort_config_static_selectorELNS0_4arch9wavefront6targetE0EEEvSN_.private_seg_size, 0
	.set _ZN7rocprim17ROCPRIM_400000_NS6detail17trampoline_kernelINS0_14default_configENS1_35radix_sort_onesweep_config_selectorIjN6thrust23THRUST_200600_302600_NS5tupleIffNS6_9null_typeES8_S8_S8_S8_S8_S8_S8_EEEEZZNS1_29radix_sort_onesweep_iterationIS3_Lb0ENS6_6detail15normal_iteratorINS6_10device_ptrIjEEEESG_NSD_INSE_IS9_EEEESI_jNS0_19identity_decomposerENS1_16block_id_wrapperIjLb1EEEEE10hipError_tT1_PNSt15iterator_traitsISN_E10value_typeET2_T3_PNSO_IST_E10value_typeET4_T5_PSY_SZ_PNS1_23onesweep_lookback_stateEbbT6_jjT7_P12ihipStream_tbENKUlT_T0_SN_SS_E_clIPjSG_PS9_SI_EEDaS16_S17_SN_SS_EUlS16_E_NS1_11comp_targetILNS1_3genE8ELNS1_11target_archE1030ELNS1_3gpuE2ELNS1_3repE0EEENS1_47radix_sort_onesweep_sort_config_static_selectorELNS0_4arch9wavefront6targetE0EEEvSN_.uses_vcc, 0
	.set _ZN7rocprim17ROCPRIM_400000_NS6detail17trampoline_kernelINS0_14default_configENS1_35radix_sort_onesweep_config_selectorIjN6thrust23THRUST_200600_302600_NS5tupleIffNS6_9null_typeES8_S8_S8_S8_S8_S8_S8_EEEEZZNS1_29radix_sort_onesweep_iterationIS3_Lb0ENS6_6detail15normal_iteratorINS6_10device_ptrIjEEEESG_NSD_INSE_IS9_EEEESI_jNS0_19identity_decomposerENS1_16block_id_wrapperIjLb1EEEEE10hipError_tT1_PNSt15iterator_traitsISN_E10value_typeET2_T3_PNSO_IST_E10value_typeET4_T5_PSY_SZ_PNS1_23onesweep_lookback_stateEbbT6_jjT7_P12ihipStream_tbENKUlT_T0_SN_SS_E_clIPjSG_PS9_SI_EEDaS16_S17_SN_SS_EUlS16_E_NS1_11comp_targetILNS1_3genE8ELNS1_11target_archE1030ELNS1_3gpuE2ELNS1_3repE0EEENS1_47radix_sort_onesweep_sort_config_static_selectorELNS0_4arch9wavefront6targetE0EEEvSN_.uses_flat_scratch, 0
	.set _ZN7rocprim17ROCPRIM_400000_NS6detail17trampoline_kernelINS0_14default_configENS1_35radix_sort_onesweep_config_selectorIjN6thrust23THRUST_200600_302600_NS5tupleIffNS6_9null_typeES8_S8_S8_S8_S8_S8_S8_EEEEZZNS1_29radix_sort_onesweep_iterationIS3_Lb0ENS6_6detail15normal_iteratorINS6_10device_ptrIjEEEESG_NSD_INSE_IS9_EEEESI_jNS0_19identity_decomposerENS1_16block_id_wrapperIjLb1EEEEE10hipError_tT1_PNSt15iterator_traitsISN_E10value_typeET2_T3_PNSO_IST_E10value_typeET4_T5_PSY_SZ_PNS1_23onesweep_lookback_stateEbbT6_jjT7_P12ihipStream_tbENKUlT_T0_SN_SS_E_clIPjSG_PS9_SI_EEDaS16_S17_SN_SS_EUlS16_E_NS1_11comp_targetILNS1_3genE8ELNS1_11target_archE1030ELNS1_3gpuE2ELNS1_3repE0EEENS1_47radix_sort_onesweep_sort_config_static_selectorELNS0_4arch9wavefront6targetE0EEEvSN_.has_dyn_sized_stack, 0
	.set _ZN7rocprim17ROCPRIM_400000_NS6detail17trampoline_kernelINS0_14default_configENS1_35radix_sort_onesweep_config_selectorIjN6thrust23THRUST_200600_302600_NS5tupleIffNS6_9null_typeES8_S8_S8_S8_S8_S8_S8_EEEEZZNS1_29radix_sort_onesweep_iterationIS3_Lb0ENS6_6detail15normal_iteratorINS6_10device_ptrIjEEEESG_NSD_INSE_IS9_EEEESI_jNS0_19identity_decomposerENS1_16block_id_wrapperIjLb1EEEEE10hipError_tT1_PNSt15iterator_traitsISN_E10value_typeET2_T3_PNSO_IST_E10value_typeET4_T5_PSY_SZ_PNS1_23onesweep_lookback_stateEbbT6_jjT7_P12ihipStream_tbENKUlT_T0_SN_SS_E_clIPjSG_PS9_SI_EEDaS16_S17_SN_SS_EUlS16_E_NS1_11comp_targetILNS1_3genE8ELNS1_11target_archE1030ELNS1_3gpuE2ELNS1_3repE0EEENS1_47radix_sort_onesweep_sort_config_static_selectorELNS0_4arch9wavefront6targetE0EEEvSN_.has_recursion, 0
	.set _ZN7rocprim17ROCPRIM_400000_NS6detail17trampoline_kernelINS0_14default_configENS1_35radix_sort_onesweep_config_selectorIjN6thrust23THRUST_200600_302600_NS5tupleIffNS6_9null_typeES8_S8_S8_S8_S8_S8_S8_EEEEZZNS1_29radix_sort_onesweep_iterationIS3_Lb0ENS6_6detail15normal_iteratorINS6_10device_ptrIjEEEESG_NSD_INSE_IS9_EEEESI_jNS0_19identity_decomposerENS1_16block_id_wrapperIjLb1EEEEE10hipError_tT1_PNSt15iterator_traitsISN_E10value_typeET2_T3_PNSO_IST_E10value_typeET4_T5_PSY_SZ_PNS1_23onesweep_lookback_stateEbbT6_jjT7_P12ihipStream_tbENKUlT_T0_SN_SS_E_clIPjSG_PS9_SI_EEDaS16_S17_SN_SS_EUlS16_E_NS1_11comp_targetILNS1_3genE8ELNS1_11target_archE1030ELNS1_3gpuE2ELNS1_3repE0EEENS1_47radix_sort_onesweep_sort_config_static_selectorELNS0_4arch9wavefront6targetE0EEEvSN_.has_indirect_call, 0
	.section	.AMDGPU.csdata,"",@progbits
; Kernel info:
; codeLenInByte = 0
; TotalNumSgprs: 0
; NumVgprs: 0
; ScratchSize: 0
; MemoryBound: 0
; FloatMode: 240
; IeeeMode: 1
; LDSByteSize: 0 bytes/workgroup (compile time only)
; SGPRBlocks: 0
; VGPRBlocks: 0
; NumSGPRsForWavesPerEU: 1
; NumVGPRsForWavesPerEU: 1
; Occupancy: 16
; WaveLimiterHint : 0
; COMPUTE_PGM_RSRC2:SCRATCH_EN: 0
; COMPUTE_PGM_RSRC2:USER_SGPR: 2
; COMPUTE_PGM_RSRC2:TRAP_HANDLER: 0
; COMPUTE_PGM_RSRC2:TGID_X_EN: 1
; COMPUTE_PGM_RSRC2:TGID_Y_EN: 0
; COMPUTE_PGM_RSRC2:TGID_Z_EN: 0
; COMPUTE_PGM_RSRC2:TIDIG_COMP_CNT: 0
	.section	.text._ZN7rocprim17ROCPRIM_400000_NS6detail17trampoline_kernelINS0_14default_configENS1_35radix_sort_onesweep_config_selectorIjN6thrust23THRUST_200600_302600_NS5tupleIffNS6_9null_typeES8_S8_S8_S8_S8_S8_S8_EEEEZZNS1_29radix_sort_onesweep_iterationIS3_Lb0ENS6_6detail15normal_iteratorINS6_10device_ptrIjEEEESG_NSD_INSE_IS9_EEEESI_jNS0_19identity_decomposerENS1_16block_id_wrapperIjLb0EEEEE10hipError_tT1_PNSt15iterator_traitsISN_E10value_typeET2_T3_PNSO_IST_E10value_typeET4_T5_PSY_SZ_PNS1_23onesweep_lookback_stateEbbT6_jjT7_P12ihipStream_tbENKUlT_T0_SN_SS_E_clISG_SG_SI_SI_EEDaS16_S17_SN_SS_EUlS16_E_NS1_11comp_targetILNS1_3genE0ELNS1_11target_archE4294967295ELNS1_3gpuE0ELNS1_3repE0EEENS1_47radix_sort_onesweep_sort_config_static_selectorELNS0_4arch9wavefront6targetE0EEEvSN_,"axG",@progbits,_ZN7rocprim17ROCPRIM_400000_NS6detail17trampoline_kernelINS0_14default_configENS1_35radix_sort_onesweep_config_selectorIjN6thrust23THRUST_200600_302600_NS5tupleIffNS6_9null_typeES8_S8_S8_S8_S8_S8_S8_EEEEZZNS1_29radix_sort_onesweep_iterationIS3_Lb0ENS6_6detail15normal_iteratorINS6_10device_ptrIjEEEESG_NSD_INSE_IS9_EEEESI_jNS0_19identity_decomposerENS1_16block_id_wrapperIjLb0EEEEE10hipError_tT1_PNSt15iterator_traitsISN_E10value_typeET2_T3_PNSO_IST_E10value_typeET4_T5_PSY_SZ_PNS1_23onesweep_lookback_stateEbbT6_jjT7_P12ihipStream_tbENKUlT_T0_SN_SS_E_clISG_SG_SI_SI_EEDaS16_S17_SN_SS_EUlS16_E_NS1_11comp_targetILNS1_3genE0ELNS1_11target_archE4294967295ELNS1_3gpuE0ELNS1_3repE0EEENS1_47radix_sort_onesweep_sort_config_static_selectorELNS0_4arch9wavefront6targetE0EEEvSN_,comdat
	.protected	_ZN7rocprim17ROCPRIM_400000_NS6detail17trampoline_kernelINS0_14default_configENS1_35radix_sort_onesweep_config_selectorIjN6thrust23THRUST_200600_302600_NS5tupleIffNS6_9null_typeES8_S8_S8_S8_S8_S8_S8_EEEEZZNS1_29radix_sort_onesweep_iterationIS3_Lb0ENS6_6detail15normal_iteratorINS6_10device_ptrIjEEEESG_NSD_INSE_IS9_EEEESI_jNS0_19identity_decomposerENS1_16block_id_wrapperIjLb0EEEEE10hipError_tT1_PNSt15iterator_traitsISN_E10value_typeET2_T3_PNSO_IST_E10value_typeET4_T5_PSY_SZ_PNS1_23onesweep_lookback_stateEbbT6_jjT7_P12ihipStream_tbENKUlT_T0_SN_SS_E_clISG_SG_SI_SI_EEDaS16_S17_SN_SS_EUlS16_E_NS1_11comp_targetILNS1_3genE0ELNS1_11target_archE4294967295ELNS1_3gpuE0ELNS1_3repE0EEENS1_47radix_sort_onesweep_sort_config_static_selectorELNS0_4arch9wavefront6targetE0EEEvSN_ ; -- Begin function _ZN7rocprim17ROCPRIM_400000_NS6detail17trampoline_kernelINS0_14default_configENS1_35radix_sort_onesweep_config_selectorIjN6thrust23THRUST_200600_302600_NS5tupleIffNS6_9null_typeES8_S8_S8_S8_S8_S8_S8_EEEEZZNS1_29radix_sort_onesweep_iterationIS3_Lb0ENS6_6detail15normal_iteratorINS6_10device_ptrIjEEEESG_NSD_INSE_IS9_EEEESI_jNS0_19identity_decomposerENS1_16block_id_wrapperIjLb0EEEEE10hipError_tT1_PNSt15iterator_traitsISN_E10value_typeET2_T3_PNSO_IST_E10value_typeET4_T5_PSY_SZ_PNS1_23onesweep_lookback_stateEbbT6_jjT7_P12ihipStream_tbENKUlT_T0_SN_SS_E_clISG_SG_SI_SI_EEDaS16_S17_SN_SS_EUlS16_E_NS1_11comp_targetILNS1_3genE0ELNS1_11target_archE4294967295ELNS1_3gpuE0ELNS1_3repE0EEENS1_47radix_sort_onesweep_sort_config_static_selectorELNS0_4arch9wavefront6targetE0EEEvSN_
	.globl	_ZN7rocprim17ROCPRIM_400000_NS6detail17trampoline_kernelINS0_14default_configENS1_35radix_sort_onesweep_config_selectorIjN6thrust23THRUST_200600_302600_NS5tupleIffNS6_9null_typeES8_S8_S8_S8_S8_S8_S8_EEEEZZNS1_29radix_sort_onesweep_iterationIS3_Lb0ENS6_6detail15normal_iteratorINS6_10device_ptrIjEEEESG_NSD_INSE_IS9_EEEESI_jNS0_19identity_decomposerENS1_16block_id_wrapperIjLb0EEEEE10hipError_tT1_PNSt15iterator_traitsISN_E10value_typeET2_T3_PNSO_IST_E10value_typeET4_T5_PSY_SZ_PNS1_23onesweep_lookback_stateEbbT6_jjT7_P12ihipStream_tbENKUlT_T0_SN_SS_E_clISG_SG_SI_SI_EEDaS16_S17_SN_SS_EUlS16_E_NS1_11comp_targetILNS1_3genE0ELNS1_11target_archE4294967295ELNS1_3gpuE0ELNS1_3repE0EEENS1_47radix_sort_onesweep_sort_config_static_selectorELNS0_4arch9wavefront6targetE0EEEvSN_
	.p2align	8
	.type	_ZN7rocprim17ROCPRIM_400000_NS6detail17trampoline_kernelINS0_14default_configENS1_35radix_sort_onesweep_config_selectorIjN6thrust23THRUST_200600_302600_NS5tupleIffNS6_9null_typeES8_S8_S8_S8_S8_S8_S8_EEEEZZNS1_29radix_sort_onesweep_iterationIS3_Lb0ENS6_6detail15normal_iteratorINS6_10device_ptrIjEEEESG_NSD_INSE_IS9_EEEESI_jNS0_19identity_decomposerENS1_16block_id_wrapperIjLb0EEEEE10hipError_tT1_PNSt15iterator_traitsISN_E10value_typeET2_T3_PNSO_IST_E10value_typeET4_T5_PSY_SZ_PNS1_23onesweep_lookback_stateEbbT6_jjT7_P12ihipStream_tbENKUlT_T0_SN_SS_E_clISG_SG_SI_SI_EEDaS16_S17_SN_SS_EUlS16_E_NS1_11comp_targetILNS1_3genE0ELNS1_11target_archE4294967295ELNS1_3gpuE0ELNS1_3repE0EEENS1_47radix_sort_onesweep_sort_config_static_selectorELNS0_4arch9wavefront6targetE0EEEvSN_,@function
_ZN7rocprim17ROCPRIM_400000_NS6detail17trampoline_kernelINS0_14default_configENS1_35radix_sort_onesweep_config_selectorIjN6thrust23THRUST_200600_302600_NS5tupleIffNS6_9null_typeES8_S8_S8_S8_S8_S8_S8_EEEEZZNS1_29radix_sort_onesweep_iterationIS3_Lb0ENS6_6detail15normal_iteratorINS6_10device_ptrIjEEEESG_NSD_INSE_IS9_EEEESI_jNS0_19identity_decomposerENS1_16block_id_wrapperIjLb0EEEEE10hipError_tT1_PNSt15iterator_traitsISN_E10value_typeET2_T3_PNSO_IST_E10value_typeET4_T5_PSY_SZ_PNS1_23onesweep_lookback_stateEbbT6_jjT7_P12ihipStream_tbENKUlT_T0_SN_SS_E_clISG_SG_SI_SI_EEDaS16_S17_SN_SS_EUlS16_E_NS1_11comp_targetILNS1_3genE0ELNS1_11target_archE4294967295ELNS1_3gpuE0ELNS1_3repE0EEENS1_47radix_sort_onesweep_sort_config_static_selectorELNS0_4arch9wavefront6targetE0EEEvSN_: ; @_ZN7rocprim17ROCPRIM_400000_NS6detail17trampoline_kernelINS0_14default_configENS1_35radix_sort_onesweep_config_selectorIjN6thrust23THRUST_200600_302600_NS5tupleIffNS6_9null_typeES8_S8_S8_S8_S8_S8_S8_EEEEZZNS1_29radix_sort_onesweep_iterationIS3_Lb0ENS6_6detail15normal_iteratorINS6_10device_ptrIjEEEESG_NSD_INSE_IS9_EEEESI_jNS0_19identity_decomposerENS1_16block_id_wrapperIjLb0EEEEE10hipError_tT1_PNSt15iterator_traitsISN_E10value_typeET2_T3_PNSO_IST_E10value_typeET4_T5_PSY_SZ_PNS1_23onesweep_lookback_stateEbbT6_jjT7_P12ihipStream_tbENKUlT_T0_SN_SS_E_clISG_SG_SI_SI_EEDaS16_S17_SN_SS_EUlS16_E_NS1_11comp_targetILNS1_3genE0ELNS1_11target_archE4294967295ELNS1_3gpuE0ELNS1_3repE0EEENS1_47radix_sort_onesweep_sort_config_static_selectorELNS0_4arch9wavefront6targetE0EEEvSN_
; %bb.0:
	.section	.rodata,"a",@progbits
	.p2align	6, 0x0
	.amdhsa_kernel _ZN7rocprim17ROCPRIM_400000_NS6detail17trampoline_kernelINS0_14default_configENS1_35radix_sort_onesweep_config_selectorIjN6thrust23THRUST_200600_302600_NS5tupleIffNS6_9null_typeES8_S8_S8_S8_S8_S8_S8_EEEEZZNS1_29radix_sort_onesweep_iterationIS3_Lb0ENS6_6detail15normal_iteratorINS6_10device_ptrIjEEEESG_NSD_INSE_IS9_EEEESI_jNS0_19identity_decomposerENS1_16block_id_wrapperIjLb0EEEEE10hipError_tT1_PNSt15iterator_traitsISN_E10value_typeET2_T3_PNSO_IST_E10value_typeET4_T5_PSY_SZ_PNS1_23onesweep_lookback_stateEbbT6_jjT7_P12ihipStream_tbENKUlT_T0_SN_SS_E_clISG_SG_SI_SI_EEDaS16_S17_SN_SS_EUlS16_E_NS1_11comp_targetILNS1_3genE0ELNS1_11target_archE4294967295ELNS1_3gpuE0ELNS1_3repE0EEENS1_47radix_sort_onesweep_sort_config_static_selectorELNS0_4arch9wavefront6targetE0EEEvSN_
		.amdhsa_group_segment_fixed_size 0
		.amdhsa_private_segment_fixed_size 0
		.amdhsa_kernarg_size 88
		.amdhsa_user_sgpr_count 2
		.amdhsa_user_sgpr_dispatch_ptr 0
		.amdhsa_user_sgpr_queue_ptr 0
		.amdhsa_user_sgpr_kernarg_segment_ptr 1
		.amdhsa_user_sgpr_dispatch_id 0
		.amdhsa_user_sgpr_private_segment_size 0
		.amdhsa_wavefront_size32 1
		.amdhsa_uses_dynamic_stack 0
		.amdhsa_enable_private_segment 0
		.amdhsa_system_sgpr_workgroup_id_x 1
		.amdhsa_system_sgpr_workgroup_id_y 0
		.amdhsa_system_sgpr_workgroup_id_z 0
		.amdhsa_system_sgpr_workgroup_info 0
		.amdhsa_system_vgpr_workitem_id 0
		.amdhsa_next_free_vgpr 1
		.amdhsa_next_free_sgpr 1
		.amdhsa_reserve_vcc 0
		.amdhsa_float_round_mode_32 0
		.amdhsa_float_round_mode_16_64 0
		.amdhsa_float_denorm_mode_32 3
		.amdhsa_float_denorm_mode_16_64 3
		.amdhsa_fp16_overflow 0
		.amdhsa_workgroup_processor_mode 1
		.amdhsa_memory_ordered 1
		.amdhsa_forward_progress 1
		.amdhsa_inst_pref_size 0
		.amdhsa_round_robin_scheduling 0
		.amdhsa_exception_fp_ieee_invalid_op 0
		.amdhsa_exception_fp_denorm_src 0
		.amdhsa_exception_fp_ieee_div_zero 0
		.amdhsa_exception_fp_ieee_overflow 0
		.amdhsa_exception_fp_ieee_underflow 0
		.amdhsa_exception_fp_ieee_inexact 0
		.amdhsa_exception_int_div_zero 0
	.end_amdhsa_kernel
	.section	.text._ZN7rocprim17ROCPRIM_400000_NS6detail17trampoline_kernelINS0_14default_configENS1_35radix_sort_onesweep_config_selectorIjN6thrust23THRUST_200600_302600_NS5tupleIffNS6_9null_typeES8_S8_S8_S8_S8_S8_S8_EEEEZZNS1_29radix_sort_onesweep_iterationIS3_Lb0ENS6_6detail15normal_iteratorINS6_10device_ptrIjEEEESG_NSD_INSE_IS9_EEEESI_jNS0_19identity_decomposerENS1_16block_id_wrapperIjLb0EEEEE10hipError_tT1_PNSt15iterator_traitsISN_E10value_typeET2_T3_PNSO_IST_E10value_typeET4_T5_PSY_SZ_PNS1_23onesweep_lookback_stateEbbT6_jjT7_P12ihipStream_tbENKUlT_T0_SN_SS_E_clISG_SG_SI_SI_EEDaS16_S17_SN_SS_EUlS16_E_NS1_11comp_targetILNS1_3genE0ELNS1_11target_archE4294967295ELNS1_3gpuE0ELNS1_3repE0EEENS1_47radix_sort_onesweep_sort_config_static_selectorELNS0_4arch9wavefront6targetE0EEEvSN_,"axG",@progbits,_ZN7rocprim17ROCPRIM_400000_NS6detail17trampoline_kernelINS0_14default_configENS1_35radix_sort_onesweep_config_selectorIjN6thrust23THRUST_200600_302600_NS5tupleIffNS6_9null_typeES8_S8_S8_S8_S8_S8_S8_EEEEZZNS1_29radix_sort_onesweep_iterationIS3_Lb0ENS6_6detail15normal_iteratorINS6_10device_ptrIjEEEESG_NSD_INSE_IS9_EEEESI_jNS0_19identity_decomposerENS1_16block_id_wrapperIjLb0EEEEE10hipError_tT1_PNSt15iterator_traitsISN_E10value_typeET2_T3_PNSO_IST_E10value_typeET4_T5_PSY_SZ_PNS1_23onesweep_lookback_stateEbbT6_jjT7_P12ihipStream_tbENKUlT_T0_SN_SS_E_clISG_SG_SI_SI_EEDaS16_S17_SN_SS_EUlS16_E_NS1_11comp_targetILNS1_3genE0ELNS1_11target_archE4294967295ELNS1_3gpuE0ELNS1_3repE0EEENS1_47radix_sort_onesweep_sort_config_static_selectorELNS0_4arch9wavefront6targetE0EEEvSN_,comdat
.Lfunc_end202:
	.size	_ZN7rocprim17ROCPRIM_400000_NS6detail17trampoline_kernelINS0_14default_configENS1_35radix_sort_onesweep_config_selectorIjN6thrust23THRUST_200600_302600_NS5tupleIffNS6_9null_typeES8_S8_S8_S8_S8_S8_S8_EEEEZZNS1_29radix_sort_onesweep_iterationIS3_Lb0ENS6_6detail15normal_iteratorINS6_10device_ptrIjEEEESG_NSD_INSE_IS9_EEEESI_jNS0_19identity_decomposerENS1_16block_id_wrapperIjLb0EEEEE10hipError_tT1_PNSt15iterator_traitsISN_E10value_typeET2_T3_PNSO_IST_E10value_typeET4_T5_PSY_SZ_PNS1_23onesweep_lookback_stateEbbT6_jjT7_P12ihipStream_tbENKUlT_T0_SN_SS_E_clISG_SG_SI_SI_EEDaS16_S17_SN_SS_EUlS16_E_NS1_11comp_targetILNS1_3genE0ELNS1_11target_archE4294967295ELNS1_3gpuE0ELNS1_3repE0EEENS1_47radix_sort_onesweep_sort_config_static_selectorELNS0_4arch9wavefront6targetE0EEEvSN_, .Lfunc_end202-_ZN7rocprim17ROCPRIM_400000_NS6detail17trampoline_kernelINS0_14default_configENS1_35radix_sort_onesweep_config_selectorIjN6thrust23THRUST_200600_302600_NS5tupleIffNS6_9null_typeES8_S8_S8_S8_S8_S8_S8_EEEEZZNS1_29radix_sort_onesweep_iterationIS3_Lb0ENS6_6detail15normal_iteratorINS6_10device_ptrIjEEEESG_NSD_INSE_IS9_EEEESI_jNS0_19identity_decomposerENS1_16block_id_wrapperIjLb0EEEEE10hipError_tT1_PNSt15iterator_traitsISN_E10value_typeET2_T3_PNSO_IST_E10value_typeET4_T5_PSY_SZ_PNS1_23onesweep_lookback_stateEbbT6_jjT7_P12ihipStream_tbENKUlT_T0_SN_SS_E_clISG_SG_SI_SI_EEDaS16_S17_SN_SS_EUlS16_E_NS1_11comp_targetILNS1_3genE0ELNS1_11target_archE4294967295ELNS1_3gpuE0ELNS1_3repE0EEENS1_47radix_sort_onesweep_sort_config_static_selectorELNS0_4arch9wavefront6targetE0EEEvSN_
                                        ; -- End function
	.set _ZN7rocprim17ROCPRIM_400000_NS6detail17trampoline_kernelINS0_14default_configENS1_35radix_sort_onesweep_config_selectorIjN6thrust23THRUST_200600_302600_NS5tupleIffNS6_9null_typeES8_S8_S8_S8_S8_S8_S8_EEEEZZNS1_29radix_sort_onesweep_iterationIS3_Lb0ENS6_6detail15normal_iteratorINS6_10device_ptrIjEEEESG_NSD_INSE_IS9_EEEESI_jNS0_19identity_decomposerENS1_16block_id_wrapperIjLb0EEEEE10hipError_tT1_PNSt15iterator_traitsISN_E10value_typeET2_T3_PNSO_IST_E10value_typeET4_T5_PSY_SZ_PNS1_23onesweep_lookback_stateEbbT6_jjT7_P12ihipStream_tbENKUlT_T0_SN_SS_E_clISG_SG_SI_SI_EEDaS16_S17_SN_SS_EUlS16_E_NS1_11comp_targetILNS1_3genE0ELNS1_11target_archE4294967295ELNS1_3gpuE0ELNS1_3repE0EEENS1_47radix_sort_onesweep_sort_config_static_selectorELNS0_4arch9wavefront6targetE0EEEvSN_.num_vgpr, 0
	.set _ZN7rocprim17ROCPRIM_400000_NS6detail17trampoline_kernelINS0_14default_configENS1_35radix_sort_onesweep_config_selectorIjN6thrust23THRUST_200600_302600_NS5tupleIffNS6_9null_typeES8_S8_S8_S8_S8_S8_S8_EEEEZZNS1_29radix_sort_onesweep_iterationIS3_Lb0ENS6_6detail15normal_iteratorINS6_10device_ptrIjEEEESG_NSD_INSE_IS9_EEEESI_jNS0_19identity_decomposerENS1_16block_id_wrapperIjLb0EEEEE10hipError_tT1_PNSt15iterator_traitsISN_E10value_typeET2_T3_PNSO_IST_E10value_typeET4_T5_PSY_SZ_PNS1_23onesweep_lookback_stateEbbT6_jjT7_P12ihipStream_tbENKUlT_T0_SN_SS_E_clISG_SG_SI_SI_EEDaS16_S17_SN_SS_EUlS16_E_NS1_11comp_targetILNS1_3genE0ELNS1_11target_archE4294967295ELNS1_3gpuE0ELNS1_3repE0EEENS1_47radix_sort_onesweep_sort_config_static_selectorELNS0_4arch9wavefront6targetE0EEEvSN_.num_agpr, 0
	.set _ZN7rocprim17ROCPRIM_400000_NS6detail17trampoline_kernelINS0_14default_configENS1_35radix_sort_onesweep_config_selectorIjN6thrust23THRUST_200600_302600_NS5tupleIffNS6_9null_typeES8_S8_S8_S8_S8_S8_S8_EEEEZZNS1_29radix_sort_onesweep_iterationIS3_Lb0ENS6_6detail15normal_iteratorINS6_10device_ptrIjEEEESG_NSD_INSE_IS9_EEEESI_jNS0_19identity_decomposerENS1_16block_id_wrapperIjLb0EEEEE10hipError_tT1_PNSt15iterator_traitsISN_E10value_typeET2_T3_PNSO_IST_E10value_typeET4_T5_PSY_SZ_PNS1_23onesweep_lookback_stateEbbT6_jjT7_P12ihipStream_tbENKUlT_T0_SN_SS_E_clISG_SG_SI_SI_EEDaS16_S17_SN_SS_EUlS16_E_NS1_11comp_targetILNS1_3genE0ELNS1_11target_archE4294967295ELNS1_3gpuE0ELNS1_3repE0EEENS1_47radix_sort_onesweep_sort_config_static_selectorELNS0_4arch9wavefront6targetE0EEEvSN_.numbered_sgpr, 0
	.set _ZN7rocprim17ROCPRIM_400000_NS6detail17trampoline_kernelINS0_14default_configENS1_35radix_sort_onesweep_config_selectorIjN6thrust23THRUST_200600_302600_NS5tupleIffNS6_9null_typeES8_S8_S8_S8_S8_S8_S8_EEEEZZNS1_29radix_sort_onesweep_iterationIS3_Lb0ENS6_6detail15normal_iteratorINS6_10device_ptrIjEEEESG_NSD_INSE_IS9_EEEESI_jNS0_19identity_decomposerENS1_16block_id_wrapperIjLb0EEEEE10hipError_tT1_PNSt15iterator_traitsISN_E10value_typeET2_T3_PNSO_IST_E10value_typeET4_T5_PSY_SZ_PNS1_23onesweep_lookback_stateEbbT6_jjT7_P12ihipStream_tbENKUlT_T0_SN_SS_E_clISG_SG_SI_SI_EEDaS16_S17_SN_SS_EUlS16_E_NS1_11comp_targetILNS1_3genE0ELNS1_11target_archE4294967295ELNS1_3gpuE0ELNS1_3repE0EEENS1_47radix_sort_onesweep_sort_config_static_selectorELNS0_4arch9wavefront6targetE0EEEvSN_.num_named_barrier, 0
	.set _ZN7rocprim17ROCPRIM_400000_NS6detail17trampoline_kernelINS0_14default_configENS1_35radix_sort_onesweep_config_selectorIjN6thrust23THRUST_200600_302600_NS5tupleIffNS6_9null_typeES8_S8_S8_S8_S8_S8_S8_EEEEZZNS1_29radix_sort_onesweep_iterationIS3_Lb0ENS6_6detail15normal_iteratorINS6_10device_ptrIjEEEESG_NSD_INSE_IS9_EEEESI_jNS0_19identity_decomposerENS1_16block_id_wrapperIjLb0EEEEE10hipError_tT1_PNSt15iterator_traitsISN_E10value_typeET2_T3_PNSO_IST_E10value_typeET4_T5_PSY_SZ_PNS1_23onesweep_lookback_stateEbbT6_jjT7_P12ihipStream_tbENKUlT_T0_SN_SS_E_clISG_SG_SI_SI_EEDaS16_S17_SN_SS_EUlS16_E_NS1_11comp_targetILNS1_3genE0ELNS1_11target_archE4294967295ELNS1_3gpuE0ELNS1_3repE0EEENS1_47radix_sort_onesweep_sort_config_static_selectorELNS0_4arch9wavefront6targetE0EEEvSN_.private_seg_size, 0
	.set _ZN7rocprim17ROCPRIM_400000_NS6detail17trampoline_kernelINS0_14default_configENS1_35radix_sort_onesweep_config_selectorIjN6thrust23THRUST_200600_302600_NS5tupleIffNS6_9null_typeES8_S8_S8_S8_S8_S8_S8_EEEEZZNS1_29radix_sort_onesweep_iterationIS3_Lb0ENS6_6detail15normal_iteratorINS6_10device_ptrIjEEEESG_NSD_INSE_IS9_EEEESI_jNS0_19identity_decomposerENS1_16block_id_wrapperIjLb0EEEEE10hipError_tT1_PNSt15iterator_traitsISN_E10value_typeET2_T3_PNSO_IST_E10value_typeET4_T5_PSY_SZ_PNS1_23onesweep_lookback_stateEbbT6_jjT7_P12ihipStream_tbENKUlT_T0_SN_SS_E_clISG_SG_SI_SI_EEDaS16_S17_SN_SS_EUlS16_E_NS1_11comp_targetILNS1_3genE0ELNS1_11target_archE4294967295ELNS1_3gpuE0ELNS1_3repE0EEENS1_47radix_sort_onesweep_sort_config_static_selectorELNS0_4arch9wavefront6targetE0EEEvSN_.uses_vcc, 0
	.set _ZN7rocprim17ROCPRIM_400000_NS6detail17trampoline_kernelINS0_14default_configENS1_35radix_sort_onesweep_config_selectorIjN6thrust23THRUST_200600_302600_NS5tupleIffNS6_9null_typeES8_S8_S8_S8_S8_S8_S8_EEEEZZNS1_29radix_sort_onesweep_iterationIS3_Lb0ENS6_6detail15normal_iteratorINS6_10device_ptrIjEEEESG_NSD_INSE_IS9_EEEESI_jNS0_19identity_decomposerENS1_16block_id_wrapperIjLb0EEEEE10hipError_tT1_PNSt15iterator_traitsISN_E10value_typeET2_T3_PNSO_IST_E10value_typeET4_T5_PSY_SZ_PNS1_23onesweep_lookback_stateEbbT6_jjT7_P12ihipStream_tbENKUlT_T0_SN_SS_E_clISG_SG_SI_SI_EEDaS16_S17_SN_SS_EUlS16_E_NS1_11comp_targetILNS1_3genE0ELNS1_11target_archE4294967295ELNS1_3gpuE0ELNS1_3repE0EEENS1_47radix_sort_onesweep_sort_config_static_selectorELNS0_4arch9wavefront6targetE0EEEvSN_.uses_flat_scratch, 0
	.set _ZN7rocprim17ROCPRIM_400000_NS6detail17trampoline_kernelINS0_14default_configENS1_35radix_sort_onesweep_config_selectorIjN6thrust23THRUST_200600_302600_NS5tupleIffNS6_9null_typeES8_S8_S8_S8_S8_S8_S8_EEEEZZNS1_29radix_sort_onesweep_iterationIS3_Lb0ENS6_6detail15normal_iteratorINS6_10device_ptrIjEEEESG_NSD_INSE_IS9_EEEESI_jNS0_19identity_decomposerENS1_16block_id_wrapperIjLb0EEEEE10hipError_tT1_PNSt15iterator_traitsISN_E10value_typeET2_T3_PNSO_IST_E10value_typeET4_T5_PSY_SZ_PNS1_23onesweep_lookback_stateEbbT6_jjT7_P12ihipStream_tbENKUlT_T0_SN_SS_E_clISG_SG_SI_SI_EEDaS16_S17_SN_SS_EUlS16_E_NS1_11comp_targetILNS1_3genE0ELNS1_11target_archE4294967295ELNS1_3gpuE0ELNS1_3repE0EEENS1_47radix_sort_onesweep_sort_config_static_selectorELNS0_4arch9wavefront6targetE0EEEvSN_.has_dyn_sized_stack, 0
	.set _ZN7rocprim17ROCPRIM_400000_NS6detail17trampoline_kernelINS0_14default_configENS1_35radix_sort_onesweep_config_selectorIjN6thrust23THRUST_200600_302600_NS5tupleIffNS6_9null_typeES8_S8_S8_S8_S8_S8_S8_EEEEZZNS1_29radix_sort_onesweep_iterationIS3_Lb0ENS6_6detail15normal_iteratorINS6_10device_ptrIjEEEESG_NSD_INSE_IS9_EEEESI_jNS0_19identity_decomposerENS1_16block_id_wrapperIjLb0EEEEE10hipError_tT1_PNSt15iterator_traitsISN_E10value_typeET2_T3_PNSO_IST_E10value_typeET4_T5_PSY_SZ_PNS1_23onesweep_lookback_stateEbbT6_jjT7_P12ihipStream_tbENKUlT_T0_SN_SS_E_clISG_SG_SI_SI_EEDaS16_S17_SN_SS_EUlS16_E_NS1_11comp_targetILNS1_3genE0ELNS1_11target_archE4294967295ELNS1_3gpuE0ELNS1_3repE0EEENS1_47radix_sort_onesweep_sort_config_static_selectorELNS0_4arch9wavefront6targetE0EEEvSN_.has_recursion, 0
	.set _ZN7rocprim17ROCPRIM_400000_NS6detail17trampoline_kernelINS0_14default_configENS1_35radix_sort_onesweep_config_selectorIjN6thrust23THRUST_200600_302600_NS5tupleIffNS6_9null_typeES8_S8_S8_S8_S8_S8_S8_EEEEZZNS1_29radix_sort_onesweep_iterationIS3_Lb0ENS6_6detail15normal_iteratorINS6_10device_ptrIjEEEESG_NSD_INSE_IS9_EEEESI_jNS0_19identity_decomposerENS1_16block_id_wrapperIjLb0EEEEE10hipError_tT1_PNSt15iterator_traitsISN_E10value_typeET2_T3_PNSO_IST_E10value_typeET4_T5_PSY_SZ_PNS1_23onesweep_lookback_stateEbbT6_jjT7_P12ihipStream_tbENKUlT_T0_SN_SS_E_clISG_SG_SI_SI_EEDaS16_S17_SN_SS_EUlS16_E_NS1_11comp_targetILNS1_3genE0ELNS1_11target_archE4294967295ELNS1_3gpuE0ELNS1_3repE0EEENS1_47radix_sort_onesweep_sort_config_static_selectorELNS0_4arch9wavefront6targetE0EEEvSN_.has_indirect_call, 0
	.section	.AMDGPU.csdata,"",@progbits
; Kernel info:
; codeLenInByte = 0
; TotalNumSgprs: 0
; NumVgprs: 0
; ScratchSize: 0
; MemoryBound: 0
; FloatMode: 240
; IeeeMode: 1
; LDSByteSize: 0 bytes/workgroup (compile time only)
; SGPRBlocks: 0
; VGPRBlocks: 0
; NumSGPRsForWavesPerEU: 1
; NumVGPRsForWavesPerEU: 1
; Occupancy: 16
; WaveLimiterHint : 0
; COMPUTE_PGM_RSRC2:SCRATCH_EN: 0
; COMPUTE_PGM_RSRC2:USER_SGPR: 2
; COMPUTE_PGM_RSRC2:TRAP_HANDLER: 0
; COMPUTE_PGM_RSRC2:TGID_X_EN: 1
; COMPUTE_PGM_RSRC2:TGID_Y_EN: 0
; COMPUTE_PGM_RSRC2:TGID_Z_EN: 0
; COMPUTE_PGM_RSRC2:TIDIG_COMP_CNT: 0
	.section	.text._ZN7rocprim17ROCPRIM_400000_NS6detail17trampoline_kernelINS0_14default_configENS1_35radix_sort_onesweep_config_selectorIjN6thrust23THRUST_200600_302600_NS5tupleIffNS6_9null_typeES8_S8_S8_S8_S8_S8_S8_EEEEZZNS1_29radix_sort_onesweep_iterationIS3_Lb0ENS6_6detail15normal_iteratorINS6_10device_ptrIjEEEESG_NSD_INSE_IS9_EEEESI_jNS0_19identity_decomposerENS1_16block_id_wrapperIjLb0EEEEE10hipError_tT1_PNSt15iterator_traitsISN_E10value_typeET2_T3_PNSO_IST_E10value_typeET4_T5_PSY_SZ_PNS1_23onesweep_lookback_stateEbbT6_jjT7_P12ihipStream_tbENKUlT_T0_SN_SS_E_clISG_SG_SI_SI_EEDaS16_S17_SN_SS_EUlS16_E_NS1_11comp_targetILNS1_3genE6ELNS1_11target_archE950ELNS1_3gpuE13ELNS1_3repE0EEENS1_47radix_sort_onesweep_sort_config_static_selectorELNS0_4arch9wavefront6targetE0EEEvSN_,"axG",@progbits,_ZN7rocprim17ROCPRIM_400000_NS6detail17trampoline_kernelINS0_14default_configENS1_35radix_sort_onesweep_config_selectorIjN6thrust23THRUST_200600_302600_NS5tupleIffNS6_9null_typeES8_S8_S8_S8_S8_S8_S8_EEEEZZNS1_29radix_sort_onesweep_iterationIS3_Lb0ENS6_6detail15normal_iteratorINS6_10device_ptrIjEEEESG_NSD_INSE_IS9_EEEESI_jNS0_19identity_decomposerENS1_16block_id_wrapperIjLb0EEEEE10hipError_tT1_PNSt15iterator_traitsISN_E10value_typeET2_T3_PNSO_IST_E10value_typeET4_T5_PSY_SZ_PNS1_23onesweep_lookback_stateEbbT6_jjT7_P12ihipStream_tbENKUlT_T0_SN_SS_E_clISG_SG_SI_SI_EEDaS16_S17_SN_SS_EUlS16_E_NS1_11comp_targetILNS1_3genE6ELNS1_11target_archE950ELNS1_3gpuE13ELNS1_3repE0EEENS1_47radix_sort_onesweep_sort_config_static_selectorELNS0_4arch9wavefront6targetE0EEEvSN_,comdat
	.protected	_ZN7rocprim17ROCPRIM_400000_NS6detail17trampoline_kernelINS0_14default_configENS1_35radix_sort_onesweep_config_selectorIjN6thrust23THRUST_200600_302600_NS5tupleIffNS6_9null_typeES8_S8_S8_S8_S8_S8_S8_EEEEZZNS1_29radix_sort_onesweep_iterationIS3_Lb0ENS6_6detail15normal_iteratorINS6_10device_ptrIjEEEESG_NSD_INSE_IS9_EEEESI_jNS0_19identity_decomposerENS1_16block_id_wrapperIjLb0EEEEE10hipError_tT1_PNSt15iterator_traitsISN_E10value_typeET2_T3_PNSO_IST_E10value_typeET4_T5_PSY_SZ_PNS1_23onesweep_lookback_stateEbbT6_jjT7_P12ihipStream_tbENKUlT_T0_SN_SS_E_clISG_SG_SI_SI_EEDaS16_S17_SN_SS_EUlS16_E_NS1_11comp_targetILNS1_3genE6ELNS1_11target_archE950ELNS1_3gpuE13ELNS1_3repE0EEENS1_47radix_sort_onesweep_sort_config_static_selectorELNS0_4arch9wavefront6targetE0EEEvSN_ ; -- Begin function _ZN7rocprim17ROCPRIM_400000_NS6detail17trampoline_kernelINS0_14default_configENS1_35radix_sort_onesweep_config_selectorIjN6thrust23THRUST_200600_302600_NS5tupleIffNS6_9null_typeES8_S8_S8_S8_S8_S8_S8_EEEEZZNS1_29radix_sort_onesweep_iterationIS3_Lb0ENS6_6detail15normal_iteratorINS6_10device_ptrIjEEEESG_NSD_INSE_IS9_EEEESI_jNS0_19identity_decomposerENS1_16block_id_wrapperIjLb0EEEEE10hipError_tT1_PNSt15iterator_traitsISN_E10value_typeET2_T3_PNSO_IST_E10value_typeET4_T5_PSY_SZ_PNS1_23onesweep_lookback_stateEbbT6_jjT7_P12ihipStream_tbENKUlT_T0_SN_SS_E_clISG_SG_SI_SI_EEDaS16_S17_SN_SS_EUlS16_E_NS1_11comp_targetILNS1_3genE6ELNS1_11target_archE950ELNS1_3gpuE13ELNS1_3repE0EEENS1_47radix_sort_onesweep_sort_config_static_selectorELNS0_4arch9wavefront6targetE0EEEvSN_
	.globl	_ZN7rocprim17ROCPRIM_400000_NS6detail17trampoline_kernelINS0_14default_configENS1_35radix_sort_onesweep_config_selectorIjN6thrust23THRUST_200600_302600_NS5tupleIffNS6_9null_typeES8_S8_S8_S8_S8_S8_S8_EEEEZZNS1_29radix_sort_onesweep_iterationIS3_Lb0ENS6_6detail15normal_iteratorINS6_10device_ptrIjEEEESG_NSD_INSE_IS9_EEEESI_jNS0_19identity_decomposerENS1_16block_id_wrapperIjLb0EEEEE10hipError_tT1_PNSt15iterator_traitsISN_E10value_typeET2_T3_PNSO_IST_E10value_typeET4_T5_PSY_SZ_PNS1_23onesweep_lookback_stateEbbT6_jjT7_P12ihipStream_tbENKUlT_T0_SN_SS_E_clISG_SG_SI_SI_EEDaS16_S17_SN_SS_EUlS16_E_NS1_11comp_targetILNS1_3genE6ELNS1_11target_archE950ELNS1_3gpuE13ELNS1_3repE0EEENS1_47radix_sort_onesweep_sort_config_static_selectorELNS0_4arch9wavefront6targetE0EEEvSN_
	.p2align	8
	.type	_ZN7rocprim17ROCPRIM_400000_NS6detail17trampoline_kernelINS0_14default_configENS1_35radix_sort_onesweep_config_selectorIjN6thrust23THRUST_200600_302600_NS5tupleIffNS6_9null_typeES8_S8_S8_S8_S8_S8_S8_EEEEZZNS1_29radix_sort_onesweep_iterationIS3_Lb0ENS6_6detail15normal_iteratorINS6_10device_ptrIjEEEESG_NSD_INSE_IS9_EEEESI_jNS0_19identity_decomposerENS1_16block_id_wrapperIjLb0EEEEE10hipError_tT1_PNSt15iterator_traitsISN_E10value_typeET2_T3_PNSO_IST_E10value_typeET4_T5_PSY_SZ_PNS1_23onesweep_lookback_stateEbbT6_jjT7_P12ihipStream_tbENKUlT_T0_SN_SS_E_clISG_SG_SI_SI_EEDaS16_S17_SN_SS_EUlS16_E_NS1_11comp_targetILNS1_3genE6ELNS1_11target_archE950ELNS1_3gpuE13ELNS1_3repE0EEENS1_47radix_sort_onesweep_sort_config_static_selectorELNS0_4arch9wavefront6targetE0EEEvSN_,@function
_ZN7rocprim17ROCPRIM_400000_NS6detail17trampoline_kernelINS0_14default_configENS1_35radix_sort_onesweep_config_selectorIjN6thrust23THRUST_200600_302600_NS5tupleIffNS6_9null_typeES8_S8_S8_S8_S8_S8_S8_EEEEZZNS1_29radix_sort_onesweep_iterationIS3_Lb0ENS6_6detail15normal_iteratorINS6_10device_ptrIjEEEESG_NSD_INSE_IS9_EEEESI_jNS0_19identity_decomposerENS1_16block_id_wrapperIjLb0EEEEE10hipError_tT1_PNSt15iterator_traitsISN_E10value_typeET2_T3_PNSO_IST_E10value_typeET4_T5_PSY_SZ_PNS1_23onesweep_lookback_stateEbbT6_jjT7_P12ihipStream_tbENKUlT_T0_SN_SS_E_clISG_SG_SI_SI_EEDaS16_S17_SN_SS_EUlS16_E_NS1_11comp_targetILNS1_3genE6ELNS1_11target_archE950ELNS1_3gpuE13ELNS1_3repE0EEENS1_47radix_sort_onesweep_sort_config_static_selectorELNS0_4arch9wavefront6targetE0EEEvSN_: ; @_ZN7rocprim17ROCPRIM_400000_NS6detail17trampoline_kernelINS0_14default_configENS1_35radix_sort_onesweep_config_selectorIjN6thrust23THRUST_200600_302600_NS5tupleIffNS6_9null_typeES8_S8_S8_S8_S8_S8_S8_EEEEZZNS1_29radix_sort_onesweep_iterationIS3_Lb0ENS6_6detail15normal_iteratorINS6_10device_ptrIjEEEESG_NSD_INSE_IS9_EEEESI_jNS0_19identity_decomposerENS1_16block_id_wrapperIjLb0EEEEE10hipError_tT1_PNSt15iterator_traitsISN_E10value_typeET2_T3_PNSO_IST_E10value_typeET4_T5_PSY_SZ_PNS1_23onesweep_lookback_stateEbbT6_jjT7_P12ihipStream_tbENKUlT_T0_SN_SS_E_clISG_SG_SI_SI_EEDaS16_S17_SN_SS_EUlS16_E_NS1_11comp_targetILNS1_3genE6ELNS1_11target_archE950ELNS1_3gpuE13ELNS1_3repE0EEENS1_47radix_sort_onesweep_sort_config_static_selectorELNS0_4arch9wavefront6targetE0EEEvSN_
; %bb.0:
	.section	.rodata,"a",@progbits
	.p2align	6, 0x0
	.amdhsa_kernel _ZN7rocprim17ROCPRIM_400000_NS6detail17trampoline_kernelINS0_14default_configENS1_35radix_sort_onesweep_config_selectorIjN6thrust23THRUST_200600_302600_NS5tupleIffNS6_9null_typeES8_S8_S8_S8_S8_S8_S8_EEEEZZNS1_29radix_sort_onesweep_iterationIS3_Lb0ENS6_6detail15normal_iteratorINS6_10device_ptrIjEEEESG_NSD_INSE_IS9_EEEESI_jNS0_19identity_decomposerENS1_16block_id_wrapperIjLb0EEEEE10hipError_tT1_PNSt15iterator_traitsISN_E10value_typeET2_T3_PNSO_IST_E10value_typeET4_T5_PSY_SZ_PNS1_23onesweep_lookback_stateEbbT6_jjT7_P12ihipStream_tbENKUlT_T0_SN_SS_E_clISG_SG_SI_SI_EEDaS16_S17_SN_SS_EUlS16_E_NS1_11comp_targetILNS1_3genE6ELNS1_11target_archE950ELNS1_3gpuE13ELNS1_3repE0EEENS1_47radix_sort_onesweep_sort_config_static_selectorELNS0_4arch9wavefront6targetE0EEEvSN_
		.amdhsa_group_segment_fixed_size 0
		.amdhsa_private_segment_fixed_size 0
		.amdhsa_kernarg_size 88
		.amdhsa_user_sgpr_count 2
		.amdhsa_user_sgpr_dispatch_ptr 0
		.amdhsa_user_sgpr_queue_ptr 0
		.amdhsa_user_sgpr_kernarg_segment_ptr 1
		.amdhsa_user_sgpr_dispatch_id 0
		.amdhsa_user_sgpr_private_segment_size 0
		.amdhsa_wavefront_size32 1
		.amdhsa_uses_dynamic_stack 0
		.amdhsa_enable_private_segment 0
		.amdhsa_system_sgpr_workgroup_id_x 1
		.amdhsa_system_sgpr_workgroup_id_y 0
		.amdhsa_system_sgpr_workgroup_id_z 0
		.amdhsa_system_sgpr_workgroup_info 0
		.amdhsa_system_vgpr_workitem_id 0
		.amdhsa_next_free_vgpr 1
		.amdhsa_next_free_sgpr 1
		.amdhsa_reserve_vcc 0
		.amdhsa_float_round_mode_32 0
		.amdhsa_float_round_mode_16_64 0
		.amdhsa_float_denorm_mode_32 3
		.amdhsa_float_denorm_mode_16_64 3
		.amdhsa_fp16_overflow 0
		.amdhsa_workgroup_processor_mode 1
		.amdhsa_memory_ordered 1
		.amdhsa_forward_progress 1
		.amdhsa_inst_pref_size 0
		.amdhsa_round_robin_scheduling 0
		.amdhsa_exception_fp_ieee_invalid_op 0
		.amdhsa_exception_fp_denorm_src 0
		.amdhsa_exception_fp_ieee_div_zero 0
		.amdhsa_exception_fp_ieee_overflow 0
		.amdhsa_exception_fp_ieee_underflow 0
		.amdhsa_exception_fp_ieee_inexact 0
		.amdhsa_exception_int_div_zero 0
	.end_amdhsa_kernel
	.section	.text._ZN7rocprim17ROCPRIM_400000_NS6detail17trampoline_kernelINS0_14default_configENS1_35radix_sort_onesweep_config_selectorIjN6thrust23THRUST_200600_302600_NS5tupleIffNS6_9null_typeES8_S8_S8_S8_S8_S8_S8_EEEEZZNS1_29radix_sort_onesweep_iterationIS3_Lb0ENS6_6detail15normal_iteratorINS6_10device_ptrIjEEEESG_NSD_INSE_IS9_EEEESI_jNS0_19identity_decomposerENS1_16block_id_wrapperIjLb0EEEEE10hipError_tT1_PNSt15iterator_traitsISN_E10value_typeET2_T3_PNSO_IST_E10value_typeET4_T5_PSY_SZ_PNS1_23onesweep_lookback_stateEbbT6_jjT7_P12ihipStream_tbENKUlT_T0_SN_SS_E_clISG_SG_SI_SI_EEDaS16_S17_SN_SS_EUlS16_E_NS1_11comp_targetILNS1_3genE6ELNS1_11target_archE950ELNS1_3gpuE13ELNS1_3repE0EEENS1_47radix_sort_onesweep_sort_config_static_selectorELNS0_4arch9wavefront6targetE0EEEvSN_,"axG",@progbits,_ZN7rocprim17ROCPRIM_400000_NS6detail17trampoline_kernelINS0_14default_configENS1_35radix_sort_onesweep_config_selectorIjN6thrust23THRUST_200600_302600_NS5tupleIffNS6_9null_typeES8_S8_S8_S8_S8_S8_S8_EEEEZZNS1_29radix_sort_onesweep_iterationIS3_Lb0ENS6_6detail15normal_iteratorINS6_10device_ptrIjEEEESG_NSD_INSE_IS9_EEEESI_jNS0_19identity_decomposerENS1_16block_id_wrapperIjLb0EEEEE10hipError_tT1_PNSt15iterator_traitsISN_E10value_typeET2_T3_PNSO_IST_E10value_typeET4_T5_PSY_SZ_PNS1_23onesweep_lookback_stateEbbT6_jjT7_P12ihipStream_tbENKUlT_T0_SN_SS_E_clISG_SG_SI_SI_EEDaS16_S17_SN_SS_EUlS16_E_NS1_11comp_targetILNS1_3genE6ELNS1_11target_archE950ELNS1_3gpuE13ELNS1_3repE0EEENS1_47radix_sort_onesweep_sort_config_static_selectorELNS0_4arch9wavefront6targetE0EEEvSN_,comdat
.Lfunc_end203:
	.size	_ZN7rocprim17ROCPRIM_400000_NS6detail17trampoline_kernelINS0_14default_configENS1_35radix_sort_onesweep_config_selectorIjN6thrust23THRUST_200600_302600_NS5tupleIffNS6_9null_typeES8_S8_S8_S8_S8_S8_S8_EEEEZZNS1_29radix_sort_onesweep_iterationIS3_Lb0ENS6_6detail15normal_iteratorINS6_10device_ptrIjEEEESG_NSD_INSE_IS9_EEEESI_jNS0_19identity_decomposerENS1_16block_id_wrapperIjLb0EEEEE10hipError_tT1_PNSt15iterator_traitsISN_E10value_typeET2_T3_PNSO_IST_E10value_typeET4_T5_PSY_SZ_PNS1_23onesweep_lookback_stateEbbT6_jjT7_P12ihipStream_tbENKUlT_T0_SN_SS_E_clISG_SG_SI_SI_EEDaS16_S17_SN_SS_EUlS16_E_NS1_11comp_targetILNS1_3genE6ELNS1_11target_archE950ELNS1_3gpuE13ELNS1_3repE0EEENS1_47radix_sort_onesweep_sort_config_static_selectorELNS0_4arch9wavefront6targetE0EEEvSN_, .Lfunc_end203-_ZN7rocprim17ROCPRIM_400000_NS6detail17trampoline_kernelINS0_14default_configENS1_35radix_sort_onesweep_config_selectorIjN6thrust23THRUST_200600_302600_NS5tupleIffNS6_9null_typeES8_S8_S8_S8_S8_S8_S8_EEEEZZNS1_29radix_sort_onesweep_iterationIS3_Lb0ENS6_6detail15normal_iteratorINS6_10device_ptrIjEEEESG_NSD_INSE_IS9_EEEESI_jNS0_19identity_decomposerENS1_16block_id_wrapperIjLb0EEEEE10hipError_tT1_PNSt15iterator_traitsISN_E10value_typeET2_T3_PNSO_IST_E10value_typeET4_T5_PSY_SZ_PNS1_23onesweep_lookback_stateEbbT6_jjT7_P12ihipStream_tbENKUlT_T0_SN_SS_E_clISG_SG_SI_SI_EEDaS16_S17_SN_SS_EUlS16_E_NS1_11comp_targetILNS1_3genE6ELNS1_11target_archE950ELNS1_3gpuE13ELNS1_3repE0EEENS1_47radix_sort_onesweep_sort_config_static_selectorELNS0_4arch9wavefront6targetE0EEEvSN_
                                        ; -- End function
	.set _ZN7rocprim17ROCPRIM_400000_NS6detail17trampoline_kernelINS0_14default_configENS1_35radix_sort_onesweep_config_selectorIjN6thrust23THRUST_200600_302600_NS5tupleIffNS6_9null_typeES8_S8_S8_S8_S8_S8_S8_EEEEZZNS1_29radix_sort_onesweep_iterationIS3_Lb0ENS6_6detail15normal_iteratorINS6_10device_ptrIjEEEESG_NSD_INSE_IS9_EEEESI_jNS0_19identity_decomposerENS1_16block_id_wrapperIjLb0EEEEE10hipError_tT1_PNSt15iterator_traitsISN_E10value_typeET2_T3_PNSO_IST_E10value_typeET4_T5_PSY_SZ_PNS1_23onesweep_lookback_stateEbbT6_jjT7_P12ihipStream_tbENKUlT_T0_SN_SS_E_clISG_SG_SI_SI_EEDaS16_S17_SN_SS_EUlS16_E_NS1_11comp_targetILNS1_3genE6ELNS1_11target_archE950ELNS1_3gpuE13ELNS1_3repE0EEENS1_47radix_sort_onesweep_sort_config_static_selectorELNS0_4arch9wavefront6targetE0EEEvSN_.num_vgpr, 0
	.set _ZN7rocprim17ROCPRIM_400000_NS6detail17trampoline_kernelINS0_14default_configENS1_35radix_sort_onesweep_config_selectorIjN6thrust23THRUST_200600_302600_NS5tupleIffNS6_9null_typeES8_S8_S8_S8_S8_S8_S8_EEEEZZNS1_29radix_sort_onesweep_iterationIS3_Lb0ENS6_6detail15normal_iteratorINS6_10device_ptrIjEEEESG_NSD_INSE_IS9_EEEESI_jNS0_19identity_decomposerENS1_16block_id_wrapperIjLb0EEEEE10hipError_tT1_PNSt15iterator_traitsISN_E10value_typeET2_T3_PNSO_IST_E10value_typeET4_T5_PSY_SZ_PNS1_23onesweep_lookback_stateEbbT6_jjT7_P12ihipStream_tbENKUlT_T0_SN_SS_E_clISG_SG_SI_SI_EEDaS16_S17_SN_SS_EUlS16_E_NS1_11comp_targetILNS1_3genE6ELNS1_11target_archE950ELNS1_3gpuE13ELNS1_3repE0EEENS1_47radix_sort_onesweep_sort_config_static_selectorELNS0_4arch9wavefront6targetE0EEEvSN_.num_agpr, 0
	.set _ZN7rocprim17ROCPRIM_400000_NS6detail17trampoline_kernelINS0_14default_configENS1_35radix_sort_onesweep_config_selectorIjN6thrust23THRUST_200600_302600_NS5tupleIffNS6_9null_typeES8_S8_S8_S8_S8_S8_S8_EEEEZZNS1_29radix_sort_onesweep_iterationIS3_Lb0ENS6_6detail15normal_iteratorINS6_10device_ptrIjEEEESG_NSD_INSE_IS9_EEEESI_jNS0_19identity_decomposerENS1_16block_id_wrapperIjLb0EEEEE10hipError_tT1_PNSt15iterator_traitsISN_E10value_typeET2_T3_PNSO_IST_E10value_typeET4_T5_PSY_SZ_PNS1_23onesweep_lookback_stateEbbT6_jjT7_P12ihipStream_tbENKUlT_T0_SN_SS_E_clISG_SG_SI_SI_EEDaS16_S17_SN_SS_EUlS16_E_NS1_11comp_targetILNS1_3genE6ELNS1_11target_archE950ELNS1_3gpuE13ELNS1_3repE0EEENS1_47radix_sort_onesweep_sort_config_static_selectorELNS0_4arch9wavefront6targetE0EEEvSN_.numbered_sgpr, 0
	.set _ZN7rocprim17ROCPRIM_400000_NS6detail17trampoline_kernelINS0_14default_configENS1_35radix_sort_onesweep_config_selectorIjN6thrust23THRUST_200600_302600_NS5tupleIffNS6_9null_typeES8_S8_S8_S8_S8_S8_S8_EEEEZZNS1_29radix_sort_onesweep_iterationIS3_Lb0ENS6_6detail15normal_iteratorINS6_10device_ptrIjEEEESG_NSD_INSE_IS9_EEEESI_jNS0_19identity_decomposerENS1_16block_id_wrapperIjLb0EEEEE10hipError_tT1_PNSt15iterator_traitsISN_E10value_typeET2_T3_PNSO_IST_E10value_typeET4_T5_PSY_SZ_PNS1_23onesweep_lookback_stateEbbT6_jjT7_P12ihipStream_tbENKUlT_T0_SN_SS_E_clISG_SG_SI_SI_EEDaS16_S17_SN_SS_EUlS16_E_NS1_11comp_targetILNS1_3genE6ELNS1_11target_archE950ELNS1_3gpuE13ELNS1_3repE0EEENS1_47radix_sort_onesweep_sort_config_static_selectorELNS0_4arch9wavefront6targetE0EEEvSN_.num_named_barrier, 0
	.set _ZN7rocprim17ROCPRIM_400000_NS6detail17trampoline_kernelINS0_14default_configENS1_35radix_sort_onesweep_config_selectorIjN6thrust23THRUST_200600_302600_NS5tupleIffNS6_9null_typeES8_S8_S8_S8_S8_S8_S8_EEEEZZNS1_29radix_sort_onesweep_iterationIS3_Lb0ENS6_6detail15normal_iteratorINS6_10device_ptrIjEEEESG_NSD_INSE_IS9_EEEESI_jNS0_19identity_decomposerENS1_16block_id_wrapperIjLb0EEEEE10hipError_tT1_PNSt15iterator_traitsISN_E10value_typeET2_T3_PNSO_IST_E10value_typeET4_T5_PSY_SZ_PNS1_23onesweep_lookback_stateEbbT6_jjT7_P12ihipStream_tbENKUlT_T0_SN_SS_E_clISG_SG_SI_SI_EEDaS16_S17_SN_SS_EUlS16_E_NS1_11comp_targetILNS1_3genE6ELNS1_11target_archE950ELNS1_3gpuE13ELNS1_3repE0EEENS1_47radix_sort_onesweep_sort_config_static_selectorELNS0_4arch9wavefront6targetE0EEEvSN_.private_seg_size, 0
	.set _ZN7rocprim17ROCPRIM_400000_NS6detail17trampoline_kernelINS0_14default_configENS1_35radix_sort_onesweep_config_selectorIjN6thrust23THRUST_200600_302600_NS5tupleIffNS6_9null_typeES8_S8_S8_S8_S8_S8_S8_EEEEZZNS1_29radix_sort_onesweep_iterationIS3_Lb0ENS6_6detail15normal_iteratorINS6_10device_ptrIjEEEESG_NSD_INSE_IS9_EEEESI_jNS0_19identity_decomposerENS1_16block_id_wrapperIjLb0EEEEE10hipError_tT1_PNSt15iterator_traitsISN_E10value_typeET2_T3_PNSO_IST_E10value_typeET4_T5_PSY_SZ_PNS1_23onesweep_lookback_stateEbbT6_jjT7_P12ihipStream_tbENKUlT_T0_SN_SS_E_clISG_SG_SI_SI_EEDaS16_S17_SN_SS_EUlS16_E_NS1_11comp_targetILNS1_3genE6ELNS1_11target_archE950ELNS1_3gpuE13ELNS1_3repE0EEENS1_47radix_sort_onesweep_sort_config_static_selectorELNS0_4arch9wavefront6targetE0EEEvSN_.uses_vcc, 0
	.set _ZN7rocprim17ROCPRIM_400000_NS6detail17trampoline_kernelINS0_14default_configENS1_35radix_sort_onesweep_config_selectorIjN6thrust23THRUST_200600_302600_NS5tupleIffNS6_9null_typeES8_S8_S8_S8_S8_S8_S8_EEEEZZNS1_29radix_sort_onesweep_iterationIS3_Lb0ENS6_6detail15normal_iteratorINS6_10device_ptrIjEEEESG_NSD_INSE_IS9_EEEESI_jNS0_19identity_decomposerENS1_16block_id_wrapperIjLb0EEEEE10hipError_tT1_PNSt15iterator_traitsISN_E10value_typeET2_T3_PNSO_IST_E10value_typeET4_T5_PSY_SZ_PNS1_23onesweep_lookback_stateEbbT6_jjT7_P12ihipStream_tbENKUlT_T0_SN_SS_E_clISG_SG_SI_SI_EEDaS16_S17_SN_SS_EUlS16_E_NS1_11comp_targetILNS1_3genE6ELNS1_11target_archE950ELNS1_3gpuE13ELNS1_3repE0EEENS1_47radix_sort_onesweep_sort_config_static_selectorELNS0_4arch9wavefront6targetE0EEEvSN_.uses_flat_scratch, 0
	.set _ZN7rocprim17ROCPRIM_400000_NS6detail17trampoline_kernelINS0_14default_configENS1_35radix_sort_onesweep_config_selectorIjN6thrust23THRUST_200600_302600_NS5tupleIffNS6_9null_typeES8_S8_S8_S8_S8_S8_S8_EEEEZZNS1_29radix_sort_onesweep_iterationIS3_Lb0ENS6_6detail15normal_iteratorINS6_10device_ptrIjEEEESG_NSD_INSE_IS9_EEEESI_jNS0_19identity_decomposerENS1_16block_id_wrapperIjLb0EEEEE10hipError_tT1_PNSt15iterator_traitsISN_E10value_typeET2_T3_PNSO_IST_E10value_typeET4_T5_PSY_SZ_PNS1_23onesweep_lookback_stateEbbT6_jjT7_P12ihipStream_tbENKUlT_T0_SN_SS_E_clISG_SG_SI_SI_EEDaS16_S17_SN_SS_EUlS16_E_NS1_11comp_targetILNS1_3genE6ELNS1_11target_archE950ELNS1_3gpuE13ELNS1_3repE0EEENS1_47radix_sort_onesweep_sort_config_static_selectorELNS0_4arch9wavefront6targetE0EEEvSN_.has_dyn_sized_stack, 0
	.set _ZN7rocprim17ROCPRIM_400000_NS6detail17trampoline_kernelINS0_14default_configENS1_35radix_sort_onesweep_config_selectorIjN6thrust23THRUST_200600_302600_NS5tupleIffNS6_9null_typeES8_S8_S8_S8_S8_S8_S8_EEEEZZNS1_29radix_sort_onesweep_iterationIS3_Lb0ENS6_6detail15normal_iteratorINS6_10device_ptrIjEEEESG_NSD_INSE_IS9_EEEESI_jNS0_19identity_decomposerENS1_16block_id_wrapperIjLb0EEEEE10hipError_tT1_PNSt15iterator_traitsISN_E10value_typeET2_T3_PNSO_IST_E10value_typeET4_T5_PSY_SZ_PNS1_23onesweep_lookback_stateEbbT6_jjT7_P12ihipStream_tbENKUlT_T0_SN_SS_E_clISG_SG_SI_SI_EEDaS16_S17_SN_SS_EUlS16_E_NS1_11comp_targetILNS1_3genE6ELNS1_11target_archE950ELNS1_3gpuE13ELNS1_3repE0EEENS1_47radix_sort_onesweep_sort_config_static_selectorELNS0_4arch9wavefront6targetE0EEEvSN_.has_recursion, 0
	.set _ZN7rocprim17ROCPRIM_400000_NS6detail17trampoline_kernelINS0_14default_configENS1_35radix_sort_onesweep_config_selectorIjN6thrust23THRUST_200600_302600_NS5tupleIffNS6_9null_typeES8_S8_S8_S8_S8_S8_S8_EEEEZZNS1_29radix_sort_onesweep_iterationIS3_Lb0ENS6_6detail15normal_iteratorINS6_10device_ptrIjEEEESG_NSD_INSE_IS9_EEEESI_jNS0_19identity_decomposerENS1_16block_id_wrapperIjLb0EEEEE10hipError_tT1_PNSt15iterator_traitsISN_E10value_typeET2_T3_PNSO_IST_E10value_typeET4_T5_PSY_SZ_PNS1_23onesweep_lookback_stateEbbT6_jjT7_P12ihipStream_tbENKUlT_T0_SN_SS_E_clISG_SG_SI_SI_EEDaS16_S17_SN_SS_EUlS16_E_NS1_11comp_targetILNS1_3genE6ELNS1_11target_archE950ELNS1_3gpuE13ELNS1_3repE0EEENS1_47radix_sort_onesweep_sort_config_static_selectorELNS0_4arch9wavefront6targetE0EEEvSN_.has_indirect_call, 0
	.section	.AMDGPU.csdata,"",@progbits
; Kernel info:
; codeLenInByte = 0
; TotalNumSgprs: 0
; NumVgprs: 0
; ScratchSize: 0
; MemoryBound: 0
; FloatMode: 240
; IeeeMode: 1
; LDSByteSize: 0 bytes/workgroup (compile time only)
; SGPRBlocks: 0
; VGPRBlocks: 0
; NumSGPRsForWavesPerEU: 1
; NumVGPRsForWavesPerEU: 1
; Occupancy: 16
; WaveLimiterHint : 0
; COMPUTE_PGM_RSRC2:SCRATCH_EN: 0
; COMPUTE_PGM_RSRC2:USER_SGPR: 2
; COMPUTE_PGM_RSRC2:TRAP_HANDLER: 0
; COMPUTE_PGM_RSRC2:TGID_X_EN: 1
; COMPUTE_PGM_RSRC2:TGID_Y_EN: 0
; COMPUTE_PGM_RSRC2:TGID_Z_EN: 0
; COMPUTE_PGM_RSRC2:TIDIG_COMP_CNT: 0
	.section	.text._ZN7rocprim17ROCPRIM_400000_NS6detail17trampoline_kernelINS0_14default_configENS1_35radix_sort_onesweep_config_selectorIjN6thrust23THRUST_200600_302600_NS5tupleIffNS6_9null_typeES8_S8_S8_S8_S8_S8_S8_EEEEZZNS1_29radix_sort_onesweep_iterationIS3_Lb0ENS6_6detail15normal_iteratorINS6_10device_ptrIjEEEESG_NSD_INSE_IS9_EEEESI_jNS0_19identity_decomposerENS1_16block_id_wrapperIjLb0EEEEE10hipError_tT1_PNSt15iterator_traitsISN_E10value_typeET2_T3_PNSO_IST_E10value_typeET4_T5_PSY_SZ_PNS1_23onesweep_lookback_stateEbbT6_jjT7_P12ihipStream_tbENKUlT_T0_SN_SS_E_clISG_SG_SI_SI_EEDaS16_S17_SN_SS_EUlS16_E_NS1_11comp_targetILNS1_3genE5ELNS1_11target_archE942ELNS1_3gpuE9ELNS1_3repE0EEENS1_47radix_sort_onesweep_sort_config_static_selectorELNS0_4arch9wavefront6targetE0EEEvSN_,"axG",@progbits,_ZN7rocprim17ROCPRIM_400000_NS6detail17trampoline_kernelINS0_14default_configENS1_35radix_sort_onesweep_config_selectorIjN6thrust23THRUST_200600_302600_NS5tupleIffNS6_9null_typeES8_S8_S8_S8_S8_S8_S8_EEEEZZNS1_29radix_sort_onesweep_iterationIS3_Lb0ENS6_6detail15normal_iteratorINS6_10device_ptrIjEEEESG_NSD_INSE_IS9_EEEESI_jNS0_19identity_decomposerENS1_16block_id_wrapperIjLb0EEEEE10hipError_tT1_PNSt15iterator_traitsISN_E10value_typeET2_T3_PNSO_IST_E10value_typeET4_T5_PSY_SZ_PNS1_23onesweep_lookback_stateEbbT6_jjT7_P12ihipStream_tbENKUlT_T0_SN_SS_E_clISG_SG_SI_SI_EEDaS16_S17_SN_SS_EUlS16_E_NS1_11comp_targetILNS1_3genE5ELNS1_11target_archE942ELNS1_3gpuE9ELNS1_3repE0EEENS1_47radix_sort_onesweep_sort_config_static_selectorELNS0_4arch9wavefront6targetE0EEEvSN_,comdat
	.protected	_ZN7rocprim17ROCPRIM_400000_NS6detail17trampoline_kernelINS0_14default_configENS1_35radix_sort_onesweep_config_selectorIjN6thrust23THRUST_200600_302600_NS5tupleIffNS6_9null_typeES8_S8_S8_S8_S8_S8_S8_EEEEZZNS1_29radix_sort_onesweep_iterationIS3_Lb0ENS6_6detail15normal_iteratorINS6_10device_ptrIjEEEESG_NSD_INSE_IS9_EEEESI_jNS0_19identity_decomposerENS1_16block_id_wrapperIjLb0EEEEE10hipError_tT1_PNSt15iterator_traitsISN_E10value_typeET2_T3_PNSO_IST_E10value_typeET4_T5_PSY_SZ_PNS1_23onesweep_lookback_stateEbbT6_jjT7_P12ihipStream_tbENKUlT_T0_SN_SS_E_clISG_SG_SI_SI_EEDaS16_S17_SN_SS_EUlS16_E_NS1_11comp_targetILNS1_3genE5ELNS1_11target_archE942ELNS1_3gpuE9ELNS1_3repE0EEENS1_47radix_sort_onesweep_sort_config_static_selectorELNS0_4arch9wavefront6targetE0EEEvSN_ ; -- Begin function _ZN7rocprim17ROCPRIM_400000_NS6detail17trampoline_kernelINS0_14default_configENS1_35radix_sort_onesweep_config_selectorIjN6thrust23THRUST_200600_302600_NS5tupleIffNS6_9null_typeES8_S8_S8_S8_S8_S8_S8_EEEEZZNS1_29radix_sort_onesweep_iterationIS3_Lb0ENS6_6detail15normal_iteratorINS6_10device_ptrIjEEEESG_NSD_INSE_IS9_EEEESI_jNS0_19identity_decomposerENS1_16block_id_wrapperIjLb0EEEEE10hipError_tT1_PNSt15iterator_traitsISN_E10value_typeET2_T3_PNSO_IST_E10value_typeET4_T5_PSY_SZ_PNS1_23onesweep_lookback_stateEbbT6_jjT7_P12ihipStream_tbENKUlT_T0_SN_SS_E_clISG_SG_SI_SI_EEDaS16_S17_SN_SS_EUlS16_E_NS1_11comp_targetILNS1_3genE5ELNS1_11target_archE942ELNS1_3gpuE9ELNS1_3repE0EEENS1_47radix_sort_onesweep_sort_config_static_selectorELNS0_4arch9wavefront6targetE0EEEvSN_
	.globl	_ZN7rocprim17ROCPRIM_400000_NS6detail17trampoline_kernelINS0_14default_configENS1_35radix_sort_onesweep_config_selectorIjN6thrust23THRUST_200600_302600_NS5tupleIffNS6_9null_typeES8_S8_S8_S8_S8_S8_S8_EEEEZZNS1_29radix_sort_onesweep_iterationIS3_Lb0ENS6_6detail15normal_iteratorINS6_10device_ptrIjEEEESG_NSD_INSE_IS9_EEEESI_jNS0_19identity_decomposerENS1_16block_id_wrapperIjLb0EEEEE10hipError_tT1_PNSt15iterator_traitsISN_E10value_typeET2_T3_PNSO_IST_E10value_typeET4_T5_PSY_SZ_PNS1_23onesweep_lookback_stateEbbT6_jjT7_P12ihipStream_tbENKUlT_T0_SN_SS_E_clISG_SG_SI_SI_EEDaS16_S17_SN_SS_EUlS16_E_NS1_11comp_targetILNS1_3genE5ELNS1_11target_archE942ELNS1_3gpuE9ELNS1_3repE0EEENS1_47radix_sort_onesweep_sort_config_static_selectorELNS0_4arch9wavefront6targetE0EEEvSN_
	.p2align	8
	.type	_ZN7rocprim17ROCPRIM_400000_NS6detail17trampoline_kernelINS0_14default_configENS1_35radix_sort_onesweep_config_selectorIjN6thrust23THRUST_200600_302600_NS5tupleIffNS6_9null_typeES8_S8_S8_S8_S8_S8_S8_EEEEZZNS1_29radix_sort_onesweep_iterationIS3_Lb0ENS6_6detail15normal_iteratorINS6_10device_ptrIjEEEESG_NSD_INSE_IS9_EEEESI_jNS0_19identity_decomposerENS1_16block_id_wrapperIjLb0EEEEE10hipError_tT1_PNSt15iterator_traitsISN_E10value_typeET2_T3_PNSO_IST_E10value_typeET4_T5_PSY_SZ_PNS1_23onesweep_lookback_stateEbbT6_jjT7_P12ihipStream_tbENKUlT_T0_SN_SS_E_clISG_SG_SI_SI_EEDaS16_S17_SN_SS_EUlS16_E_NS1_11comp_targetILNS1_3genE5ELNS1_11target_archE942ELNS1_3gpuE9ELNS1_3repE0EEENS1_47radix_sort_onesweep_sort_config_static_selectorELNS0_4arch9wavefront6targetE0EEEvSN_,@function
_ZN7rocprim17ROCPRIM_400000_NS6detail17trampoline_kernelINS0_14default_configENS1_35radix_sort_onesweep_config_selectorIjN6thrust23THRUST_200600_302600_NS5tupleIffNS6_9null_typeES8_S8_S8_S8_S8_S8_S8_EEEEZZNS1_29radix_sort_onesweep_iterationIS3_Lb0ENS6_6detail15normal_iteratorINS6_10device_ptrIjEEEESG_NSD_INSE_IS9_EEEESI_jNS0_19identity_decomposerENS1_16block_id_wrapperIjLb0EEEEE10hipError_tT1_PNSt15iterator_traitsISN_E10value_typeET2_T3_PNSO_IST_E10value_typeET4_T5_PSY_SZ_PNS1_23onesweep_lookback_stateEbbT6_jjT7_P12ihipStream_tbENKUlT_T0_SN_SS_E_clISG_SG_SI_SI_EEDaS16_S17_SN_SS_EUlS16_E_NS1_11comp_targetILNS1_3genE5ELNS1_11target_archE942ELNS1_3gpuE9ELNS1_3repE0EEENS1_47radix_sort_onesweep_sort_config_static_selectorELNS0_4arch9wavefront6targetE0EEEvSN_: ; @_ZN7rocprim17ROCPRIM_400000_NS6detail17trampoline_kernelINS0_14default_configENS1_35radix_sort_onesweep_config_selectorIjN6thrust23THRUST_200600_302600_NS5tupleIffNS6_9null_typeES8_S8_S8_S8_S8_S8_S8_EEEEZZNS1_29radix_sort_onesweep_iterationIS3_Lb0ENS6_6detail15normal_iteratorINS6_10device_ptrIjEEEESG_NSD_INSE_IS9_EEEESI_jNS0_19identity_decomposerENS1_16block_id_wrapperIjLb0EEEEE10hipError_tT1_PNSt15iterator_traitsISN_E10value_typeET2_T3_PNSO_IST_E10value_typeET4_T5_PSY_SZ_PNS1_23onesweep_lookback_stateEbbT6_jjT7_P12ihipStream_tbENKUlT_T0_SN_SS_E_clISG_SG_SI_SI_EEDaS16_S17_SN_SS_EUlS16_E_NS1_11comp_targetILNS1_3genE5ELNS1_11target_archE942ELNS1_3gpuE9ELNS1_3repE0EEENS1_47radix_sort_onesweep_sort_config_static_selectorELNS0_4arch9wavefront6targetE0EEEvSN_
; %bb.0:
	.section	.rodata,"a",@progbits
	.p2align	6, 0x0
	.amdhsa_kernel _ZN7rocprim17ROCPRIM_400000_NS6detail17trampoline_kernelINS0_14default_configENS1_35radix_sort_onesweep_config_selectorIjN6thrust23THRUST_200600_302600_NS5tupleIffNS6_9null_typeES8_S8_S8_S8_S8_S8_S8_EEEEZZNS1_29radix_sort_onesweep_iterationIS3_Lb0ENS6_6detail15normal_iteratorINS6_10device_ptrIjEEEESG_NSD_INSE_IS9_EEEESI_jNS0_19identity_decomposerENS1_16block_id_wrapperIjLb0EEEEE10hipError_tT1_PNSt15iterator_traitsISN_E10value_typeET2_T3_PNSO_IST_E10value_typeET4_T5_PSY_SZ_PNS1_23onesweep_lookback_stateEbbT6_jjT7_P12ihipStream_tbENKUlT_T0_SN_SS_E_clISG_SG_SI_SI_EEDaS16_S17_SN_SS_EUlS16_E_NS1_11comp_targetILNS1_3genE5ELNS1_11target_archE942ELNS1_3gpuE9ELNS1_3repE0EEENS1_47radix_sort_onesweep_sort_config_static_selectorELNS0_4arch9wavefront6targetE0EEEvSN_
		.amdhsa_group_segment_fixed_size 0
		.amdhsa_private_segment_fixed_size 0
		.amdhsa_kernarg_size 88
		.amdhsa_user_sgpr_count 2
		.amdhsa_user_sgpr_dispatch_ptr 0
		.amdhsa_user_sgpr_queue_ptr 0
		.amdhsa_user_sgpr_kernarg_segment_ptr 1
		.amdhsa_user_sgpr_dispatch_id 0
		.amdhsa_user_sgpr_private_segment_size 0
		.amdhsa_wavefront_size32 1
		.amdhsa_uses_dynamic_stack 0
		.amdhsa_enable_private_segment 0
		.amdhsa_system_sgpr_workgroup_id_x 1
		.amdhsa_system_sgpr_workgroup_id_y 0
		.amdhsa_system_sgpr_workgroup_id_z 0
		.amdhsa_system_sgpr_workgroup_info 0
		.amdhsa_system_vgpr_workitem_id 0
		.amdhsa_next_free_vgpr 1
		.amdhsa_next_free_sgpr 1
		.amdhsa_reserve_vcc 0
		.amdhsa_float_round_mode_32 0
		.amdhsa_float_round_mode_16_64 0
		.amdhsa_float_denorm_mode_32 3
		.amdhsa_float_denorm_mode_16_64 3
		.amdhsa_fp16_overflow 0
		.amdhsa_workgroup_processor_mode 1
		.amdhsa_memory_ordered 1
		.amdhsa_forward_progress 1
		.amdhsa_inst_pref_size 0
		.amdhsa_round_robin_scheduling 0
		.amdhsa_exception_fp_ieee_invalid_op 0
		.amdhsa_exception_fp_denorm_src 0
		.amdhsa_exception_fp_ieee_div_zero 0
		.amdhsa_exception_fp_ieee_overflow 0
		.amdhsa_exception_fp_ieee_underflow 0
		.amdhsa_exception_fp_ieee_inexact 0
		.amdhsa_exception_int_div_zero 0
	.end_amdhsa_kernel
	.section	.text._ZN7rocprim17ROCPRIM_400000_NS6detail17trampoline_kernelINS0_14default_configENS1_35radix_sort_onesweep_config_selectorIjN6thrust23THRUST_200600_302600_NS5tupleIffNS6_9null_typeES8_S8_S8_S8_S8_S8_S8_EEEEZZNS1_29radix_sort_onesweep_iterationIS3_Lb0ENS6_6detail15normal_iteratorINS6_10device_ptrIjEEEESG_NSD_INSE_IS9_EEEESI_jNS0_19identity_decomposerENS1_16block_id_wrapperIjLb0EEEEE10hipError_tT1_PNSt15iterator_traitsISN_E10value_typeET2_T3_PNSO_IST_E10value_typeET4_T5_PSY_SZ_PNS1_23onesweep_lookback_stateEbbT6_jjT7_P12ihipStream_tbENKUlT_T0_SN_SS_E_clISG_SG_SI_SI_EEDaS16_S17_SN_SS_EUlS16_E_NS1_11comp_targetILNS1_3genE5ELNS1_11target_archE942ELNS1_3gpuE9ELNS1_3repE0EEENS1_47radix_sort_onesweep_sort_config_static_selectorELNS0_4arch9wavefront6targetE0EEEvSN_,"axG",@progbits,_ZN7rocprim17ROCPRIM_400000_NS6detail17trampoline_kernelINS0_14default_configENS1_35radix_sort_onesweep_config_selectorIjN6thrust23THRUST_200600_302600_NS5tupleIffNS6_9null_typeES8_S8_S8_S8_S8_S8_S8_EEEEZZNS1_29radix_sort_onesweep_iterationIS3_Lb0ENS6_6detail15normal_iteratorINS6_10device_ptrIjEEEESG_NSD_INSE_IS9_EEEESI_jNS0_19identity_decomposerENS1_16block_id_wrapperIjLb0EEEEE10hipError_tT1_PNSt15iterator_traitsISN_E10value_typeET2_T3_PNSO_IST_E10value_typeET4_T5_PSY_SZ_PNS1_23onesweep_lookback_stateEbbT6_jjT7_P12ihipStream_tbENKUlT_T0_SN_SS_E_clISG_SG_SI_SI_EEDaS16_S17_SN_SS_EUlS16_E_NS1_11comp_targetILNS1_3genE5ELNS1_11target_archE942ELNS1_3gpuE9ELNS1_3repE0EEENS1_47radix_sort_onesweep_sort_config_static_selectorELNS0_4arch9wavefront6targetE0EEEvSN_,comdat
.Lfunc_end204:
	.size	_ZN7rocprim17ROCPRIM_400000_NS6detail17trampoline_kernelINS0_14default_configENS1_35radix_sort_onesweep_config_selectorIjN6thrust23THRUST_200600_302600_NS5tupleIffNS6_9null_typeES8_S8_S8_S8_S8_S8_S8_EEEEZZNS1_29radix_sort_onesweep_iterationIS3_Lb0ENS6_6detail15normal_iteratorINS6_10device_ptrIjEEEESG_NSD_INSE_IS9_EEEESI_jNS0_19identity_decomposerENS1_16block_id_wrapperIjLb0EEEEE10hipError_tT1_PNSt15iterator_traitsISN_E10value_typeET2_T3_PNSO_IST_E10value_typeET4_T5_PSY_SZ_PNS1_23onesweep_lookback_stateEbbT6_jjT7_P12ihipStream_tbENKUlT_T0_SN_SS_E_clISG_SG_SI_SI_EEDaS16_S17_SN_SS_EUlS16_E_NS1_11comp_targetILNS1_3genE5ELNS1_11target_archE942ELNS1_3gpuE9ELNS1_3repE0EEENS1_47radix_sort_onesweep_sort_config_static_selectorELNS0_4arch9wavefront6targetE0EEEvSN_, .Lfunc_end204-_ZN7rocprim17ROCPRIM_400000_NS6detail17trampoline_kernelINS0_14default_configENS1_35radix_sort_onesweep_config_selectorIjN6thrust23THRUST_200600_302600_NS5tupleIffNS6_9null_typeES8_S8_S8_S8_S8_S8_S8_EEEEZZNS1_29radix_sort_onesweep_iterationIS3_Lb0ENS6_6detail15normal_iteratorINS6_10device_ptrIjEEEESG_NSD_INSE_IS9_EEEESI_jNS0_19identity_decomposerENS1_16block_id_wrapperIjLb0EEEEE10hipError_tT1_PNSt15iterator_traitsISN_E10value_typeET2_T3_PNSO_IST_E10value_typeET4_T5_PSY_SZ_PNS1_23onesweep_lookback_stateEbbT6_jjT7_P12ihipStream_tbENKUlT_T0_SN_SS_E_clISG_SG_SI_SI_EEDaS16_S17_SN_SS_EUlS16_E_NS1_11comp_targetILNS1_3genE5ELNS1_11target_archE942ELNS1_3gpuE9ELNS1_3repE0EEENS1_47radix_sort_onesweep_sort_config_static_selectorELNS0_4arch9wavefront6targetE0EEEvSN_
                                        ; -- End function
	.set _ZN7rocprim17ROCPRIM_400000_NS6detail17trampoline_kernelINS0_14default_configENS1_35radix_sort_onesweep_config_selectorIjN6thrust23THRUST_200600_302600_NS5tupleIffNS6_9null_typeES8_S8_S8_S8_S8_S8_S8_EEEEZZNS1_29radix_sort_onesweep_iterationIS3_Lb0ENS6_6detail15normal_iteratorINS6_10device_ptrIjEEEESG_NSD_INSE_IS9_EEEESI_jNS0_19identity_decomposerENS1_16block_id_wrapperIjLb0EEEEE10hipError_tT1_PNSt15iterator_traitsISN_E10value_typeET2_T3_PNSO_IST_E10value_typeET4_T5_PSY_SZ_PNS1_23onesweep_lookback_stateEbbT6_jjT7_P12ihipStream_tbENKUlT_T0_SN_SS_E_clISG_SG_SI_SI_EEDaS16_S17_SN_SS_EUlS16_E_NS1_11comp_targetILNS1_3genE5ELNS1_11target_archE942ELNS1_3gpuE9ELNS1_3repE0EEENS1_47radix_sort_onesweep_sort_config_static_selectorELNS0_4arch9wavefront6targetE0EEEvSN_.num_vgpr, 0
	.set _ZN7rocprim17ROCPRIM_400000_NS6detail17trampoline_kernelINS0_14default_configENS1_35radix_sort_onesweep_config_selectorIjN6thrust23THRUST_200600_302600_NS5tupleIffNS6_9null_typeES8_S8_S8_S8_S8_S8_S8_EEEEZZNS1_29radix_sort_onesweep_iterationIS3_Lb0ENS6_6detail15normal_iteratorINS6_10device_ptrIjEEEESG_NSD_INSE_IS9_EEEESI_jNS0_19identity_decomposerENS1_16block_id_wrapperIjLb0EEEEE10hipError_tT1_PNSt15iterator_traitsISN_E10value_typeET2_T3_PNSO_IST_E10value_typeET4_T5_PSY_SZ_PNS1_23onesweep_lookback_stateEbbT6_jjT7_P12ihipStream_tbENKUlT_T0_SN_SS_E_clISG_SG_SI_SI_EEDaS16_S17_SN_SS_EUlS16_E_NS1_11comp_targetILNS1_3genE5ELNS1_11target_archE942ELNS1_3gpuE9ELNS1_3repE0EEENS1_47radix_sort_onesweep_sort_config_static_selectorELNS0_4arch9wavefront6targetE0EEEvSN_.num_agpr, 0
	.set _ZN7rocprim17ROCPRIM_400000_NS6detail17trampoline_kernelINS0_14default_configENS1_35radix_sort_onesweep_config_selectorIjN6thrust23THRUST_200600_302600_NS5tupleIffNS6_9null_typeES8_S8_S8_S8_S8_S8_S8_EEEEZZNS1_29radix_sort_onesweep_iterationIS3_Lb0ENS6_6detail15normal_iteratorINS6_10device_ptrIjEEEESG_NSD_INSE_IS9_EEEESI_jNS0_19identity_decomposerENS1_16block_id_wrapperIjLb0EEEEE10hipError_tT1_PNSt15iterator_traitsISN_E10value_typeET2_T3_PNSO_IST_E10value_typeET4_T5_PSY_SZ_PNS1_23onesweep_lookback_stateEbbT6_jjT7_P12ihipStream_tbENKUlT_T0_SN_SS_E_clISG_SG_SI_SI_EEDaS16_S17_SN_SS_EUlS16_E_NS1_11comp_targetILNS1_3genE5ELNS1_11target_archE942ELNS1_3gpuE9ELNS1_3repE0EEENS1_47radix_sort_onesweep_sort_config_static_selectorELNS0_4arch9wavefront6targetE0EEEvSN_.numbered_sgpr, 0
	.set _ZN7rocprim17ROCPRIM_400000_NS6detail17trampoline_kernelINS0_14default_configENS1_35radix_sort_onesweep_config_selectorIjN6thrust23THRUST_200600_302600_NS5tupleIffNS6_9null_typeES8_S8_S8_S8_S8_S8_S8_EEEEZZNS1_29radix_sort_onesweep_iterationIS3_Lb0ENS6_6detail15normal_iteratorINS6_10device_ptrIjEEEESG_NSD_INSE_IS9_EEEESI_jNS0_19identity_decomposerENS1_16block_id_wrapperIjLb0EEEEE10hipError_tT1_PNSt15iterator_traitsISN_E10value_typeET2_T3_PNSO_IST_E10value_typeET4_T5_PSY_SZ_PNS1_23onesweep_lookback_stateEbbT6_jjT7_P12ihipStream_tbENKUlT_T0_SN_SS_E_clISG_SG_SI_SI_EEDaS16_S17_SN_SS_EUlS16_E_NS1_11comp_targetILNS1_3genE5ELNS1_11target_archE942ELNS1_3gpuE9ELNS1_3repE0EEENS1_47radix_sort_onesweep_sort_config_static_selectorELNS0_4arch9wavefront6targetE0EEEvSN_.num_named_barrier, 0
	.set _ZN7rocprim17ROCPRIM_400000_NS6detail17trampoline_kernelINS0_14default_configENS1_35radix_sort_onesweep_config_selectorIjN6thrust23THRUST_200600_302600_NS5tupleIffNS6_9null_typeES8_S8_S8_S8_S8_S8_S8_EEEEZZNS1_29radix_sort_onesweep_iterationIS3_Lb0ENS6_6detail15normal_iteratorINS6_10device_ptrIjEEEESG_NSD_INSE_IS9_EEEESI_jNS0_19identity_decomposerENS1_16block_id_wrapperIjLb0EEEEE10hipError_tT1_PNSt15iterator_traitsISN_E10value_typeET2_T3_PNSO_IST_E10value_typeET4_T5_PSY_SZ_PNS1_23onesweep_lookback_stateEbbT6_jjT7_P12ihipStream_tbENKUlT_T0_SN_SS_E_clISG_SG_SI_SI_EEDaS16_S17_SN_SS_EUlS16_E_NS1_11comp_targetILNS1_3genE5ELNS1_11target_archE942ELNS1_3gpuE9ELNS1_3repE0EEENS1_47radix_sort_onesweep_sort_config_static_selectorELNS0_4arch9wavefront6targetE0EEEvSN_.private_seg_size, 0
	.set _ZN7rocprim17ROCPRIM_400000_NS6detail17trampoline_kernelINS0_14default_configENS1_35radix_sort_onesweep_config_selectorIjN6thrust23THRUST_200600_302600_NS5tupleIffNS6_9null_typeES8_S8_S8_S8_S8_S8_S8_EEEEZZNS1_29radix_sort_onesweep_iterationIS3_Lb0ENS6_6detail15normal_iteratorINS6_10device_ptrIjEEEESG_NSD_INSE_IS9_EEEESI_jNS0_19identity_decomposerENS1_16block_id_wrapperIjLb0EEEEE10hipError_tT1_PNSt15iterator_traitsISN_E10value_typeET2_T3_PNSO_IST_E10value_typeET4_T5_PSY_SZ_PNS1_23onesweep_lookback_stateEbbT6_jjT7_P12ihipStream_tbENKUlT_T0_SN_SS_E_clISG_SG_SI_SI_EEDaS16_S17_SN_SS_EUlS16_E_NS1_11comp_targetILNS1_3genE5ELNS1_11target_archE942ELNS1_3gpuE9ELNS1_3repE0EEENS1_47radix_sort_onesweep_sort_config_static_selectorELNS0_4arch9wavefront6targetE0EEEvSN_.uses_vcc, 0
	.set _ZN7rocprim17ROCPRIM_400000_NS6detail17trampoline_kernelINS0_14default_configENS1_35radix_sort_onesweep_config_selectorIjN6thrust23THRUST_200600_302600_NS5tupleIffNS6_9null_typeES8_S8_S8_S8_S8_S8_S8_EEEEZZNS1_29radix_sort_onesweep_iterationIS3_Lb0ENS6_6detail15normal_iteratorINS6_10device_ptrIjEEEESG_NSD_INSE_IS9_EEEESI_jNS0_19identity_decomposerENS1_16block_id_wrapperIjLb0EEEEE10hipError_tT1_PNSt15iterator_traitsISN_E10value_typeET2_T3_PNSO_IST_E10value_typeET4_T5_PSY_SZ_PNS1_23onesweep_lookback_stateEbbT6_jjT7_P12ihipStream_tbENKUlT_T0_SN_SS_E_clISG_SG_SI_SI_EEDaS16_S17_SN_SS_EUlS16_E_NS1_11comp_targetILNS1_3genE5ELNS1_11target_archE942ELNS1_3gpuE9ELNS1_3repE0EEENS1_47radix_sort_onesweep_sort_config_static_selectorELNS0_4arch9wavefront6targetE0EEEvSN_.uses_flat_scratch, 0
	.set _ZN7rocprim17ROCPRIM_400000_NS6detail17trampoline_kernelINS0_14default_configENS1_35radix_sort_onesweep_config_selectorIjN6thrust23THRUST_200600_302600_NS5tupleIffNS6_9null_typeES8_S8_S8_S8_S8_S8_S8_EEEEZZNS1_29radix_sort_onesweep_iterationIS3_Lb0ENS6_6detail15normal_iteratorINS6_10device_ptrIjEEEESG_NSD_INSE_IS9_EEEESI_jNS0_19identity_decomposerENS1_16block_id_wrapperIjLb0EEEEE10hipError_tT1_PNSt15iterator_traitsISN_E10value_typeET2_T3_PNSO_IST_E10value_typeET4_T5_PSY_SZ_PNS1_23onesweep_lookback_stateEbbT6_jjT7_P12ihipStream_tbENKUlT_T0_SN_SS_E_clISG_SG_SI_SI_EEDaS16_S17_SN_SS_EUlS16_E_NS1_11comp_targetILNS1_3genE5ELNS1_11target_archE942ELNS1_3gpuE9ELNS1_3repE0EEENS1_47radix_sort_onesweep_sort_config_static_selectorELNS0_4arch9wavefront6targetE0EEEvSN_.has_dyn_sized_stack, 0
	.set _ZN7rocprim17ROCPRIM_400000_NS6detail17trampoline_kernelINS0_14default_configENS1_35radix_sort_onesweep_config_selectorIjN6thrust23THRUST_200600_302600_NS5tupleIffNS6_9null_typeES8_S8_S8_S8_S8_S8_S8_EEEEZZNS1_29radix_sort_onesweep_iterationIS3_Lb0ENS6_6detail15normal_iteratorINS6_10device_ptrIjEEEESG_NSD_INSE_IS9_EEEESI_jNS0_19identity_decomposerENS1_16block_id_wrapperIjLb0EEEEE10hipError_tT1_PNSt15iterator_traitsISN_E10value_typeET2_T3_PNSO_IST_E10value_typeET4_T5_PSY_SZ_PNS1_23onesweep_lookback_stateEbbT6_jjT7_P12ihipStream_tbENKUlT_T0_SN_SS_E_clISG_SG_SI_SI_EEDaS16_S17_SN_SS_EUlS16_E_NS1_11comp_targetILNS1_3genE5ELNS1_11target_archE942ELNS1_3gpuE9ELNS1_3repE0EEENS1_47radix_sort_onesweep_sort_config_static_selectorELNS0_4arch9wavefront6targetE0EEEvSN_.has_recursion, 0
	.set _ZN7rocprim17ROCPRIM_400000_NS6detail17trampoline_kernelINS0_14default_configENS1_35radix_sort_onesweep_config_selectorIjN6thrust23THRUST_200600_302600_NS5tupleIffNS6_9null_typeES8_S8_S8_S8_S8_S8_S8_EEEEZZNS1_29radix_sort_onesweep_iterationIS3_Lb0ENS6_6detail15normal_iteratorINS6_10device_ptrIjEEEESG_NSD_INSE_IS9_EEEESI_jNS0_19identity_decomposerENS1_16block_id_wrapperIjLb0EEEEE10hipError_tT1_PNSt15iterator_traitsISN_E10value_typeET2_T3_PNSO_IST_E10value_typeET4_T5_PSY_SZ_PNS1_23onesweep_lookback_stateEbbT6_jjT7_P12ihipStream_tbENKUlT_T0_SN_SS_E_clISG_SG_SI_SI_EEDaS16_S17_SN_SS_EUlS16_E_NS1_11comp_targetILNS1_3genE5ELNS1_11target_archE942ELNS1_3gpuE9ELNS1_3repE0EEENS1_47radix_sort_onesweep_sort_config_static_selectorELNS0_4arch9wavefront6targetE0EEEvSN_.has_indirect_call, 0
	.section	.AMDGPU.csdata,"",@progbits
; Kernel info:
; codeLenInByte = 0
; TotalNumSgprs: 0
; NumVgprs: 0
; ScratchSize: 0
; MemoryBound: 0
; FloatMode: 240
; IeeeMode: 1
; LDSByteSize: 0 bytes/workgroup (compile time only)
; SGPRBlocks: 0
; VGPRBlocks: 0
; NumSGPRsForWavesPerEU: 1
; NumVGPRsForWavesPerEU: 1
; Occupancy: 16
; WaveLimiterHint : 0
; COMPUTE_PGM_RSRC2:SCRATCH_EN: 0
; COMPUTE_PGM_RSRC2:USER_SGPR: 2
; COMPUTE_PGM_RSRC2:TRAP_HANDLER: 0
; COMPUTE_PGM_RSRC2:TGID_X_EN: 1
; COMPUTE_PGM_RSRC2:TGID_Y_EN: 0
; COMPUTE_PGM_RSRC2:TGID_Z_EN: 0
; COMPUTE_PGM_RSRC2:TIDIG_COMP_CNT: 0
	.section	.text._ZN7rocprim17ROCPRIM_400000_NS6detail17trampoline_kernelINS0_14default_configENS1_35radix_sort_onesweep_config_selectorIjN6thrust23THRUST_200600_302600_NS5tupleIffNS6_9null_typeES8_S8_S8_S8_S8_S8_S8_EEEEZZNS1_29radix_sort_onesweep_iterationIS3_Lb0ENS6_6detail15normal_iteratorINS6_10device_ptrIjEEEESG_NSD_INSE_IS9_EEEESI_jNS0_19identity_decomposerENS1_16block_id_wrapperIjLb0EEEEE10hipError_tT1_PNSt15iterator_traitsISN_E10value_typeET2_T3_PNSO_IST_E10value_typeET4_T5_PSY_SZ_PNS1_23onesweep_lookback_stateEbbT6_jjT7_P12ihipStream_tbENKUlT_T0_SN_SS_E_clISG_SG_SI_SI_EEDaS16_S17_SN_SS_EUlS16_E_NS1_11comp_targetILNS1_3genE2ELNS1_11target_archE906ELNS1_3gpuE6ELNS1_3repE0EEENS1_47radix_sort_onesweep_sort_config_static_selectorELNS0_4arch9wavefront6targetE0EEEvSN_,"axG",@progbits,_ZN7rocprim17ROCPRIM_400000_NS6detail17trampoline_kernelINS0_14default_configENS1_35radix_sort_onesweep_config_selectorIjN6thrust23THRUST_200600_302600_NS5tupleIffNS6_9null_typeES8_S8_S8_S8_S8_S8_S8_EEEEZZNS1_29radix_sort_onesweep_iterationIS3_Lb0ENS6_6detail15normal_iteratorINS6_10device_ptrIjEEEESG_NSD_INSE_IS9_EEEESI_jNS0_19identity_decomposerENS1_16block_id_wrapperIjLb0EEEEE10hipError_tT1_PNSt15iterator_traitsISN_E10value_typeET2_T3_PNSO_IST_E10value_typeET4_T5_PSY_SZ_PNS1_23onesweep_lookback_stateEbbT6_jjT7_P12ihipStream_tbENKUlT_T0_SN_SS_E_clISG_SG_SI_SI_EEDaS16_S17_SN_SS_EUlS16_E_NS1_11comp_targetILNS1_3genE2ELNS1_11target_archE906ELNS1_3gpuE6ELNS1_3repE0EEENS1_47radix_sort_onesweep_sort_config_static_selectorELNS0_4arch9wavefront6targetE0EEEvSN_,comdat
	.protected	_ZN7rocprim17ROCPRIM_400000_NS6detail17trampoline_kernelINS0_14default_configENS1_35radix_sort_onesweep_config_selectorIjN6thrust23THRUST_200600_302600_NS5tupleIffNS6_9null_typeES8_S8_S8_S8_S8_S8_S8_EEEEZZNS1_29radix_sort_onesweep_iterationIS3_Lb0ENS6_6detail15normal_iteratorINS6_10device_ptrIjEEEESG_NSD_INSE_IS9_EEEESI_jNS0_19identity_decomposerENS1_16block_id_wrapperIjLb0EEEEE10hipError_tT1_PNSt15iterator_traitsISN_E10value_typeET2_T3_PNSO_IST_E10value_typeET4_T5_PSY_SZ_PNS1_23onesweep_lookback_stateEbbT6_jjT7_P12ihipStream_tbENKUlT_T0_SN_SS_E_clISG_SG_SI_SI_EEDaS16_S17_SN_SS_EUlS16_E_NS1_11comp_targetILNS1_3genE2ELNS1_11target_archE906ELNS1_3gpuE6ELNS1_3repE0EEENS1_47radix_sort_onesweep_sort_config_static_selectorELNS0_4arch9wavefront6targetE0EEEvSN_ ; -- Begin function _ZN7rocprim17ROCPRIM_400000_NS6detail17trampoline_kernelINS0_14default_configENS1_35radix_sort_onesweep_config_selectorIjN6thrust23THRUST_200600_302600_NS5tupleIffNS6_9null_typeES8_S8_S8_S8_S8_S8_S8_EEEEZZNS1_29radix_sort_onesweep_iterationIS3_Lb0ENS6_6detail15normal_iteratorINS6_10device_ptrIjEEEESG_NSD_INSE_IS9_EEEESI_jNS0_19identity_decomposerENS1_16block_id_wrapperIjLb0EEEEE10hipError_tT1_PNSt15iterator_traitsISN_E10value_typeET2_T3_PNSO_IST_E10value_typeET4_T5_PSY_SZ_PNS1_23onesweep_lookback_stateEbbT6_jjT7_P12ihipStream_tbENKUlT_T0_SN_SS_E_clISG_SG_SI_SI_EEDaS16_S17_SN_SS_EUlS16_E_NS1_11comp_targetILNS1_3genE2ELNS1_11target_archE906ELNS1_3gpuE6ELNS1_3repE0EEENS1_47radix_sort_onesweep_sort_config_static_selectorELNS0_4arch9wavefront6targetE0EEEvSN_
	.globl	_ZN7rocprim17ROCPRIM_400000_NS6detail17trampoline_kernelINS0_14default_configENS1_35radix_sort_onesweep_config_selectorIjN6thrust23THRUST_200600_302600_NS5tupleIffNS6_9null_typeES8_S8_S8_S8_S8_S8_S8_EEEEZZNS1_29radix_sort_onesweep_iterationIS3_Lb0ENS6_6detail15normal_iteratorINS6_10device_ptrIjEEEESG_NSD_INSE_IS9_EEEESI_jNS0_19identity_decomposerENS1_16block_id_wrapperIjLb0EEEEE10hipError_tT1_PNSt15iterator_traitsISN_E10value_typeET2_T3_PNSO_IST_E10value_typeET4_T5_PSY_SZ_PNS1_23onesweep_lookback_stateEbbT6_jjT7_P12ihipStream_tbENKUlT_T0_SN_SS_E_clISG_SG_SI_SI_EEDaS16_S17_SN_SS_EUlS16_E_NS1_11comp_targetILNS1_3genE2ELNS1_11target_archE906ELNS1_3gpuE6ELNS1_3repE0EEENS1_47radix_sort_onesweep_sort_config_static_selectorELNS0_4arch9wavefront6targetE0EEEvSN_
	.p2align	8
	.type	_ZN7rocprim17ROCPRIM_400000_NS6detail17trampoline_kernelINS0_14default_configENS1_35radix_sort_onesweep_config_selectorIjN6thrust23THRUST_200600_302600_NS5tupleIffNS6_9null_typeES8_S8_S8_S8_S8_S8_S8_EEEEZZNS1_29radix_sort_onesweep_iterationIS3_Lb0ENS6_6detail15normal_iteratorINS6_10device_ptrIjEEEESG_NSD_INSE_IS9_EEEESI_jNS0_19identity_decomposerENS1_16block_id_wrapperIjLb0EEEEE10hipError_tT1_PNSt15iterator_traitsISN_E10value_typeET2_T3_PNSO_IST_E10value_typeET4_T5_PSY_SZ_PNS1_23onesweep_lookback_stateEbbT6_jjT7_P12ihipStream_tbENKUlT_T0_SN_SS_E_clISG_SG_SI_SI_EEDaS16_S17_SN_SS_EUlS16_E_NS1_11comp_targetILNS1_3genE2ELNS1_11target_archE906ELNS1_3gpuE6ELNS1_3repE0EEENS1_47radix_sort_onesweep_sort_config_static_selectorELNS0_4arch9wavefront6targetE0EEEvSN_,@function
_ZN7rocprim17ROCPRIM_400000_NS6detail17trampoline_kernelINS0_14default_configENS1_35radix_sort_onesweep_config_selectorIjN6thrust23THRUST_200600_302600_NS5tupleIffNS6_9null_typeES8_S8_S8_S8_S8_S8_S8_EEEEZZNS1_29radix_sort_onesweep_iterationIS3_Lb0ENS6_6detail15normal_iteratorINS6_10device_ptrIjEEEESG_NSD_INSE_IS9_EEEESI_jNS0_19identity_decomposerENS1_16block_id_wrapperIjLb0EEEEE10hipError_tT1_PNSt15iterator_traitsISN_E10value_typeET2_T3_PNSO_IST_E10value_typeET4_T5_PSY_SZ_PNS1_23onesweep_lookback_stateEbbT6_jjT7_P12ihipStream_tbENKUlT_T0_SN_SS_E_clISG_SG_SI_SI_EEDaS16_S17_SN_SS_EUlS16_E_NS1_11comp_targetILNS1_3genE2ELNS1_11target_archE906ELNS1_3gpuE6ELNS1_3repE0EEENS1_47radix_sort_onesweep_sort_config_static_selectorELNS0_4arch9wavefront6targetE0EEEvSN_: ; @_ZN7rocprim17ROCPRIM_400000_NS6detail17trampoline_kernelINS0_14default_configENS1_35radix_sort_onesweep_config_selectorIjN6thrust23THRUST_200600_302600_NS5tupleIffNS6_9null_typeES8_S8_S8_S8_S8_S8_S8_EEEEZZNS1_29radix_sort_onesweep_iterationIS3_Lb0ENS6_6detail15normal_iteratorINS6_10device_ptrIjEEEESG_NSD_INSE_IS9_EEEESI_jNS0_19identity_decomposerENS1_16block_id_wrapperIjLb0EEEEE10hipError_tT1_PNSt15iterator_traitsISN_E10value_typeET2_T3_PNSO_IST_E10value_typeET4_T5_PSY_SZ_PNS1_23onesweep_lookback_stateEbbT6_jjT7_P12ihipStream_tbENKUlT_T0_SN_SS_E_clISG_SG_SI_SI_EEDaS16_S17_SN_SS_EUlS16_E_NS1_11comp_targetILNS1_3genE2ELNS1_11target_archE906ELNS1_3gpuE6ELNS1_3repE0EEENS1_47radix_sort_onesweep_sort_config_static_selectorELNS0_4arch9wavefront6targetE0EEEvSN_
; %bb.0:
	.section	.rodata,"a",@progbits
	.p2align	6, 0x0
	.amdhsa_kernel _ZN7rocprim17ROCPRIM_400000_NS6detail17trampoline_kernelINS0_14default_configENS1_35radix_sort_onesweep_config_selectorIjN6thrust23THRUST_200600_302600_NS5tupleIffNS6_9null_typeES8_S8_S8_S8_S8_S8_S8_EEEEZZNS1_29radix_sort_onesweep_iterationIS3_Lb0ENS6_6detail15normal_iteratorINS6_10device_ptrIjEEEESG_NSD_INSE_IS9_EEEESI_jNS0_19identity_decomposerENS1_16block_id_wrapperIjLb0EEEEE10hipError_tT1_PNSt15iterator_traitsISN_E10value_typeET2_T3_PNSO_IST_E10value_typeET4_T5_PSY_SZ_PNS1_23onesweep_lookback_stateEbbT6_jjT7_P12ihipStream_tbENKUlT_T0_SN_SS_E_clISG_SG_SI_SI_EEDaS16_S17_SN_SS_EUlS16_E_NS1_11comp_targetILNS1_3genE2ELNS1_11target_archE906ELNS1_3gpuE6ELNS1_3repE0EEENS1_47radix_sort_onesweep_sort_config_static_selectorELNS0_4arch9wavefront6targetE0EEEvSN_
		.amdhsa_group_segment_fixed_size 0
		.amdhsa_private_segment_fixed_size 0
		.amdhsa_kernarg_size 88
		.amdhsa_user_sgpr_count 2
		.amdhsa_user_sgpr_dispatch_ptr 0
		.amdhsa_user_sgpr_queue_ptr 0
		.amdhsa_user_sgpr_kernarg_segment_ptr 1
		.amdhsa_user_sgpr_dispatch_id 0
		.amdhsa_user_sgpr_private_segment_size 0
		.amdhsa_wavefront_size32 1
		.amdhsa_uses_dynamic_stack 0
		.amdhsa_enable_private_segment 0
		.amdhsa_system_sgpr_workgroup_id_x 1
		.amdhsa_system_sgpr_workgroup_id_y 0
		.amdhsa_system_sgpr_workgroup_id_z 0
		.amdhsa_system_sgpr_workgroup_info 0
		.amdhsa_system_vgpr_workitem_id 0
		.amdhsa_next_free_vgpr 1
		.amdhsa_next_free_sgpr 1
		.amdhsa_reserve_vcc 0
		.amdhsa_float_round_mode_32 0
		.amdhsa_float_round_mode_16_64 0
		.amdhsa_float_denorm_mode_32 3
		.amdhsa_float_denorm_mode_16_64 3
		.amdhsa_fp16_overflow 0
		.amdhsa_workgroup_processor_mode 1
		.amdhsa_memory_ordered 1
		.amdhsa_forward_progress 1
		.amdhsa_inst_pref_size 0
		.amdhsa_round_robin_scheduling 0
		.amdhsa_exception_fp_ieee_invalid_op 0
		.amdhsa_exception_fp_denorm_src 0
		.amdhsa_exception_fp_ieee_div_zero 0
		.amdhsa_exception_fp_ieee_overflow 0
		.amdhsa_exception_fp_ieee_underflow 0
		.amdhsa_exception_fp_ieee_inexact 0
		.amdhsa_exception_int_div_zero 0
	.end_amdhsa_kernel
	.section	.text._ZN7rocprim17ROCPRIM_400000_NS6detail17trampoline_kernelINS0_14default_configENS1_35radix_sort_onesweep_config_selectorIjN6thrust23THRUST_200600_302600_NS5tupleIffNS6_9null_typeES8_S8_S8_S8_S8_S8_S8_EEEEZZNS1_29radix_sort_onesweep_iterationIS3_Lb0ENS6_6detail15normal_iteratorINS6_10device_ptrIjEEEESG_NSD_INSE_IS9_EEEESI_jNS0_19identity_decomposerENS1_16block_id_wrapperIjLb0EEEEE10hipError_tT1_PNSt15iterator_traitsISN_E10value_typeET2_T3_PNSO_IST_E10value_typeET4_T5_PSY_SZ_PNS1_23onesweep_lookback_stateEbbT6_jjT7_P12ihipStream_tbENKUlT_T0_SN_SS_E_clISG_SG_SI_SI_EEDaS16_S17_SN_SS_EUlS16_E_NS1_11comp_targetILNS1_3genE2ELNS1_11target_archE906ELNS1_3gpuE6ELNS1_3repE0EEENS1_47radix_sort_onesweep_sort_config_static_selectorELNS0_4arch9wavefront6targetE0EEEvSN_,"axG",@progbits,_ZN7rocprim17ROCPRIM_400000_NS6detail17trampoline_kernelINS0_14default_configENS1_35radix_sort_onesweep_config_selectorIjN6thrust23THRUST_200600_302600_NS5tupleIffNS6_9null_typeES8_S8_S8_S8_S8_S8_S8_EEEEZZNS1_29radix_sort_onesweep_iterationIS3_Lb0ENS6_6detail15normal_iteratorINS6_10device_ptrIjEEEESG_NSD_INSE_IS9_EEEESI_jNS0_19identity_decomposerENS1_16block_id_wrapperIjLb0EEEEE10hipError_tT1_PNSt15iterator_traitsISN_E10value_typeET2_T3_PNSO_IST_E10value_typeET4_T5_PSY_SZ_PNS1_23onesweep_lookback_stateEbbT6_jjT7_P12ihipStream_tbENKUlT_T0_SN_SS_E_clISG_SG_SI_SI_EEDaS16_S17_SN_SS_EUlS16_E_NS1_11comp_targetILNS1_3genE2ELNS1_11target_archE906ELNS1_3gpuE6ELNS1_3repE0EEENS1_47radix_sort_onesweep_sort_config_static_selectorELNS0_4arch9wavefront6targetE0EEEvSN_,comdat
.Lfunc_end205:
	.size	_ZN7rocprim17ROCPRIM_400000_NS6detail17trampoline_kernelINS0_14default_configENS1_35radix_sort_onesweep_config_selectorIjN6thrust23THRUST_200600_302600_NS5tupleIffNS6_9null_typeES8_S8_S8_S8_S8_S8_S8_EEEEZZNS1_29radix_sort_onesweep_iterationIS3_Lb0ENS6_6detail15normal_iteratorINS6_10device_ptrIjEEEESG_NSD_INSE_IS9_EEEESI_jNS0_19identity_decomposerENS1_16block_id_wrapperIjLb0EEEEE10hipError_tT1_PNSt15iterator_traitsISN_E10value_typeET2_T3_PNSO_IST_E10value_typeET4_T5_PSY_SZ_PNS1_23onesweep_lookback_stateEbbT6_jjT7_P12ihipStream_tbENKUlT_T0_SN_SS_E_clISG_SG_SI_SI_EEDaS16_S17_SN_SS_EUlS16_E_NS1_11comp_targetILNS1_3genE2ELNS1_11target_archE906ELNS1_3gpuE6ELNS1_3repE0EEENS1_47radix_sort_onesweep_sort_config_static_selectorELNS0_4arch9wavefront6targetE0EEEvSN_, .Lfunc_end205-_ZN7rocprim17ROCPRIM_400000_NS6detail17trampoline_kernelINS0_14default_configENS1_35radix_sort_onesweep_config_selectorIjN6thrust23THRUST_200600_302600_NS5tupleIffNS6_9null_typeES8_S8_S8_S8_S8_S8_S8_EEEEZZNS1_29radix_sort_onesweep_iterationIS3_Lb0ENS6_6detail15normal_iteratorINS6_10device_ptrIjEEEESG_NSD_INSE_IS9_EEEESI_jNS0_19identity_decomposerENS1_16block_id_wrapperIjLb0EEEEE10hipError_tT1_PNSt15iterator_traitsISN_E10value_typeET2_T3_PNSO_IST_E10value_typeET4_T5_PSY_SZ_PNS1_23onesweep_lookback_stateEbbT6_jjT7_P12ihipStream_tbENKUlT_T0_SN_SS_E_clISG_SG_SI_SI_EEDaS16_S17_SN_SS_EUlS16_E_NS1_11comp_targetILNS1_3genE2ELNS1_11target_archE906ELNS1_3gpuE6ELNS1_3repE0EEENS1_47radix_sort_onesweep_sort_config_static_selectorELNS0_4arch9wavefront6targetE0EEEvSN_
                                        ; -- End function
	.set _ZN7rocprim17ROCPRIM_400000_NS6detail17trampoline_kernelINS0_14default_configENS1_35radix_sort_onesweep_config_selectorIjN6thrust23THRUST_200600_302600_NS5tupleIffNS6_9null_typeES8_S8_S8_S8_S8_S8_S8_EEEEZZNS1_29radix_sort_onesweep_iterationIS3_Lb0ENS6_6detail15normal_iteratorINS6_10device_ptrIjEEEESG_NSD_INSE_IS9_EEEESI_jNS0_19identity_decomposerENS1_16block_id_wrapperIjLb0EEEEE10hipError_tT1_PNSt15iterator_traitsISN_E10value_typeET2_T3_PNSO_IST_E10value_typeET4_T5_PSY_SZ_PNS1_23onesweep_lookback_stateEbbT6_jjT7_P12ihipStream_tbENKUlT_T0_SN_SS_E_clISG_SG_SI_SI_EEDaS16_S17_SN_SS_EUlS16_E_NS1_11comp_targetILNS1_3genE2ELNS1_11target_archE906ELNS1_3gpuE6ELNS1_3repE0EEENS1_47radix_sort_onesweep_sort_config_static_selectorELNS0_4arch9wavefront6targetE0EEEvSN_.num_vgpr, 0
	.set _ZN7rocprim17ROCPRIM_400000_NS6detail17trampoline_kernelINS0_14default_configENS1_35radix_sort_onesweep_config_selectorIjN6thrust23THRUST_200600_302600_NS5tupleIffNS6_9null_typeES8_S8_S8_S8_S8_S8_S8_EEEEZZNS1_29radix_sort_onesweep_iterationIS3_Lb0ENS6_6detail15normal_iteratorINS6_10device_ptrIjEEEESG_NSD_INSE_IS9_EEEESI_jNS0_19identity_decomposerENS1_16block_id_wrapperIjLb0EEEEE10hipError_tT1_PNSt15iterator_traitsISN_E10value_typeET2_T3_PNSO_IST_E10value_typeET4_T5_PSY_SZ_PNS1_23onesweep_lookback_stateEbbT6_jjT7_P12ihipStream_tbENKUlT_T0_SN_SS_E_clISG_SG_SI_SI_EEDaS16_S17_SN_SS_EUlS16_E_NS1_11comp_targetILNS1_3genE2ELNS1_11target_archE906ELNS1_3gpuE6ELNS1_3repE0EEENS1_47radix_sort_onesweep_sort_config_static_selectorELNS0_4arch9wavefront6targetE0EEEvSN_.num_agpr, 0
	.set _ZN7rocprim17ROCPRIM_400000_NS6detail17trampoline_kernelINS0_14default_configENS1_35radix_sort_onesweep_config_selectorIjN6thrust23THRUST_200600_302600_NS5tupleIffNS6_9null_typeES8_S8_S8_S8_S8_S8_S8_EEEEZZNS1_29radix_sort_onesweep_iterationIS3_Lb0ENS6_6detail15normal_iteratorINS6_10device_ptrIjEEEESG_NSD_INSE_IS9_EEEESI_jNS0_19identity_decomposerENS1_16block_id_wrapperIjLb0EEEEE10hipError_tT1_PNSt15iterator_traitsISN_E10value_typeET2_T3_PNSO_IST_E10value_typeET4_T5_PSY_SZ_PNS1_23onesweep_lookback_stateEbbT6_jjT7_P12ihipStream_tbENKUlT_T0_SN_SS_E_clISG_SG_SI_SI_EEDaS16_S17_SN_SS_EUlS16_E_NS1_11comp_targetILNS1_3genE2ELNS1_11target_archE906ELNS1_3gpuE6ELNS1_3repE0EEENS1_47radix_sort_onesweep_sort_config_static_selectorELNS0_4arch9wavefront6targetE0EEEvSN_.numbered_sgpr, 0
	.set _ZN7rocprim17ROCPRIM_400000_NS6detail17trampoline_kernelINS0_14default_configENS1_35radix_sort_onesweep_config_selectorIjN6thrust23THRUST_200600_302600_NS5tupleIffNS6_9null_typeES8_S8_S8_S8_S8_S8_S8_EEEEZZNS1_29radix_sort_onesweep_iterationIS3_Lb0ENS6_6detail15normal_iteratorINS6_10device_ptrIjEEEESG_NSD_INSE_IS9_EEEESI_jNS0_19identity_decomposerENS1_16block_id_wrapperIjLb0EEEEE10hipError_tT1_PNSt15iterator_traitsISN_E10value_typeET2_T3_PNSO_IST_E10value_typeET4_T5_PSY_SZ_PNS1_23onesweep_lookback_stateEbbT6_jjT7_P12ihipStream_tbENKUlT_T0_SN_SS_E_clISG_SG_SI_SI_EEDaS16_S17_SN_SS_EUlS16_E_NS1_11comp_targetILNS1_3genE2ELNS1_11target_archE906ELNS1_3gpuE6ELNS1_3repE0EEENS1_47radix_sort_onesweep_sort_config_static_selectorELNS0_4arch9wavefront6targetE0EEEvSN_.num_named_barrier, 0
	.set _ZN7rocprim17ROCPRIM_400000_NS6detail17trampoline_kernelINS0_14default_configENS1_35radix_sort_onesweep_config_selectorIjN6thrust23THRUST_200600_302600_NS5tupleIffNS6_9null_typeES8_S8_S8_S8_S8_S8_S8_EEEEZZNS1_29radix_sort_onesweep_iterationIS3_Lb0ENS6_6detail15normal_iteratorINS6_10device_ptrIjEEEESG_NSD_INSE_IS9_EEEESI_jNS0_19identity_decomposerENS1_16block_id_wrapperIjLb0EEEEE10hipError_tT1_PNSt15iterator_traitsISN_E10value_typeET2_T3_PNSO_IST_E10value_typeET4_T5_PSY_SZ_PNS1_23onesweep_lookback_stateEbbT6_jjT7_P12ihipStream_tbENKUlT_T0_SN_SS_E_clISG_SG_SI_SI_EEDaS16_S17_SN_SS_EUlS16_E_NS1_11comp_targetILNS1_3genE2ELNS1_11target_archE906ELNS1_3gpuE6ELNS1_3repE0EEENS1_47radix_sort_onesweep_sort_config_static_selectorELNS0_4arch9wavefront6targetE0EEEvSN_.private_seg_size, 0
	.set _ZN7rocprim17ROCPRIM_400000_NS6detail17trampoline_kernelINS0_14default_configENS1_35radix_sort_onesweep_config_selectorIjN6thrust23THRUST_200600_302600_NS5tupleIffNS6_9null_typeES8_S8_S8_S8_S8_S8_S8_EEEEZZNS1_29radix_sort_onesweep_iterationIS3_Lb0ENS6_6detail15normal_iteratorINS6_10device_ptrIjEEEESG_NSD_INSE_IS9_EEEESI_jNS0_19identity_decomposerENS1_16block_id_wrapperIjLb0EEEEE10hipError_tT1_PNSt15iterator_traitsISN_E10value_typeET2_T3_PNSO_IST_E10value_typeET4_T5_PSY_SZ_PNS1_23onesweep_lookback_stateEbbT6_jjT7_P12ihipStream_tbENKUlT_T0_SN_SS_E_clISG_SG_SI_SI_EEDaS16_S17_SN_SS_EUlS16_E_NS1_11comp_targetILNS1_3genE2ELNS1_11target_archE906ELNS1_3gpuE6ELNS1_3repE0EEENS1_47radix_sort_onesweep_sort_config_static_selectorELNS0_4arch9wavefront6targetE0EEEvSN_.uses_vcc, 0
	.set _ZN7rocprim17ROCPRIM_400000_NS6detail17trampoline_kernelINS0_14default_configENS1_35radix_sort_onesweep_config_selectorIjN6thrust23THRUST_200600_302600_NS5tupleIffNS6_9null_typeES8_S8_S8_S8_S8_S8_S8_EEEEZZNS1_29radix_sort_onesweep_iterationIS3_Lb0ENS6_6detail15normal_iteratorINS6_10device_ptrIjEEEESG_NSD_INSE_IS9_EEEESI_jNS0_19identity_decomposerENS1_16block_id_wrapperIjLb0EEEEE10hipError_tT1_PNSt15iterator_traitsISN_E10value_typeET2_T3_PNSO_IST_E10value_typeET4_T5_PSY_SZ_PNS1_23onesweep_lookback_stateEbbT6_jjT7_P12ihipStream_tbENKUlT_T0_SN_SS_E_clISG_SG_SI_SI_EEDaS16_S17_SN_SS_EUlS16_E_NS1_11comp_targetILNS1_3genE2ELNS1_11target_archE906ELNS1_3gpuE6ELNS1_3repE0EEENS1_47radix_sort_onesweep_sort_config_static_selectorELNS0_4arch9wavefront6targetE0EEEvSN_.uses_flat_scratch, 0
	.set _ZN7rocprim17ROCPRIM_400000_NS6detail17trampoline_kernelINS0_14default_configENS1_35radix_sort_onesweep_config_selectorIjN6thrust23THRUST_200600_302600_NS5tupleIffNS6_9null_typeES8_S8_S8_S8_S8_S8_S8_EEEEZZNS1_29radix_sort_onesweep_iterationIS3_Lb0ENS6_6detail15normal_iteratorINS6_10device_ptrIjEEEESG_NSD_INSE_IS9_EEEESI_jNS0_19identity_decomposerENS1_16block_id_wrapperIjLb0EEEEE10hipError_tT1_PNSt15iterator_traitsISN_E10value_typeET2_T3_PNSO_IST_E10value_typeET4_T5_PSY_SZ_PNS1_23onesweep_lookback_stateEbbT6_jjT7_P12ihipStream_tbENKUlT_T0_SN_SS_E_clISG_SG_SI_SI_EEDaS16_S17_SN_SS_EUlS16_E_NS1_11comp_targetILNS1_3genE2ELNS1_11target_archE906ELNS1_3gpuE6ELNS1_3repE0EEENS1_47radix_sort_onesweep_sort_config_static_selectorELNS0_4arch9wavefront6targetE0EEEvSN_.has_dyn_sized_stack, 0
	.set _ZN7rocprim17ROCPRIM_400000_NS6detail17trampoline_kernelINS0_14default_configENS1_35radix_sort_onesweep_config_selectorIjN6thrust23THRUST_200600_302600_NS5tupleIffNS6_9null_typeES8_S8_S8_S8_S8_S8_S8_EEEEZZNS1_29radix_sort_onesweep_iterationIS3_Lb0ENS6_6detail15normal_iteratorINS6_10device_ptrIjEEEESG_NSD_INSE_IS9_EEEESI_jNS0_19identity_decomposerENS1_16block_id_wrapperIjLb0EEEEE10hipError_tT1_PNSt15iterator_traitsISN_E10value_typeET2_T3_PNSO_IST_E10value_typeET4_T5_PSY_SZ_PNS1_23onesweep_lookback_stateEbbT6_jjT7_P12ihipStream_tbENKUlT_T0_SN_SS_E_clISG_SG_SI_SI_EEDaS16_S17_SN_SS_EUlS16_E_NS1_11comp_targetILNS1_3genE2ELNS1_11target_archE906ELNS1_3gpuE6ELNS1_3repE0EEENS1_47radix_sort_onesweep_sort_config_static_selectorELNS0_4arch9wavefront6targetE0EEEvSN_.has_recursion, 0
	.set _ZN7rocprim17ROCPRIM_400000_NS6detail17trampoline_kernelINS0_14default_configENS1_35radix_sort_onesweep_config_selectorIjN6thrust23THRUST_200600_302600_NS5tupleIffNS6_9null_typeES8_S8_S8_S8_S8_S8_S8_EEEEZZNS1_29radix_sort_onesweep_iterationIS3_Lb0ENS6_6detail15normal_iteratorINS6_10device_ptrIjEEEESG_NSD_INSE_IS9_EEEESI_jNS0_19identity_decomposerENS1_16block_id_wrapperIjLb0EEEEE10hipError_tT1_PNSt15iterator_traitsISN_E10value_typeET2_T3_PNSO_IST_E10value_typeET4_T5_PSY_SZ_PNS1_23onesweep_lookback_stateEbbT6_jjT7_P12ihipStream_tbENKUlT_T0_SN_SS_E_clISG_SG_SI_SI_EEDaS16_S17_SN_SS_EUlS16_E_NS1_11comp_targetILNS1_3genE2ELNS1_11target_archE906ELNS1_3gpuE6ELNS1_3repE0EEENS1_47radix_sort_onesweep_sort_config_static_selectorELNS0_4arch9wavefront6targetE0EEEvSN_.has_indirect_call, 0
	.section	.AMDGPU.csdata,"",@progbits
; Kernel info:
; codeLenInByte = 0
; TotalNumSgprs: 0
; NumVgprs: 0
; ScratchSize: 0
; MemoryBound: 0
; FloatMode: 240
; IeeeMode: 1
; LDSByteSize: 0 bytes/workgroup (compile time only)
; SGPRBlocks: 0
; VGPRBlocks: 0
; NumSGPRsForWavesPerEU: 1
; NumVGPRsForWavesPerEU: 1
; Occupancy: 16
; WaveLimiterHint : 0
; COMPUTE_PGM_RSRC2:SCRATCH_EN: 0
; COMPUTE_PGM_RSRC2:USER_SGPR: 2
; COMPUTE_PGM_RSRC2:TRAP_HANDLER: 0
; COMPUTE_PGM_RSRC2:TGID_X_EN: 1
; COMPUTE_PGM_RSRC2:TGID_Y_EN: 0
; COMPUTE_PGM_RSRC2:TGID_Z_EN: 0
; COMPUTE_PGM_RSRC2:TIDIG_COMP_CNT: 0
	.section	.text._ZN7rocprim17ROCPRIM_400000_NS6detail17trampoline_kernelINS0_14default_configENS1_35radix_sort_onesweep_config_selectorIjN6thrust23THRUST_200600_302600_NS5tupleIffNS6_9null_typeES8_S8_S8_S8_S8_S8_S8_EEEEZZNS1_29radix_sort_onesweep_iterationIS3_Lb0ENS6_6detail15normal_iteratorINS6_10device_ptrIjEEEESG_NSD_INSE_IS9_EEEESI_jNS0_19identity_decomposerENS1_16block_id_wrapperIjLb0EEEEE10hipError_tT1_PNSt15iterator_traitsISN_E10value_typeET2_T3_PNSO_IST_E10value_typeET4_T5_PSY_SZ_PNS1_23onesweep_lookback_stateEbbT6_jjT7_P12ihipStream_tbENKUlT_T0_SN_SS_E_clISG_SG_SI_SI_EEDaS16_S17_SN_SS_EUlS16_E_NS1_11comp_targetILNS1_3genE4ELNS1_11target_archE910ELNS1_3gpuE8ELNS1_3repE0EEENS1_47radix_sort_onesweep_sort_config_static_selectorELNS0_4arch9wavefront6targetE0EEEvSN_,"axG",@progbits,_ZN7rocprim17ROCPRIM_400000_NS6detail17trampoline_kernelINS0_14default_configENS1_35radix_sort_onesweep_config_selectorIjN6thrust23THRUST_200600_302600_NS5tupleIffNS6_9null_typeES8_S8_S8_S8_S8_S8_S8_EEEEZZNS1_29radix_sort_onesweep_iterationIS3_Lb0ENS6_6detail15normal_iteratorINS6_10device_ptrIjEEEESG_NSD_INSE_IS9_EEEESI_jNS0_19identity_decomposerENS1_16block_id_wrapperIjLb0EEEEE10hipError_tT1_PNSt15iterator_traitsISN_E10value_typeET2_T3_PNSO_IST_E10value_typeET4_T5_PSY_SZ_PNS1_23onesweep_lookback_stateEbbT6_jjT7_P12ihipStream_tbENKUlT_T0_SN_SS_E_clISG_SG_SI_SI_EEDaS16_S17_SN_SS_EUlS16_E_NS1_11comp_targetILNS1_3genE4ELNS1_11target_archE910ELNS1_3gpuE8ELNS1_3repE0EEENS1_47radix_sort_onesweep_sort_config_static_selectorELNS0_4arch9wavefront6targetE0EEEvSN_,comdat
	.protected	_ZN7rocprim17ROCPRIM_400000_NS6detail17trampoline_kernelINS0_14default_configENS1_35radix_sort_onesweep_config_selectorIjN6thrust23THRUST_200600_302600_NS5tupleIffNS6_9null_typeES8_S8_S8_S8_S8_S8_S8_EEEEZZNS1_29radix_sort_onesweep_iterationIS3_Lb0ENS6_6detail15normal_iteratorINS6_10device_ptrIjEEEESG_NSD_INSE_IS9_EEEESI_jNS0_19identity_decomposerENS1_16block_id_wrapperIjLb0EEEEE10hipError_tT1_PNSt15iterator_traitsISN_E10value_typeET2_T3_PNSO_IST_E10value_typeET4_T5_PSY_SZ_PNS1_23onesweep_lookback_stateEbbT6_jjT7_P12ihipStream_tbENKUlT_T0_SN_SS_E_clISG_SG_SI_SI_EEDaS16_S17_SN_SS_EUlS16_E_NS1_11comp_targetILNS1_3genE4ELNS1_11target_archE910ELNS1_3gpuE8ELNS1_3repE0EEENS1_47radix_sort_onesweep_sort_config_static_selectorELNS0_4arch9wavefront6targetE0EEEvSN_ ; -- Begin function _ZN7rocprim17ROCPRIM_400000_NS6detail17trampoline_kernelINS0_14default_configENS1_35radix_sort_onesweep_config_selectorIjN6thrust23THRUST_200600_302600_NS5tupleIffNS6_9null_typeES8_S8_S8_S8_S8_S8_S8_EEEEZZNS1_29radix_sort_onesweep_iterationIS3_Lb0ENS6_6detail15normal_iteratorINS6_10device_ptrIjEEEESG_NSD_INSE_IS9_EEEESI_jNS0_19identity_decomposerENS1_16block_id_wrapperIjLb0EEEEE10hipError_tT1_PNSt15iterator_traitsISN_E10value_typeET2_T3_PNSO_IST_E10value_typeET4_T5_PSY_SZ_PNS1_23onesweep_lookback_stateEbbT6_jjT7_P12ihipStream_tbENKUlT_T0_SN_SS_E_clISG_SG_SI_SI_EEDaS16_S17_SN_SS_EUlS16_E_NS1_11comp_targetILNS1_3genE4ELNS1_11target_archE910ELNS1_3gpuE8ELNS1_3repE0EEENS1_47radix_sort_onesweep_sort_config_static_selectorELNS0_4arch9wavefront6targetE0EEEvSN_
	.globl	_ZN7rocprim17ROCPRIM_400000_NS6detail17trampoline_kernelINS0_14default_configENS1_35radix_sort_onesweep_config_selectorIjN6thrust23THRUST_200600_302600_NS5tupleIffNS6_9null_typeES8_S8_S8_S8_S8_S8_S8_EEEEZZNS1_29radix_sort_onesweep_iterationIS3_Lb0ENS6_6detail15normal_iteratorINS6_10device_ptrIjEEEESG_NSD_INSE_IS9_EEEESI_jNS0_19identity_decomposerENS1_16block_id_wrapperIjLb0EEEEE10hipError_tT1_PNSt15iterator_traitsISN_E10value_typeET2_T3_PNSO_IST_E10value_typeET4_T5_PSY_SZ_PNS1_23onesweep_lookback_stateEbbT6_jjT7_P12ihipStream_tbENKUlT_T0_SN_SS_E_clISG_SG_SI_SI_EEDaS16_S17_SN_SS_EUlS16_E_NS1_11comp_targetILNS1_3genE4ELNS1_11target_archE910ELNS1_3gpuE8ELNS1_3repE0EEENS1_47radix_sort_onesweep_sort_config_static_selectorELNS0_4arch9wavefront6targetE0EEEvSN_
	.p2align	8
	.type	_ZN7rocprim17ROCPRIM_400000_NS6detail17trampoline_kernelINS0_14default_configENS1_35radix_sort_onesweep_config_selectorIjN6thrust23THRUST_200600_302600_NS5tupleIffNS6_9null_typeES8_S8_S8_S8_S8_S8_S8_EEEEZZNS1_29radix_sort_onesweep_iterationIS3_Lb0ENS6_6detail15normal_iteratorINS6_10device_ptrIjEEEESG_NSD_INSE_IS9_EEEESI_jNS0_19identity_decomposerENS1_16block_id_wrapperIjLb0EEEEE10hipError_tT1_PNSt15iterator_traitsISN_E10value_typeET2_T3_PNSO_IST_E10value_typeET4_T5_PSY_SZ_PNS1_23onesweep_lookback_stateEbbT6_jjT7_P12ihipStream_tbENKUlT_T0_SN_SS_E_clISG_SG_SI_SI_EEDaS16_S17_SN_SS_EUlS16_E_NS1_11comp_targetILNS1_3genE4ELNS1_11target_archE910ELNS1_3gpuE8ELNS1_3repE0EEENS1_47radix_sort_onesweep_sort_config_static_selectorELNS0_4arch9wavefront6targetE0EEEvSN_,@function
_ZN7rocprim17ROCPRIM_400000_NS6detail17trampoline_kernelINS0_14default_configENS1_35radix_sort_onesweep_config_selectorIjN6thrust23THRUST_200600_302600_NS5tupleIffNS6_9null_typeES8_S8_S8_S8_S8_S8_S8_EEEEZZNS1_29radix_sort_onesweep_iterationIS3_Lb0ENS6_6detail15normal_iteratorINS6_10device_ptrIjEEEESG_NSD_INSE_IS9_EEEESI_jNS0_19identity_decomposerENS1_16block_id_wrapperIjLb0EEEEE10hipError_tT1_PNSt15iterator_traitsISN_E10value_typeET2_T3_PNSO_IST_E10value_typeET4_T5_PSY_SZ_PNS1_23onesweep_lookback_stateEbbT6_jjT7_P12ihipStream_tbENKUlT_T0_SN_SS_E_clISG_SG_SI_SI_EEDaS16_S17_SN_SS_EUlS16_E_NS1_11comp_targetILNS1_3genE4ELNS1_11target_archE910ELNS1_3gpuE8ELNS1_3repE0EEENS1_47radix_sort_onesweep_sort_config_static_selectorELNS0_4arch9wavefront6targetE0EEEvSN_: ; @_ZN7rocprim17ROCPRIM_400000_NS6detail17trampoline_kernelINS0_14default_configENS1_35radix_sort_onesweep_config_selectorIjN6thrust23THRUST_200600_302600_NS5tupleIffNS6_9null_typeES8_S8_S8_S8_S8_S8_S8_EEEEZZNS1_29radix_sort_onesweep_iterationIS3_Lb0ENS6_6detail15normal_iteratorINS6_10device_ptrIjEEEESG_NSD_INSE_IS9_EEEESI_jNS0_19identity_decomposerENS1_16block_id_wrapperIjLb0EEEEE10hipError_tT1_PNSt15iterator_traitsISN_E10value_typeET2_T3_PNSO_IST_E10value_typeET4_T5_PSY_SZ_PNS1_23onesweep_lookback_stateEbbT6_jjT7_P12ihipStream_tbENKUlT_T0_SN_SS_E_clISG_SG_SI_SI_EEDaS16_S17_SN_SS_EUlS16_E_NS1_11comp_targetILNS1_3genE4ELNS1_11target_archE910ELNS1_3gpuE8ELNS1_3repE0EEENS1_47radix_sort_onesweep_sort_config_static_selectorELNS0_4arch9wavefront6targetE0EEEvSN_
; %bb.0:
	.section	.rodata,"a",@progbits
	.p2align	6, 0x0
	.amdhsa_kernel _ZN7rocprim17ROCPRIM_400000_NS6detail17trampoline_kernelINS0_14default_configENS1_35radix_sort_onesweep_config_selectorIjN6thrust23THRUST_200600_302600_NS5tupleIffNS6_9null_typeES8_S8_S8_S8_S8_S8_S8_EEEEZZNS1_29radix_sort_onesweep_iterationIS3_Lb0ENS6_6detail15normal_iteratorINS6_10device_ptrIjEEEESG_NSD_INSE_IS9_EEEESI_jNS0_19identity_decomposerENS1_16block_id_wrapperIjLb0EEEEE10hipError_tT1_PNSt15iterator_traitsISN_E10value_typeET2_T3_PNSO_IST_E10value_typeET4_T5_PSY_SZ_PNS1_23onesweep_lookback_stateEbbT6_jjT7_P12ihipStream_tbENKUlT_T0_SN_SS_E_clISG_SG_SI_SI_EEDaS16_S17_SN_SS_EUlS16_E_NS1_11comp_targetILNS1_3genE4ELNS1_11target_archE910ELNS1_3gpuE8ELNS1_3repE0EEENS1_47radix_sort_onesweep_sort_config_static_selectorELNS0_4arch9wavefront6targetE0EEEvSN_
		.amdhsa_group_segment_fixed_size 0
		.amdhsa_private_segment_fixed_size 0
		.amdhsa_kernarg_size 88
		.amdhsa_user_sgpr_count 2
		.amdhsa_user_sgpr_dispatch_ptr 0
		.amdhsa_user_sgpr_queue_ptr 0
		.amdhsa_user_sgpr_kernarg_segment_ptr 1
		.amdhsa_user_sgpr_dispatch_id 0
		.amdhsa_user_sgpr_private_segment_size 0
		.amdhsa_wavefront_size32 1
		.amdhsa_uses_dynamic_stack 0
		.amdhsa_enable_private_segment 0
		.amdhsa_system_sgpr_workgroup_id_x 1
		.amdhsa_system_sgpr_workgroup_id_y 0
		.amdhsa_system_sgpr_workgroup_id_z 0
		.amdhsa_system_sgpr_workgroup_info 0
		.amdhsa_system_vgpr_workitem_id 0
		.amdhsa_next_free_vgpr 1
		.amdhsa_next_free_sgpr 1
		.amdhsa_reserve_vcc 0
		.amdhsa_float_round_mode_32 0
		.amdhsa_float_round_mode_16_64 0
		.amdhsa_float_denorm_mode_32 3
		.amdhsa_float_denorm_mode_16_64 3
		.amdhsa_fp16_overflow 0
		.amdhsa_workgroup_processor_mode 1
		.amdhsa_memory_ordered 1
		.amdhsa_forward_progress 1
		.amdhsa_inst_pref_size 0
		.amdhsa_round_robin_scheduling 0
		.amdhsa_exception_fp_ieee_invalid_op 0
		.amdhsa_exception_fp_denorm_src 0
		.amdhsa_exception_fp_ieee_div_zero 0
		.amdhsa_exception_fp_ieee_overflow 0
		.amdhsa_exception_fp_ieee_underflow 0
		.amdhsa_exception_fp_ieee_inexact 0
		.amdhsa_exception_int_div_zero 0
	.end_amdhsa_kernel
	.section	.text._ZN7rocprim17ROCPRIM_400000_NS6detail17trampoline_kernelINS0_14default_configENS1_35radix_sort_onesweep_config_selectorIjN6thrust23THRUST_200600_302600_NS5tupleIffNS6_9null_typeES8_S8_S8_S8_S8_S8_S8_EEEEZZNS1_29radix_sort_onesweep_iterationIS3_Lb0ENS6_6detail15normal_iteratorINS6_10device_ptrIjEEEESG_NSD_INSE_IS9_EEEESI_jNS0_19identity_decomposerENS1_16block_id_wrapperIjLb0EEEEE10hipError_tT1_PNSt15iterator_traitsISN_E10value_typeET2_T3_PNSO_IST_E10value_typeET4_T5_PSY_SZ_PNS1_23onesweep_lookback_stateEbbT6_jjT7_P12ihipStream_tbENKUlT_T0_SN_SS_E_clISG_SG_SI_SI_EEDaS16_S17_SN_SS_EUlS16_E_NS1_11comp_targetILNS1_3genE4ELNS1_11target_archE910ELNS1_3gpuE8ELNS1_3repE0EEENS1_47radix_sort_onesweep_sort_config_static_selectorELNS0_4arch9wavefront6targetE0EEEvSN_,"axG",@progbits,_ZN7rocprim17ROCPRIM_400000_NS6detail17trampoline_kernelINS0_14default_configENS1_35radix_sort_onesweep_config_selectorIjN6thrust23THRUST_200600_302600_NS5tupleIffNS6_9null_typeES8_S8_S8_S8_S8_S8_S8_EEEEZZNS1_29radix_sort_onesweep_iterationIS3_Lb0ENS6_6detail15normal_iteratorINS6_10device_ptrIjEEEESG_NSD_INSE_IS9_EEEESI_jNS0_19identity_decomposerENS1_16block_id_wrapperIjLb0EEEEE10hipError_tT1_PNSt15iterator_traitsISN_E10value_typeET2_T3_PNSO_IST_E10value_typeET4_T5_PSY_SZ_PNS1_23onesweep_lookback_stateEbbT6_jjT7_P12ihipStream_tbENKUlT_T0_SN_SS_E_clISG_SG_SI_SI_EEDaS16_S17_SN_SS_EUlS16_E_NS1_11comp_targetILNS1_3genE4ELNS1_11target_archE910ELNS1_3gpuE8ELNS1_3repE0EEENS1_47radix_sort_onesweep_sort_config_static_selectorELNS0_4arch9wavefront6targetE0EEEvSN_,comdat
.Lfunc_end206:
	.size	_ZN7rocprim17ROCPRIM_400000_NS6detail17trampoline_kernelINS0_14default_configENS1_35radix_sort_onesweep_config_selectorIjN6thrust23THRUST_200600_302600_NS5tupleIffNS6_9null_typeES8_S8_S8_S8_S8_S8_S8_EEEEZZNS1_29radix_sort_onesweep_iterationIS3_Lb0ENS6_6detail15normal_iteratorINS6_10device_ptrIjEEEESG_NSD_INSE_IS9_EEEESI_jNS0_19identity_decomposerENS1_16block_id_wrapperIjLb0EEEEE10hipError_tT1_PNSt15iterator_traitsISN_E10value_typeET2_T3_PNSO_IST_E10value_typeET4_T5_PSY_SZ_PNS1_23onesweep_lookback_stateEbbT6_jjT7_P12ihipStream_tbENKUlT_T0_SN_SS_E_clISG_SG_SI_SI_EEDaS16_S17_SN_SS_EUlS16_E_NS1_11comp_targetILNS1_3genE4ELNS1_11target_archE910ELNS1_3gpuE8ELNS1_3repE0EEENS1_47radix_sort_onesweep_sort_config_static_selectorELNS0_4arch9wavefront6targetE0EEEvSN_, .Lfunc_end206-_ZN7rocprim17ROCPRIM_400000_NS6detail17trampoline_kernelINS0_14default_configENS1_35radix_sort_onesweep_config_selectorIjN6thrust23THRUST_200600_302600_NS5tupleIffNS6_9null_typeES8_S8_S8_S8_S8_S8_S8_EEEEZZNS1_29radix_sort_onesweep_iterationIS3_Lb0ENS6_6detail15normal_iteratorINS6_10device_ptrIjEEEESG_NSD_INSE_IS9_EEEESI_jNS0_19identity_decomposerENS1_16block_id_wrapperIjLb0EEEEE10hipError_tT1_PNSt15iterator_traitsISN_E10value_typeET2_T3_PNSO_IST_E10value_typeET4_T5_PSY_SZ_PNS1_23onesweep_lookback_stateEbbT6_jjT7_P12ihipStream_tbENKUlT_T0_SN_SS_E_clISG_SG_SI_SI_EEDaS16_S17_SN_SS_EUlS16_E_NS1_11comp_targetILNS1_3genE4ELNS1_11target_archE910ELNS1_3gpuE8ELNS1_3repE0EEENS1_47radix_sort_onesweep_sort_config_static_selectorELNS0_4arch9wavefront6targetE0EEEvSN_
                                        ; -- End function
	.set _ZN7rocprim17ROCPRIM_400000_NS6detail17trampoline_kernelINS0_14default_configENS1_35radix_sort_onesweep_config_selectorIjN6thrust23THRUST_200600_302600_NS5tupleIffNS6_9null_typeES8_S8_S8_S8_S8_S8_S8_EEEEZZNS1_29radix_sort_onesweep_iterationIS3_Lb0ENS6_6detail15normal_iteratorINS6_10device_ptrIjEEEESG_NSD_INSE_IS9_EEEESI_jNS0_19identity_decomposerENS1_16block_id_wrapperIjLb0EEEEE10hipError_tT1_PNSt15iterator_traitsISN_E10value_typeET2_T3_PNSO_IST_E10value_typeET4_T5_PSY_SZ_PNS1_23onesweep_lookback_stateEbbT6_jjT7_P12ihipStream_tbENKUlT_T0_SN_SS_E_clISG_SG_SI_SI_EEDaS16_S17_SN_SS_EUlS16_E_NS1_11comp_targetILNS1_3genE4ELNS1_11target_archE910ELNS1_3gpuE8ELNS1_3repE0EEENS1_47radix_sort_onesweep_sort_config_static_selectorELNS0_4arch9wavefront6targetE0EEEvSN_.num_vgpr, 0
	.set _ZN7rocprim17ROCPRIM_400000_NS6detail17trampoline_kernelINS0_14default_configENS1_35radix_sort_onesweep_config_selectorIjN6thrust23THRUST_200600_302600_NS5tupleIffNS6_9null_typeES8_S8_S8_S8_S8_S8_S8_EEEEZZNS1_29radix_sort_onesweep_iterationIS3_Lb0ENS6_6detail15normal_iteratorINS6_10device_ptrIjEEEESG_NSD_INSE_IS9_EEEESI_jNS0_19identity_decomposerENS1_16block_id_wrapperIjLb0EEEEE10hipError_tT1_PNSt15iterator_traitsISN_E10value_typeET2_T3_PNSO_IST_E10value_typeET4_T5_PSY_SZ_PNS1_23onesweep_lookback_stateEbbT6_jjT7_P12ihipStream_tbENKUlT_T0_SN_SS_E_clISG_SG_SI_SI_EEDaS16_S17_SN_SS_EUlS16_E_NS1_11comp_targetILNS1_3genE4ELNS1_11target_archE910ELNS1_3gpuE8ELNS1_3repE0EEENS1_47radix_sort_onesweep_sort_config_static_selectorELNS0_4arch9wavefront6targetE0EEEvSN_.num_agpr, 0
	.set _ZN7rocprim17ROCPRIM_400000_NS6detail17trampoline_kernelINS0_14default_configENS1_35radix_sort_onesweep_config_selectorIjN6thrust23THRUST_200600_302600_NS5tupleIffNS6_9null_typeES8_S8_S8_S8_S8_S8_S8_EEEEZZNS1_29radix_sort_onesweep_iterationIS3_Lb0ENS6_6detail15normal_iteratorINS6_10device_ptrIjEEEESG_NSD_INSE_IS9_EEEESI_jNS0_19identity_decomposerENS1_16block_id_wrapperIjLb0EEEEE10hipError_tT1_PNSt15iterator_traitsISN_E10value_typeET2_T3_PNSO_IST_E10value_typeET4_T5_PSY_SZ_PNS1_23onesweep_lookback_stateEbbT6_jjT7_P12ihipStream_tbENKUlT_T0_SN_SS_E_clISG_SG_SI_SI_EEDaS16_S17_SN_SS_EUlS16_E_NS1_11comp_targetILNS1_3genE4ELNS1_11target_archE910ELNS1_3gpuE8ELNS1_3repE0EEENS1_47radix_sort_onesweep_sort_config_static_selectorELNS0_4arch9wavefront6targetE0EEEvSN_.numbered_sgpr, 0
	.set _ZN7rocprim17ROCPRIM_400000_NS6detail17trampoline_kernelINS0_14default_configENS1_35radix_sort_onesweep_config_selectorIjN6thrust23THRUST_200600_302600_NS5tupleIffNS6_9null_typeES8_S8_S8_S8_S8_S8_S8_EEEEZZNS1_29radix_sort_onesweep_iterationIS3_Lb0ENS6_6detail15normal_iteratorINS6_10device_ptrIjEEEESG_NSD_INSE_IS9_EEEESI_jNS0_19identity_decomposerENS1_16block_id_wrapperIjLb0EEEEE10hipError_tT1_PNSt15iterator_traitsISN_E10value_typeET2_T3_PNSO_IST_E10value_typeET4_T5_PSY_SZ_PNS1_23onesweep_lookback_stateEbbT6_jjT7_P12ihipStream_tbENKUlT_T0_SN_SS_E_clISG_SG_SI_SI_EEDaS16_S17_SN_SS_EUlS16_E_NS1_11comp_targetILNS1_3genE4ELNS1_11target_archE910ELNS1_3gpuE8ELNS1_3repE0EEENS1_47radix_sort_onesweep_sort_config_static_selectorELNS0_4arch9wavefront6targetE0EEEvSN_.num_named_barrier, 0
	.set _ZN7rocprim17ROCPRIM_400000_NS6detail17trampoline_kernelINS0_14default_configENS1_35radix_sort_onesweep_config_selectorIjN6thrust23THRUST_200600_302600_NS5tupleIffNS6_9null_typeES8_S8_S8_S8_S8_S8_S8_EEEEZZNS1_29radix_sort_onesweep_iterationIS3_Lb0ENS6_6detail15normal_iteratorINS6_10device_ptrIjEEEESG_NSD_INSE_IS9_EEEESI_jNS0_19identity_decomposerENS1_16block_id_wrapperIjLb0EEEEE10hipError_tT1_PNSt15iterator_traitsISN_E10value_typeET2_T3_PNSO_IST_E10value_typeET4_T5_PSY_SZ_PNS1_23onesweep_lookback_stateEbbT6_jjT7_P12ihipStream_tbENKUlT_T0_SN_SS_E_clISG_SG_SI_SI_EEDaS16_S17_SN_SS_EUlS16_E_NS1_11comp_targetILNS1_3genE4ELNS1_11target_archE910ELNS1_3gpuE8ELNS1_3repE0EEENS1_47radix_sort_onesweep_sort_config_static_selectorELNS0_4arch9wavefront6targetE0EEEvSN_.private_seg_size, 0
	.set _ZN7rocprim17ROCPRIM_400000_NS6detail17trampoline_kernelINS0_14default_configENS1_35radix_sort_onesweep_config_selectorIjN6thrust23THRUST_200600_302600_NS5tupleIffNS6_9null_typeES8_S8_S8_S8_S8_S8_S8_EEEEZZNS1_29radix_sort_onesweep_iterationIS3_Lb0ENS6_6detail15normal_iteratorINS6_10device_ptrIjEEEESG_NSD_INSE_IS9_EEEESI_jNS0_19identity_decomposerENS1_16block_id_wrapperIjLb0EEEEE10hipError_tT1_PNSt15iterator_traitsISN_E10value_typeET2_T3_PNSO_IST_E10value_typeET4_T5_PSY_SZ_PNS1_23onesweep_lookback_stateEbbT6_jjT7_P12ihipStream_tbENKUlT_T0_SN_SS_E_clISG_SG_SI_SI_EEDaS16_S17_SN_SS_EUlS16_E_NS1_11comp_targetILNS1_3genE4ELNS1_11target_archE910ELNS1_3gpuE8ELNS1_3repE0EEENS1_47radix_sort_onesweep_sort_config_static_selectorELNS0_4arch9wavefront6targetE0EEEvSN_.uses_vcc, 0
	.set _ZN7rocprim17ROCPRIM_400000_NS6detail17trampoline_kernelINS0_14default_configENS1_35radix_sort_onesweep_config_selectorIjN6thrust23THRUST_200600_302600_NS5tupleIffNS6_9null_typeES8_S8_S8_S8_S8_S8_S8_EEEEZZNS1_29radix_sort_onesweep_iterationIS3_Lb0ENS6_6detail15normal_iteratorINS6_10device_ptrIjEEEESG_NSD_INSE_IS9_EEEESI_jNS0_19identity_decomposerENS1_16block_id_wrapperIjLb0EEEEE10hipError_tT1_PNSt15iterator_traitsISN_E10value_typeET2_T3_PNSO_IST_E10value_typeET4_T5_PSY_SZ_PNS1_23onesweep_lookback_stateEbbT6_jjT7_P12ihipStream_tbENKUlT_T0_SN_SS_E_clISG_SG_SI_SI_EEDaS16_S17_SN_SS_EUlS16_E_NS1_11comp_targetILNS1_3genE4ELNS1_11target_archE910ELNS1_3gpuE8ELNS1_3repE0EEENS1_47radix_sort_onesweep_sort_config_static_selectorELNS0_4arch9wavefront6targetE0EEEvSN_.uses_flat_scratch, 0
	.set _ZN7rocprim17ROCPRIM_400000_NS6detail17trampoline_kernelINS0_14default_configENS1_35radix_sort_onesweep_config_selectorIjN6thrust23THRUST_200600_302600_NS5tupleIffNS6_9null_typeES8_S8_S8_S8_S8_S8_S8_EEEEZZNS1_29radix_sort_onesweep_iterationIS3_Lb0ENS6_6detail15normal_iteratorINS6_10device_ptrIjEEEESG_NSD_INSE_IS9_EEEESI_jNS0_19identity_decomposerENS1_16block_id_wrapperIjLb0EEEEE10hipError_tT1_PNSt15iterator_traitsISN_E10value_typeET2_T3_PNSO_IST_E10value_typeET4_T5_PSY_SZ_PNS1_23onesweep_lookback_stateEbbT6_jjT7_P12ihipStream_tbENKUlT_T0_SN_SS_E_clISG_SG_SI_SI_EEDaS16_S17_SN_SS_EUlS16_E_NS1_11comp_targetILNS1_3genE4ELNS1_11target_archE910ELNS1_3gpuE8ELNS1_3repE0EEENS1_47radix_sort_onesweep_sort_config_static_selectorELNS0_4arch9wavefront6targetE0EEEvSN_.has_dyn_sized_stack, 0
	.set _ZN7rocprim17ROCPRIM_400000_NS6detail17trampoline_kernelINS0_14default_configENS1_35radix_sort_onesweep_config_selectorIjN6thrust23THRUST_200600_302600_NS5tupleIffNS6_9null_typeES8_S8_S8_S8_S8_S8_S8_EEEEZZNS1_29radix_sort_onesweep_iterationIS3_Lb0ENS6_6detail15normal_iteratorINS6_10device_ptrIjEEEESG_NSD_INSE_IS9_EEEESI_jNS0_19identity_decomposerENS1_16block_id_wrapperIjLb0EEEEE10hipError_tT1_PNSt15iterator_traitsISN_E10value_typeET2_T3_PNSO_IST_E10value_typeET4_T5_PSY_SZ_PNS1_23onesweep_lookback_stateEbbT6_jjT7_P12ihipStream_tbENKUlT_T0_SN_SS_E_clISG_SG_SI_SI_EEDaS16_S17_SN_SS_EUlS16_E_NS1_11comp_targetILNS1_3genE4ELNS1_11target_archE910ELNS1_3gpuE8ELNS1_3repE0EEENS1_47radix_sort_onesweep_sort_config_static_selectorELNS0_4arch9wavefront6targetE0EEEvSN_.has_recursion, 0
	.set _ZN7rocprim17ROCPRIM_400000_NS6detail17trampoline_kernelINS0_14default_configENS1_35radix_sort_onesweep_config_selectorIjN6thrust23THRUST_200600_302600_NS5tupleIffNS6_9null_typeES8_S8_S8_S8_S8_S8_S8_EEEEZZNS1_29radix_sort_onesweep_iterationIS3_Lb0ENS6_6detail15normal_iteratorINS6_10device_ptrIjEEEESG_NSD_INSE_IS9_EEEESI_jNS0_19identity_decomposerENS1_16block_id_wrapperIjLb0EEEEE10hipError_tT1_PNSt15iterator_traitsISN_E10value_typeET2_T3_PNSO_IST_E10value_typeET4_T5_PSY_SZ_PNS1_23onesweep_lookback_stateEbbT6_jjT7_P12ihipStream_tbENKUlT_T0_SN_SS_E_clISG_SG_SI_SI_EEDaS16_S17_SN_SS_EUlS16_E_NS1_11comp_targetILNS1_3genE4ELNS1_11target_archE910ELNS1_3gpuE8ELNS1_3repE0EEENS1_47radix_sort_onesweep_sort_config_static_selectorELNS0_4arch9wavefront6targetE0EEEvSN_.has_indirect_call, 0
	.section	.AMDGPU.csdata,"",@progbits
; Kernel info:
; codeLenInByte = 0
; TotalNumSgprs: 0
; NumVgprs: 0
; ScratchSize: 0
; MemoryBound: 0
; FloatMode: 240
; IeeeMode: 1
; LDSByteSize: 0 bytes/workgroup (compile time only)
; SGPRBlocks: 0
; VGPRBlocks: 0
; NumSGPRsForWavesPerEU: 1
; NumVGPRsForWavesPerEU: 1
; Occupancy: 16
; WaveLimiterHint : 0
; COMPUTE_PGM_RSRC2:SCRATCH_EN: 0
; COMPUTE_PGM_RSRC2:USER_SGPR: 2
; COMPUTE_PGM_RSRC2:TRAP_HANDLER: 0
; COMPUTE_PGM_RSRC2:TGID_X_EN: 1
; COMPUTE_PGM_RSRC2:TGID_Y_EN: 0
; COMPUTE_PGM_RSRC2:TGID_Z_EN: 0
; COMPUTE_PGM_RSRC2:TIDIG_COMP_CNT: 0
	.section	.text._ZN7rocprim17ROCPRIM_400000_NS6detail17trampoline_kernelINS0_14default_configENS1_35radix_sort_onesweep_config_selectorIjN6thrust23THRUST_200600_302600_NS5tupleIffNS6_9null_typeES8_S8_S8_S8_S8_S8_S8_EEEEZZNS1_29radix_sort_onesweep_iterationIS3_Lb0ENS6_6detail15normal_iteratorINS6_10device_ptrIjEEEESG_NSD_INSE_IS9_EEEESI_jNS0_19identity_decomposerENS1_16block_id_wrapperIjLb0EEEEE10hipError_tT1_PNSt15iterator_traitsISN_E10value_typeET2_T3_PNSO_IST_E10value_typeET4_T5_PSY_SZ_PNS1_23onesweep_lookback_stateEbbT6_jjT7_P12ihipStream_tbENKUlT_T0_SN_SS_E_clISG_SG_SI_SI_EEDaS16_S17_SN_SS_EUlS16_E_NS1_11comp_targetILNS1_3genE3ELNS1_11target_archE908ELNS1_3gpuE7ELNS1_3repE0EEENS1_47radix_sort_onesweep_sort_config_static_selectorELNS0_4arch9wavefront6targetE0EEEvSN_,"axG",@progbits,_ZN7rocprim17ROCPRIM_400000_NS6detail17trampoline_kernelINS0_14default_configENS1_35radix_sort_onesweep_config_selectorIjN6thrust23THRUST_200600_302600_NS5tupleIffNS6_9null_typeES8_S8_S8_S8_S8_S8_S8_EEEEZZNS1_29radix_sort_onesweep_iterationIS3_Lb0ENS6_6detail15normal_iteratorINS6_10device_ptrIjEEEESG_NSD_INSE_IS9_EEEESI_jNS0_19identity_decomposerENS1_16block_id_wrapperIjLb0EEEEE10hipError_tT1_PNSt15iterator_traitsISN_E10value_typeET2_T3_PNSO_IST_E10value_typeET4_T5_PSY_SZ_PNS1_23onesweep_lookback_stateEbbT6_jjT7_P12ihipStream_tbENKUlT_T0_SN_SS_E_clISG_SG_SI_SI_EEDaS16_S17_SN_SS_EUlS16_E_NS1_11comp_targetILNS1_3genE3ELNS1_11target_archE908ELNS1_3gpuE7ELNS1_3repE0EEENS1_47radix_sort_onesweep_sort_config_static_selectorELNS0_4arch9wavefront6targetE0EEEvSN_,comdat
	.protected	_ZN7rocprim17ROCPRIM_400000_NS6detail17trampoline_kernelINS0_14default_configENS1_35radix_sort_onesweep_config_selectorIjN6thrust23THRUST_200600_302600_NS5tupleIffNS6_9null_typeES8_S8_S8_S8_S8_S8_S8_EEEEZZNS1_29radix_sort_onesweep_iterationIS3_Lb0ENS6_6detail15normal_iteratorINS6_10device_ptrIjEEEESG_NSD_INSE_IS9_EEEESI_jNS0_19identity_decomposerENS1_16block_id_wrapperIjLb0EEEEE10hipError_tT1_PNSt15iterator_traitsISN_E10value_typeET2_T3_PNSO_IST_E10value_typeET4_T5_PSY_SZ_PNS1_23onesweep_lookback_stateEbbT6_jjT7_P12ihipStream_tbENKUlT_T0_SN_SS_E_clISG_SG_SI_SI_EEDaS16_S17_SN_SS_EUlS16_E_NS1_11comp_targetILNS1_3genE3ELNS1_11target_archE908ELNS1_3gpuE7ELNS1_3repE0EEENS1_47radix_sort_onesweep_sort_config_static_selectorELNS0_4arch9wavefront6targetE0EEEvSN_ ; -- Begin function _ZN7rocprim17ROCPRIM_400000_NS6detail17trampoline_kernelINS0_14default_configENS1_35radix_sort_onesweep_config_selectorIjN6thrust23THRUST_200600_302600_NS5tupleIffNS6_9null_typeES8_S8_S8_S8_S8_S8_S8_EEEEZZNS1_29radix_sort_onesweep_iterationIS3_Lb0ENS6_6detail15normal_iteratorINS6_10device_ptrIjEEEESG_NSD_INSE_IS9_EEEESI_jNS0_19identity_decomposerENS1_16block_id_wrapperIjLb0EEEEE10hipError_tT1_PNSt15iterator_traitsISN_E10value_typeET2_T3_PNSO_IST_E10value_typeET4_T5_PSY_SZ_PNS1_23onesweep_lookback_stateEbbT6_jjT7_P12ihipStream_tbENKUlT_T0_SN_SS_E_clISG_SG_SI_SI_EEDaS16_S17_SN_SS_EUlS16_E_NS1_11comp_targetILNS1_3genE3ELNS1_11target_archE908ELNS1_3gpuE7ELNS1_3repE0EEENS1_47radix_sort_onesweep_sort_config_static_selectorELNS0_4arch9wavefront6targetE0EEEvSN_
	.globl	_ZN7rocprim17ROCPRIM_400000_NS6detail17trampoline_kernelINS0_14default_configENS1_35radix_sort_onesweep_config_selectorIjN6thrust23THRUST_200600_302600_NS5tupleIffNS6_9null_typeES8_S8_S8_S8_S8_S8_S8_EEEEZZNS1_29radix_sort_onesweep_iterationIS3_Lb0ENS6_6detail15normal_iteratorINS6_10device_ptrIjEEEESG_NSD_INSE_IS9_EEEESI_jNS0_19identity_decomposerENS1_16block_id_wrapperIjLb0EEEEE10hipError_tT1_PNSt15iterator_traitsISN_E10value_typeET2_T3_PNSO_IST_E10value_typeET4_T5_PSY_SZ_PNS1_23onesweep_lookback_stateEbbT6_jjT7_P12ihipStream_tbENKUlT_T0_SN_SS_E_clISG_SG_SI_SI_EEDaS16_S17_SN_SS_EUlS16_E_NS1_11comp_targetILNS1_3genE3ELNS1_11target_archE908ELNS1_3gpuE7ELNS1_3repE0EEENS1_47radix_sort_onesweep_sort_config_static_selectorELNS0_4arch9wavefront6targetE0EEEvSN_
	.p2align	8
	.type	_ZN7rocprim17ROCPRIM_400000_NS6detail17trampoline_kernelINS0_14default_configENS1_35radix_sort_onesweep_config_selectorIjN6thrust23THRUST_200600_302600_NS5tupleIffNS6_9null_typeES8_S8_S8_S8_S8_S8_S8_EEEEZZNS1_29radix_sort_onesweep_iterationIS3_Lb0ENS6_6detail15normal_iteratorINS6_10device_ptrIjEEEESG_NSD_INSE_IS9_EEEESI_jNS0_19identity_decomposerENS1_16block_id_wrapperIjLb0EEEEE10hipError_tT1_PNSt15iterator_traitsISN_E10value_typeET2_T3_PNSO_IST_E10value_typeET4_T5_PSY_SZ_PNS1_23onesweep_lookback_stateEbbT6_jjT7_P12ihipStream_tbENKUlT_T0_SN_SS_E_clISG_SG_SI_SI_EEDaS16_S17_SN_SS_EUlS16_E_NS1_11comp_targetILNS1_3genE3ELNS1_11target_archE908ELNS1_3gpuE7ELNS1_3repE0EEENS1_47radix_sort_onesweep_sort_config_static_selectorELNS0_4arch9wavefront6targetE0EEEvSN_,@function
_ZN7rocprim17ROCPRIM_400000_NS6detail17trampoline_kernelINS0_14default_configENS1_35radix_sort_onesweep_config_selectorIjN6thrust23THRUST_200600_302600_NS5tupleIffNS6_9null_typeES8_S8_S8_S8_S8_S8_S8_EEEEZZNS1_29radix_sort_onesweep_iterationIS3_Lb0ENS6_6detail15normal_iteratorINS6_10device_ptrIjEEEESG_NSD_INSE_IS9_EEEESI_jNS0_19identity_decomposerENS1_16block_id_wrapperIjLb0EEEEE10hipError_tT1_PNSt15iterator_traitsISN_E10value_typeET2_T3_PNSO_IST_E10value_typeET4_T5_PSY_SZ_PNS1_23onesweep_lookback_stateEbbT6_jjT7_P12ihipStream_tbENKUlT_T0_SN_SS_E_clISG_SG_SI_SI_EEDaS16_S17_SN_SS_EUlS16_E_NS1_11comp_targetILNS1_3genE3ELNS1_11target_archE908ELNS1_3gpuE7ELNS1_3repE0EEENS1_47radix_sort_onesweep_sort_config_static_selectorELNS0_4arch9wavefront6targetE0EEEvSN_: ; @_ZN7rocprim17ROCPRIM_400000_NS6detail17trampoline_kernelINS0_14default_configENS1_35radix_sort_onesweep_config_selectorIjN6thrust23THRUST_200600_302600_NS5tupleIffNS6_9null_typeES8_S8_S8_S8_S8_S8_S8_EEEEZZNS1_29radix_sort_onesweep_iterationIS3_Lb0ENS6_6detail15normal_iteratorINS6_10device_ptrIjEEEESG_NSD_INSE_IS9_EEEESI_jNS0_19identity_decomposerENS1_16block_id_wrapperIjLb0EEEEE10hipError_tT1_PNSt15iterator_traitsISN_E10value_typeET2_T3_PNSO_IST_E10value_typeET4_T5_PSY_SZ_PNS1_23onesweep_lookback_stateEbbT6_jjT7_P12ihipStream_tbENKUlT_T0_SN_SS_E_clISG_SG_SI_SI_EEDaS16_S17_SN_SS_EUlS16_E_NS1_11comp_targetILNS1_3genE3ELNS1_11target_archE908ELNS1_3gpuE7ELNS1_3repE0EEENS1_47radix_sort_onesweep_sort_config_static_selectorELNS0_4arch9wavefront6targetE0EEEvSN_
; %bb.0:
	.section	.rodata,"a",@progbits
	.p2align	6, 0x0
	.amdhsa_kernel _ZN7rocprim17ROCPRIM_400000_NS6detail17trampoline_kernelINS0_14default_configENS1_35radix_sort_onesweep_config_selectorIjN6thrust23THRUST_200600_302600_NS5tupleIffNS6_9null_typeES8_S8_S8_S8_S8_S8_S8_EEEEZZNS1_29radix_sort_onesweep_iterationIS3_Lb0ENS6_6detail15normal_iteratorINS6_10device_ptrIjEEEESG_NSD_INSE_IS9_EEEESI_jNS0_19identity_decomposerENS1_16block_id_wrapperIjLb0EEEEE10hipError_tT1_PNSt15iterator_traitsISN_E10value_typeET2_T3_PNSO_IST_E10value_typeET4_T5_PSY_SZ_PNS1_23onesweep_lookback_stateEbbT6_jjT7_P12ihipStream_tbENKUlT_T0_SN_SS_E_clISG_SG_SI_SI_EEDaS16_S17_SN_SS_EUlS16_E_NS1_11comp_targetILNS1_3genE3ELNS1_11target_archE908ELNS1_3gpuE7ELNS1_3repE0EEENS1_47radix_sort_onesweep_sort_config_static_selectorELNS0_4arch9wavefront6targetE0EEEvSN_
		.amdhsa_group_segment_fixed_size 0
		.amdhsa_private_segment_fixed_size 0
		.amdhsa_kernarg_size 88
		.amdhsa_user_sgpr_count 2
		.amdhsa_user_sgpr_dispatch_ptr 0
		.amdhsa_user_sgpr_queue_ptr 0
		.amdhsa_user_sgpr_kernarg_segment_ptr 1
		.amdhsa_user_sgpr_dispatch_id 0
		.amdhsa_user_sgpr_private_segment_size 0
		.amdhsa_wavefront_size32 1
		.amdhsa_uses_dynamic_stack 0
		.amdhsa_enable_private_segment 0
		.amdhsa_system_sgpr_workgroup_id_x 1
		.amdhsa_system_sgpr_workgroup_id_y 0
		.amdhsa_system_sgpr_workgroup_id_z 0
		.amdhsa_system_sgpr_workgroup_info 0
		.amdhsa_system_vgpr_workitem_id 0
		.amdhsa_next_free_vgpr 1
		.amdhsa_next_free_sgpr 1
		.amdhsa_reserve_vcc 0
		.amdhsa_float_round_mode_32 0
		.amdhsa_float_round_mode_16_64 0
		.amdhsa_float_denorm_mode_32 3
		.amdhsa_float_denorm_mode_16_64 3
		.amdhsa_fp16_overflow 0
		.amdhsa_workgroup_processor_mode 1
		.amdhsa_memory_ordered 1
		.amdhsa_forward_progress 1
		.amdhsa_inst_pref_size 0
		.amdhsa_round_robin_scheduling 0
		.amdhsa_exception_fp_ieee_invalid_op 0
		.amdhsa_exception_fp_denorm_src 0
		.amdhsa_exception_fp_ieee_div_zero 0
		.amdhsa_exception_fp_ieee_overflow 0
		.amdhsa_exception_fp_ieee_underflow 0
		.amdhsa_exception_fp_ieee_inexact 0
		.amdhsa_exception_int_div_zero 0
	.end_amdhsa_kernel
	.section	.text._ZN7rocprim17ROCPRIM_400000_NS6detail17trampoline_kernelINS0_14default_configENS1_35radix_sort_onesweep_config_selectorIjN6thrust23THRUST_200600_302600_NS5tupleIffNS6_9null_typeES8_S8_S8_S8_S8_S8_S8_EEEEZZNS1_29radix_sort_onesweep_iterationIS3_Lb0ENS6_6detail15normal_iteratorINS6_10device_ptrIjEEEESG_NSD_INSE_IS9_EEEESI_jNS0_19identity_decomposerENS1_16block_id_wrapperIjLb0EEEEE10hipError_tT1_PNSt15iterator_traitsISN_E10value_typeET2_T3_PNSO_IST_E10value_typeET4_T5_PSY_SZ_PNS1_23onesweep_lookback_stateEbbT6_jjT7_P12ihipStream_tbENKUlT_T0_SN_SS_E_clISG_SG_SI_SI_EEDaS16_S17_SN_SS_EUlS16_E_NS1_11comp_targetILNS1_3genE3ELNS1_11target_archE908ELNS1_3gpuE7ELNS1_3repE0EEENS1_47radix_sort_onesweep_sort_config_static_selectorELNS0_4arch9wavefront6targetE0EEEvSN_,"axG",@progbits,_ZN7rocprim17ROCPRIM_400000_NS6detail17trampoline_kernelINS0_14default_configENS1_35radix_sort_onesweep_config_selectorIjN6thrust23THRUST_200600_302600_NS5tupleIffNS6_9null_typeES8_S8_S8_S8_S8_S8_S8_EEEEZZNS1_29radix_sort_onesweep_iterationIS3_Lb0ENS6_6detail15normal_iteratorINS6_10device_ptrIjEEEESG_NSD_INSE_IS9_EEEESI_jNS0_19identity_decomposerENS1_16block_id_wrapperIjLb0EEEEE10hipError_tT1_PNSt15iterator_traitsISN_E10value_typeET2_T3_PNSO_IST_E10value_typeET4_T5_PSY_SZ_PNS1_23onesweep_lookback_stateEbbT6_jjT7_P12ihipStream_tbENKUlT_T0_SN_SS_E_clISG_SG_SI_SI_EEDaS16_S17_SN_SS_EUlS16_E_NS1_11comp_targetILNS1_3genE3ELNS1_11target_archE908ELNS1_3gpuE7ELNS1_3repE0EEENS1_47radix_sort_onesweep_sort_config_static_selectorELNS0_4arch9wavefront6targetE0EEEvSN_,comdat
.Lfunc_end207:
	.size	_ZN7rocprim17ROCPRIM_400000_NS6detail17trampoline_kernelINS0_14default_configENS1_35radix_sort_onesweep_config_selectorIjN6thrust23THRUST_200600_302600_NS5tupleIffNS6_9null_typeES8_S8_S8_S8_S8_S8_S8_EEEEZZNS1_29radix_sort_onesweep_iterationIS3_Lb0ENS6_6detail15normal_iteratorINS6_10device_ptrIjEEEESG_NSD_INSE_IS9_EEEESI_jNS0_19identity_decomposerENS1_16block_id_wrapperIjLb0EEEEE10hipError_tT1_PNSt15iterator_traitsISN_E10value_typeET2_T3_PNSO_IST_E10value_typeET4_T5_PSY_SZ_PNS1_23onesweep_lookback_stateEbbT6_jjT7_P12ihipStream_tbENKUlT_T0_SN_SS_E_clISG_SG_SI_SI_EEDaS16_S17_SN_SS_EUlS16_E_NS1_11comp_targetILNS1_3genE3ELNS1_11target_archE908ELNS1_3gpuE7ELNS1_3repE0EEENS1_47radix_sort_onesweep_sort_config_static_selectorELNS0_4arch9wavefront6targetE0EEEvSN_, .Lfunc_end207-_ZN7rocprim17ROCPRIM_400000_NS6detail17trampoline_kernelINS0_14default_configENS1_35radix_sort_onesweep_config_selectorIjN6thrust23THRUST_200600_302600_NS5tupleIffNS6_9null_typeES8_S8_S8_S8_S8_S8_S8_EEEEZZNS1_29radix_sort_onesweep_iterationIS3_Lb0ENS6_6detail15normal_iteratorINS6_10device_ptrIjEEEESG_NSD_INSE_IS9_EEEESI_jNS0_19identity_decomposerENS1_16block_id_wrapperIjLb0EEEEE10hipError_tT1_PNSt15iterator_traitsISN_E10value_typeET2_T3_PNSO_IST_E10value_typeET4_T5_PSY_SZ_PNS1_23onesweep_lookback_stateEbbT6_jjT7_P12ihipStream_tbENKUlT_T0_SN_SS_E_clISG_SG_SI_SI_EEDaS16_S17_SN_SS_EUlS16_E_NS1_11comp_targetILNS1_3genE3ELNS1_11target_archE908ELNS1_3gpuE7ELNS1_3repE0EEENS1_47radix_sort_onesweep_sort_config_static_selectorELNS0_4arch9wavefront6targetE0EEEvSN_
                                        ; -- End function
	.set _ZN7rocprim17ROCPRIM_400000_NS6detail17trampoline_kernelINS0_14default_configENS1_35radix_sort_onesweep_config_selectorIjN6thrust23THRUST_200600_302600_NS5tupleIffNS6_9null_typeES8_S8_S8_S8_S8_S8_S8_EEEEZZNS1_29radix_sort_onesweep_iterationIS3_Lb0ENS6_6detail15normal_iteratorINS6_10device_ptrIjEEEESG_NSD_INSE_IS9_EEEESI_jNS0_19identity_decomposerENS1_16block_id_wrapperIjLb0EEEEE10hipError_tT1_PNSt15iterator_traitsISN_E10value_typeET2_T3_PNSO_IST_E10value_typeET4_T5_PSY_SZ_PNS1_23onesweep_lookback_stateEbbT6_jjT7_P12ihipStream_tbENKUlT_T0_SN_SS_E_clISG_SG_SI_SI_EEDaS16_S17_SN_SS_EUlS16_E_NS1_11comp_targetILNS1_3genE3ELNS1_11target_archE908ELNS1_3gpuE7ELNS1_3repE0EEENS1_47radix_sort_onesweep_sort_config_static_selectorELNS0_4arch9wavefront6targetE0EEEvSN_.num_vgpr, 0
	.set _ZN7rocprim17ROCPRIM_400000_NS6detail17trampoline_kernelINS0_14default_configENS1_35radix_sort_onesweep_config_selectorIjN6thrust23THRUST_200600_302600_NS5tupleIffNS6_9null_typeES8_S8_S8_S8_S8_S8_S8_EEEEZZNS1_29radix_sort_onesweep_iterationIS3_Lb0ENS6_6detail15normal_iteratorINS6_10device_ptrIjEEEESG_NSD_INSE_IS9_EEEESI_jNS0_19identity_decomposerENS1_16block_id_wrapperIjLb0EEEEE10hipError_tT1_PNSt15iterator_traitsISN_E10value_typeET2_T3_PNSO_IST_E10value_typeET4_T5_PSY_SZ_PNS1_23onesweep_lookback_stateEbbT6_jjT7_P12ihipStream_tbENKUlT_T0_SN_SS_E_clISG_SG_SI_SI_EEDaS16_S17_SN_SS_EUlS16_E_NS1_11comp_targetILNS1_3genE3ELNS1_11target_archE908ELNS1_3gpuE7ELNS1_3repE0EEENS1_47radix_sort_onesweep_sort_config_static_selectorELNS0_4arch9wavefront6targetE0EEEvSN_.num_agpr, 0
	.set _ZN7rocprim17ROCPRIM_400000_NS6detail17trampoline_kernelINS0_14default_configENS1_35radix_sort_onesweep_config_selectorIjN6thrust23THRUST_200600_302600_NS5tupleIffNS6_9null_typeES8_S8_S8_S8_S8_S8_S8_EEEEZZNS1_29radix_sort_onesweep_iterationIS3_Lb0ENS6_6detail15normal_iteratorINS6_10device_ptrIjEEEESG_NSD_INSE_IS9_EEEESI_jNS0_19identity_decomposerENS1_16block_id_wrapperIjLb0EEEEE10hipError_tT1_PNSt15iterator_traitsISN_E10value_typeET2_T3_PNSO_IST_E10value_typeET4_T5_PSY_SZ_PNS1_23onesweep_lookback_stateEbbT6_jjT7_P12ihipStream_tbENKUlT_T0_SN_SS_E_clISG_SG_SI_SI_EEDaS16_S17_SN_SS_EUlS16_E_NS1_11comp_targetILNS1_3genE3ELNS1_11target_archE908ELNS1_3gpuE7ELNS1_3repE0EEENS1_47radix_sort_onesweep_sort_config_static_selectorELNS0_4arch9wavefront6targetE0EEEvSN_.numbered_sgpr, 0
	.set _ZN7rocprim17ROCPRIM_400000_NS6detail17trampoline_kernelINS0_14default_configENS1_35radix_sort_onesweep_config_selectorIjN6thrust23THRUST_200600_302600_NS5tupleIffNS6_9null_typeES8_S8_S8_S8_S8_S8_S8_EEEEZZNS1_29radix_sort_onesweep_iterationIS3_Lb0ENS6_6detail15normal_iteratorINS6_10device_ptrIjEEEESG_NSD_INSE_IS9_EEEESI_jNS0_19identity_decomposerENS1_16block_id_wrapperIjLb0EEEEE10hipError_tT1_PNSt15iterator_traitsISN_E10value_typeET2_T3_PNSO_IST_E10value_typeET4_T5_PSY_SZ_PNS1_23onesweep_lookback_stateEbbT6_jjT7_P12ihipStream_tbENKUlT_T0_SN_SS_E_clISG_SG_SI_SI_EEDaS16_S17_SN_SS_EUlS16_E_NS1_11comp_targetILNS1_3genE3ELNS1_11target_archE908ELNS1_3gpuE7ELNS1_3repE0EEENS1_47radix_sort_onesweep_sort_config_static_selectorELNS0_4arch9wavefront6targetE0EEEvSN_.num_named_barrier, 0
	.set _ZN7rocprim17ROCPRIM_400000_NS6detail17trampoline_kernelINS0_14default_configENS1_35radix_sort_onesweep_config_selectorIjN6thrust23THRUST_200600_302600_NS5tupleIffNS6_9null_typeES8_S8_S8_S8_S8_S8_S8_EEEEZZNS1_29radix_sort_onesweep_iterationIS3_Lb0ENS6_6detail15normal_iteratorINS6_10device_ptrIjEEEESG_NSD_INSE_IS9_EEEESI_jNS0_19identity_decomposerENS1_16block_id_wrapperIjLb0EEEEE10hipError_tT1_PNSt15iterator_traitsISN_E10value_typeET2_T3_PNSO_IST_E10value_typeET4_T5_PSY_SZ_PNS1_23onesweep_lookback_stateEbbT6_jjT7_P12ihipStream_tbENKUlT_T0_SN_SS_E_clISG_SG_SI_SI_EEDaS16_S17_SN_SS_EUlS16_E_NS1_11comp_targetILNS1_3genE3ELNS1_11target_archE908ELNS1_3gpuE7ELNS1_3repE0EEENS1_47radix_sort_onesweep_sort_config_static_selectorELNS0_4arch9wavefront6targetE0EEEvSN_.private_seg_size, 0
	.set _ZN7rocprim17ROCPRIM_400000_NS6detail17trampoline_kernelINS0_14default_configENS1_35radix_sort_onesweep_config_selectorIjN6thrust23THRUST_200600_302600_NS5tupleIffNS6_9null_typeES8_S8_S8_S8_S8_S8_S8_EEEEZZNS1_29radix_sort_onesweep_iterationIS3_Lb0ENS6_6detail15normal_iteratorINS6_10device_ptrIjEEEESG_NSD_INSE_IS9_EEEESI_jNS0_19identity_decomposerENS1_16block_id_wrapperIjLb0EEEEE10hipError_tT1_PNSt15iterator_traitsISN_E10value_typeET2_T3_PNSO_IST_E10value_typeET4_T5_PSY_SZ_PNS1_23onesweep_lookback_stateEbbT6_jjT7_P12ihipStream_tbENKUlT_T0_SN_SS_E_clISG_SG_SI_SI_EEDaS16_S17_SN_SS_EUlS16_E_NS1_11comp_targetILNS1_3genE3ELNS1_11target_archE908ELNS1_3gpuE7ELNS1_3repE0EEENS1_47radix_sort_onesweep_sort_config_static_selectorELNS0_4arch9wavefront6targetE0EEEvSN_.uses_vcc, 0
	.set _ZN7rocprim17ROCPRIM_400000_NS6detail17trampoline_kernelINS0_14default_configENS1_35radix_sort_onesweep_config_selectorIjN6thrust23THRUST_200600_302600_NS5tupleIffNS6_9null_typeES8_S8_S8_S8_S8_S8_S8_EEEEZZNS1_29radix_sort_onesweep_iterationIS3_Lb0ENS6_6detail15normal_iteratorINS6_10device_ptrIjEEEESG_NSD_INSE_IS9_EEEESI_jNS0_19identity_decomposerENS1_16block_id_wrapperIjLb0EEEEE10hipError_tT1_PNSt15iterator_traitsISN_E10value_typeET2_T3_PNSO_IST_E10value_typeET4_T5_PSY_SZ_PNS1_23onesweep_lookback_stateEbbT6_jjT7_P12ihipStream_tbENKUlT_T0_SN_SS_E_clISG_SG_SI_SI_EEDaS16_S17_SN_SS_EUlS16_E_NS1_11comp_targetILNS1_3genE3ELNS1_11target_archE908ELNS1_3gpuE7ELNS1_3repE0EEENS1_47radix_sort_onesweep_sort_config_static_selectorELNS0_4arch9wavefront6targetE0EEEvSN_.uses_flat_scratch, 0
	.set _ZN7rocprim17ROCPRIM_400000_NS6detail17trampoline_kernelINS0_14default_configENS1_35radix_sort_onesweep_config_selectorIjN6thrust23THRUST_200600_302600_NS5tupleIffNS6_9null_typeES8_S8_S8_S8_S8_S8_S8_EEEEZZNS1_29radix_sort_onesweep_iterationIS3_Lb0ENS6_6detail15normal_iteratorINS6_10device_ptrIjEEEESG_NSD_INSE_IS9_EEEESI_jNS0_19identity_decomposerENS1_16block_id_wrapperIjLb0EEEEE10hipError_tT1_PNSt15iterator_traitsISN_E10value_typeET2_T3_PNSO_IST_E10value_typeET4_T5_PSY_SZ_PNS1_23onesweep_lookback_stateEbbT6_jjT7_P12ihipStream_tbENKUlT_T0_SN_SS_E_clISG_SG_SI_SI_EEDaS16_S17_SN_SS_EUlS16_E_NS1_11comp_targetILNS1_3genE3ELNS1_11target_archE908ELNS1_3gpuE7ELNS1_3repE0EEENS1_47radix_sort_onesweep_sort_config_static_selectorELNS0_4arch9wavefront6targetE0EEEvSN_.has_dyn_sized_stack, 0
	.set _ZN7rocprim17ROCPRIM_400000_NS6detail17trampoline_kernelINS0_14default_configENS1_35radix_sort_onesweep_config_selectorIjN6thrust23THRUST_200600_302600_NS5tupleIffNS6_9null_typeES8_S8_S8_S8_S8_S8_S8_EEEEZZNS1_29radix_sort_onesweep_iterationIS3_Lb0ENS6_6detail15normal_iteratorINS6_10device_ptrIjEEEESG_NSD_INSE_IS9_EEEESI_jNS0_19identity_decomposerENS1_16block_id_wrapperIjLb0EEEEE10hipError_tT1_PNSt15iterator_traitsISN_E10value_typeET2_T3_PNSO_IST_E10value_typeET4_T5_PSY_SZ_PNS1_23onesweep_lookback_stateEbbT6_jjT7_P12ihipStream_tbENKUlT_T0_SN_SS_E_clISG_SG_SI_SI_EEDaS16_S17_SN_SS_EUlS16_E_NS1_11comp_targetILNS1_3genE3ELNS1_11target_archE908ELNS1_3gpuE7ELNS1_3repE0EEENS1_47radix_sort_onesweep_sort_config_static_selectorELNS0_4arch9wavefront6targetE0EEEvSN_.has_recursion, 0
	.set _ZN7rocprim17ROCPRIM_400000_NS6detail17trampoline_kernelINS0_14default_configENS1_35radix_sort_onesweep_config_selectorIjN6thrust23THRUST_200600_302600_NS5tupleIffNS6_9null_typeES8_S8_S8_S8_S8_S8_S8_EEEEZZNS1_29radix_sort_onesweep_iterationIS3_Lb0ENS6_6detail15normal_iteratorINS6_10device_ptrIjEEEESG_NSD_INSE_IS9_EEEESI_jNS0_19identity_decomposerENS1_16block_id_wrapperIjLb0EEEEE10hipError_tT1_PNSt15iterator_traitsISN_E10value_typeET2_T3_PNSO_IST_E10value_typeET4_T5_PSY_SZ_PNS1_23onesweep_lookback_stateEbbT6_jjT7_P12ihipStream_tbENKUlT_T0_SN_SS_E_clISG_SG_SI_SI_EEDaS16_S17_SN_SS_EUlS16_E_NS1_11comp_targetILNS1_3genE3ELNS1_11target_archE908ELNS1_3gpuE7ELNS1_3repE0EEENS1_47radix_sort_onesweep_sort_config_static_selectorELNS0_4arch9wavefront6targetE0EEEvSN_.has_indirect_call, 0
	.section	.AMDGPU.csdata,"",@progbits
; Kernel info:
; codeLenInByte = 0
; TotalNumSgprs: 0
; NumVgprs: 0
; ScratchSize: 0
; MemoryBound: 0
; FloatMode: 240
; IeeeMode: 1
; LDSByteSize: 0 bytes/workgroup (compile time only)
; SGPRBlocks: 0
; VGPRBlocks: 0
; NumSGPRsForWavesPerEU: 1
; NumVGPRsForWavesPerEU: 1
; Occupancy: 16
; WaveLimiterHint : 0
; COMPUTE_PGM_RSRC2:SCRATCH_EN: 0
; COMPUTE_PGM_RSRC2:USER_SGPR: 2
; COMPUTE_PGM_RSRC2:TRAP_HANDLER: 0
; COMPUTE_PGM_RSRC2:TGID_X_EN: 1
; COMPUTE_PGM_RSRC2:TGID_Y_EN: 0
; COMPUTE_PGM_RSRC2:TGID_Z_EN: 0
; COMPUTE_PGM_RSRC2:TIDIG_COMP_CNT: 0
	.section	.text._ZN7rocprim17ROCPRIM_400000_NS6detail17trampoline_kernelINS0_14default_configENS1_35radix_sort_onesweep_config_selectorIjN6thrust23THRUST_200600_302600_NS5tupleIffNS6_9null_typeES8_S8_S8_S8_S8_S8_S8_EEEEZZNS1_29radix_sort_onesweep_iterationIS3_Lb0ENS6_6detail15normal_iteratorINS6_10device_ptrIjEEEESG_NSD_INSE_IS9_EEEESI_jNS0_19identity_decomposerENS1_16block_id_wrapperIjLb0EEEEE10hipError_tT1_PNSt15iterator_traitsISN_E10value_typeET2_T3_PNSO_IST_E10value_typeET4_T5_PSY_SZ_PNS1_23onesweep_lookback_stateEbbT6_jjT7_P12ihipStream_tbENKUlT_T0_SN_SS_E_clISG_SG_SI_SI_EEDaS16_S17_SN_SS_EUlS16_E_NS1_11comp_targetILNS1_3genE10ELNS1_11target_archE1201ELNS1_3gpuE5ELNS1_3repE0EEENS1_47radix_sort_onesweep_sort_config_static_selectorELNS0_4arch9wavefront6targetE0EEEvSN_,"axG",@progbits,_ZN7rocprim17ROCPRIM_400000_NS6detail17trampoline_kernelINS0_14default_configENS1_35radix_sort_onesweep_config_selectorIjN6thrust23THRUST_200600_302600_NS5tupleIffNS6_9null_typeES8_S8_S8_S8_S8_S8_S8_EEEEZZNS1_29radix_sort_onesweep_iterationIS3_Lb0ENS6_6detail15normal_iteratorINS6_10device_ptrIjEEEESG_NSD_INSE_IS9_EEEESI_jNS0_19identity_decomposerENS1_16block_id_wrapperIjLb0EEEEE10hipError_tT1_PNSt15iterator_traitsISN_E10value_typeET2_T3_PNSO_IST_E10value_typeET4_T5_PSY_SZ_PNS1_23onesweep_lookback_stateEbbT6_jjT7_P12ihipStream_tbENKUlT_T0_SN_SS_E_clISG_SG_SI_SI_EEDaS16_S17_SN_SS_EUlS16_E_NS1_11comp_targetILNS1_3genE10ELNS1_11target_archE1201ELNS1_3gpuE5ELNS1_3repE0EEENS1_47radix_sort_onesweep_sort_config_static_selectorELNS0_4arch9wavefront6targetE0EEEvSN_,comdat
	.protected	_ZN7rocprim17ROCPRIM_400000_NS6detail17trampoline_kernelINS0_14default_configENS1_35radix_sort_onesweep_config_selectorIjN6thrust23THRUST_200600_302600_NS5tupleIffNS6_9null_typeES8_S8_S8_S8_S8_S8_S8_EEEEZZNS1_29radix_sort_onesweep_iterationIS3_Lb0ENS6_6detail15normal_iteratorINS6_10device_ptrIjEEEESG_NSD_INSE_IS9_EEEESI_jNS0_19identity_decomposerENS1_16block_id_wrapperIjLb0EEEEE10hipError_tT1_PNSt15iterator_traitsISN_E10value_typeET2_T3_PNSO_IST_E10value_typeET4_T5_PSY_SZ_PNS1_23onesweep_lookback_stateEbbT6_jjT7_P12ihipStream_tbENKUlT_T0_SN_SS_E_clISG_SG_SI_SI_EEDaS16_S17_SN_SS_EUlS16_E_NS1_11comp_targetILNS1_3genE10ELNS1_11target_archE1201ELNS1_3gpuE5ELNS1_3repE0EEENS1_47radix_sort_onesweep_sort_config_static_selectorELNS0_4arch9wavefront6targetE0EEEvSN_ ; -- Begin function _ZN7rocprim17ROCPRIM_400000_NS6detail17trampoline_kernelINS0_14default_configENS1_35radix_sort_onesweep_config_selectorIjN6thrust23THRUST_200600_302600_NS5tupleIffNS6_9null_typeES8_S8_S8_S8_S8_S8_S8_EEEEZZNS1_29radix_sort_onesweep_iterationIS3_Lb0ENS6_6detail15normal_iteratorINS6_10device_ptrIjEEEESG_NSD_INSE_IS9_EEEESI_jNS0_19identity_decomposerENS1_16block_id_wrapperIjLb0EEEEE10hipError_tT1_PNSt15iterator_traitsISN_E10value_typeET2_T3_PNSO_IST_E10value_typeET4_T5_PSY_SZ_PNS1_23onesweep_lookback_stateEbbT6_jjT7_P12ihipStream_tbENKUlT_T0_SN_SS_E_clISG_SG_SI_SI_EEDaS16_S17_SN_SS_EUlS16_E_NS1_11comp_targetILNS1_3genE10ELNS1_11target_archE1201ELNS1_3gpuE5ELNS1_3repE0EEENS1_47radix_sort_onesweep_sort_config_static_selectorELNS0_4arch9wavefront6targetE0EEEvSN_
	.globl	_ZN7rocprim17ROCPRIM_400000_NS6detail17trampoline_kernelINS0_14default_configENS1_35radix_sort_onesweep_config_selectorIjN6thrust23THRUST_200600_302600_NS5tupleIffNS6_9null_typeES8_S8_S8_S8_S8_S8_S8_EEEEZZNS1_29radix_sort_onesweep_iterationIS3_Lb0ENS6_6detail15normal_iteratorINS6_10device_ptrIjEEEESG_NSD_INSE_IS9_EEEESI_jNS0_19identity_decomposerENS1_16block_id_wrapperIjLb0EEEEE10hipError_tT1_PNSt15iterator_traitsISN_E10value_typeET2_T3_PNSO_IST_E10value_typeET4_T5_PSY_SZ_PNS1_23onesweep_lookback_stateEbbT6_jjT7_P12ihipStream_tbENKUlT_T0_SN_SS_E_clISG_SG_SI_SI_EEDaS16_S17_SN_SS_EUlS16_E_NS1_11comp_targetILNS1_3genE10ELNS1_11target_archE1201ELNS1_3gpuE5ELNS1_3repE0EEENS1_47radix_sort_onesweep_sort_config_static_selectorELNS0_4arch9wavefront6targetE0EEEvSN_
	.p2align	8
	.type	_ZN7rocprim17ROCPRIM_400000_NS6detail17trampoline_kernelINS0_14default_configENS1_35radix_sort_onesweep_config_selectorIjN6thrust23THRUST_200600_302600_NS5tupleIffNS6_9null_typeES8_S8_S8_S8_S8_S8_S8_EEEEZZNS1_29radix_sort_onesweep_iterationIS3_Lb0ENS6_6detail15normal_iteratorINS6_10device_ptrIjEEEESG_NSD_INSE_IS9_EEEESI_jNS0_19identity_decomposerENS1_16block_id_wrapperIjLb0EEEEE10hipError_tT1_PNSt15iterator_traitsISN_E10value_typeET2_T3_PNSO_IST_E10value_typeET4_T5_PSY_SZ_PNS1_23onesweep_lookback_stateEbbT6_jjT7_P12ihipStream_tbENKUlT_T0_SN_SS_E_clISG_SG_SI_SI_EEDaS16_S17_SN_SS_EUlS16_E_NS1_11comp_targetILNS1_3genE10ELNS1_11target_archE1201ELNS1_3gpuE5ELNS1_3repE0EEENS1_47radix_sort_onesweep_sort_config_static_selectorELNS0_4arch9wavefront6targetE0EEEvSN_,@function
_ZN7rocprim17ROCPRIM_400000_NS6detail17trampoline_kernelINS0_14default_configENS1_35radix_sort_onesweep_config_selectorIjN6thrust23THRUST_200600_302600_NS5tupleIffNS6_9null_typeES8_S8_S8_S8_S8_S8_S8_EEEEZZNS1_29radix_sort_onesweep_iterationIS3_Lb0ENS6_6detail15normal_iteratorINS6_10device_ptrIjEEEESG_NSD_INSE_IS9_EEEESI_jNS0_19identity_decomposerENS1_16block_id_wrapperIjLb0EEEEE10hipError_tT1_PNSt15iterator_traitsISN_E10value_typeET2_T3_PNSO_IST_E10value_typeET4_T5_PSY_SZ_PNS1_23onesweep_lookback_stateEbbT6_jjT7_P12ihipStream_tbENKUlT_T0_SN_SS_E_clISG_SG_SI_SI_EEDaS16_S17_SN_SS_EUlS16_E_NS1_11comp_targetILNS1_3genE10ELNS1_11target_archE1201ELNS1_3gpuE5ELNS1_3repE0EEENS1_47radix_sort_onesweep_sort_config_static_selectorELNS0_4arch9wavefront6targetE0EEEvSN_: ; @_ZN7rocprim17ROCPRIM_400000_NS6detail17trampoline_kernelINS0_14default_configENS1_35radix_sort_onesweep_config_selectorIjN6thrust23THRUST_200600_302600_NS5tupleIffNS6_9null_typeES8_S8_S8_S8_S8_S8_S8_EEEEZZNS1_29radix_sort_onesweep_iterationIS3_Lb0ENS6_6detail15normal_iteratorINS6_10device_ptrIjEEEESG_NSD_INSE_IS9_EEEESI_jNS0_19identity_decomposerENS1_16block_id_wrapperIjLb0EEEEE10hipError_tT1_PNSt15iterator_traitsISN_E10value_typeET2_T3_PNSO_IST_E10value_typeET4_T5_PSY_SZ_PNS1_23onesweep_lookback_stateEbbT6_jjT7_P12ihipStream_tbENKUlT_T0_SN_SS_E_clISG_SG_SI_SI_EEDaS16_S17_SN_SS_EUlS16_E_NS1_11comp_targetILNS1_3genE10ELNS1_11target_archE1201ELNS1_3gpuE5ELNS1_3repE0EEENS1_47radix_sort_onesweep_sort_config_static_selectorELNS0_4arch9wavefront6targetE0EEEvSN_
; %bb.0:
	s_clause 0x3
	s_load_b96 s[40:42], s[0:1], 0x44
	s_load_b256 s[24:31], s[0:1], 0x0
	s_load_b128 s[36:39], s[0:1], 0x28
	s_load_b64 s[34:35], s[0:1], 0x38
	v_and_b32_e32 v1, 0x3ff, v0
	v_mbcnt_lo_u32_b32 v36, -1, 0
	s_mov_b32 s2, -1
	s_add_nc_u64 s[44:45], s[0:1], 0x58
	s_wait_kmcnt 0x0
	s_cmp_ge_u32 ttmp9, s42
	s_cbranch_scc0 .LBB208_148
; %bb.1:
	s_load_b32 s4, s[0:1], 0x20
	v_dual_mov_b32 v11, -1 :: v_dual_lshlrev_b32 v2, 4, v1
	s_lshl_b32 s5, s42, 14
	s_lshl_b32 s42, ttmp9, 14
	s_mov_b32 s43, 0
	s_delay_alu instid0(VALU_DEP_1)
	v_and_b32_e32 v10, 0x3e00, v2
	v_lshlrev_b32_e32 v2, 2, v36
	s_lshl_b64 s[2:3], s[42:43], 2
	v_mov_b32_e32 v12, -1
	s_add_nc_u64 s[2:3], s[24:25], s[2:3]
	v_lshlrev_b32_e32 v3, 2, v10
	v_add_co_u32 v2, s2, s2, v2
	s_wait_alu 0xf1ff
	v_add_co_ci_u32_e64 v5, null, s3, 0, s2
	v_or_b32_e32 v4, v36, v10
	s_delay_alu instid0(VALU_DEP_3) | instskip(NEXT) | instid1(VALU_DEP_1)
	v_add_co_u32 v2, vcc_lo, v2, v3
	v_add_co_ci_u32_e64 v3, null, 0, v5, vcc_lo
	s_wait_kmcnt 0x0
	s_sub_co_i32 s33, s4, s5
	s_delay_alu instid0(SALU_CYCLE_1)
	v_cmp_gt_u32_e64 s17, s33, v4
	s_and_saveexec_b32 s2, s17
	s_cbranch_execz .LBB208_3
; %bb.2:
	global_load_b32 v12, v[2:3], off
.LBB208_3:
	s_wait_alu 0xfffe
	s_or_b32 exec_lo, exec_lo, s2
	v_or_b32_e32 v5, 32, v4
	s_delay_alu instid0(VALU_DEP_1)
	v_cmp_gt_u32_e64 s16, s33, v5
	s_and_saveexec_b32 s2, s16
	s_cbranch_execz .LBB208_5
; %bb.4:
	global_load_b32 v11, v[2:3], off offset:128
.LBB208_5:
	s_wait_alu 0xfffe
	s_or_b32 exec_lo, exec_lo, s2
	v_or_b32_e32 v5, 64, v4
	v_dual_mov_b32 v13, -1 :: v_dual_mov_b32 v14, -1
	s_delay_alu instid0(VALU_DEP_2)
	v_cmp_gt_u32_e64 s15, s33, v5
	s_and_saveexec_b32 s2, s15
	s_cbranch_execz .LBB208_7
; %bb.6:
	global_load_b32 v14, v[2:3], off offset:256
.LBB208_7:
	s_wait_alu 0xfffe
	s_or_b32 exec_lo, exec_lo, s2
	v_or_b32_e32 v5, 0x60, v4
	s_delay_alu instid0(VALU_DEP_1)
	v_cmp_gt_u32_e64 s14, s33, v5
	s_and_saveexec_b32 s2, s14
	s_cbranch_execz .LBB208_9
; %bb.8:
	global_load_b32 v13, v[2:3], off offset:384
.LBB208_9:
	s_wait_alu 0xfffe
	s_or_b32 exec_lo, exec_lo, s2
	v_or_b32_e32 v5, 0x80, v4
	v_dual_mov_b32 v15, -1 :: v_dual_mov_b32 v16, -1
	s_delay_alu instid0(VALU_DEP_2)
	v_cmp_gt_u32_e64 s13, s33, v5
	s_and_saveexec_b32 s2, s13
	s_cbranch_execz .LBB208_11
; %bb.10:
	global_load_b32 v16, v[2:3], off offset:512
.LBB208_11:
	;; [unrolled: 21-line block ×7, first 2 shown]
	s_wait_alu 0xfffe
	s_or_b32 exec_lo, exec_lo, s2
	v_or_b32_e32 v4, 0x1e0, v4
	s_delay_alu instid0(VALU_DEP_1)
	v_cmp_gt_u32_e64 s2, s33, v4
	s_and_saveexec_b32 s18, s2
	s_cbranch_execz .LBB208_33
; %bb.32:
	global_load_b32 v25, v[2:3], off offset:1920
.LBB208_33:
	s_or_b32 exec_lo, exec_lo, s18
	s_clause 0x1
	s_load_b32 s46, s[0:1], 0x58
	s_load_u16 s20, s[0:1], 0x66
	s_wait_loadcnt 0x0
	v_lshrrev_b32_e32 v2, s40, v12
	v_mul_u32_u24_e32 v30, 36, v1
	s_wait_kmcnt 0x0
	s_cmp_lt_u32 ttmp9, s46
	s_cselect_b32 s18, 12, 18
	s_lshl_b32 s19, -1, s41
	s_delay_alu instid0(SALU_CYCLE_1)
	s_not_b32 s47, s19
	s_mov_b32 s19, 0
	v_and_b32_e32 v4, s47, v2
	s_add_nc_u64 s[18:19], s[44:45], s[18:19]
	v_bfe_u32 v2, v0, 10, 10
	s_load_u16 s19, s[18:19], 0x0
	s_delay_alu instid0(VALU_DEP_2)
	v_and_b32_e32 v3, 1, v4
	v_lshlrev_b32_e32 v5, 30, v4
	v_lshlrev_b32_e32 v6, 29, v4
	;; [unrolled: 1-line block ×4, first 2 shown]
	v_add_co_u32 v3, s18, v3, -1
	s_delay_alu instid0(VALU_DEP_1) | instskip(SKIP_3) | instid1(VALU_DEP_4)
	v_cndmask_b32_e64 v8, 0, 1, s18
	v_not_b32_e32 v29, v5
	v_cmp_gt_i32_e64 s18, 0, v5
	v_not_b32_e32 v5, v6
	v_cmp_ne_u32_e32 vcc_lo, 0, v8
	s_delay_alu instid0(VALU_DEP_4) | instskip(NEXT) | instid1(VALU_DEP_3)
	v_ashrrev_i32_e32 v29, 31, v29
	v_ashrrev_i32_e32 v5, 31, v5
	s_wait_alu 0xfffd
	v_xor_b32_e32 v3, vcc_lo, v3
	v_cmp_gt_i32_e32 vcc_lo, 0, v6
	v_not_b32_e32 v6, v7
	s_wait_alu 0xf1ff
	v_xor_b32_e32 v29, s18, v29
	v_cmp_gt_i32_e64 s18, 0, v7
	v_and_b32_e32 v3, exec_lo, v3
	v_not_b32_e32 v7, v9
	v_ashrrev_i32_e32 v6, 31, v6
	s_wait_alu 0xfffd
	v_xor_b32_e32 v5, vcc_lo, v5
	v_cmp_gt_i32_e32 vcc_lo, 0, v9
	v_and_b32_e32 v3, v3, v29
	v_ashrrev_i32_e32 v7, 31, v7
	s_wait_alu 0xf1ff
	v_xor_b32_e32 v6, s18, v6
	s_delay_alu instid0(VALU_DEP_3) | instskip(SKIP_2) | instid1(VALU_DEP_2)
	v_and_b32_e32 v3, v3, v5
	s_wait_alu 0xfffd
	v_xor_b32_e32 v7, vcc_lo, v7
	v_and_b32_e32 v3, v3, v6
	s_delay_alu instid0(VALU_DEP_1) | instskip(SKIP_1) | instid1(VALU_DEP_1)
	v_and_b32_e32 v3, v3, v7
	v_bfe_u32 v7, v0, 20, 10
	v_mad_u32_u24 v2, v7, s20, v2
	v_mov_b32_e32 v7, 0
	v_lshlrev_b32_e32 v27, 26, v4
	v_lshlrev_b32_e32 v28, 25, v4
	v_lshlrev_b32_e32 v8, 24, v4
	v_mul_lo_u32 v4, 0x84, v4
	ds_store_2addr_b32 v30, v7, v7 offset0:32 offset1:33
	ds_store_2addr_b32 v30, v7, v7 offset0:34 offset1:35
	;; [unrolled: 1-line block ×4, first 2 shown]
	v_not_b32_e32 v9, v27
	v_cmp_gt_i32_e64 s18, 0, v27
	v_not_b32_e32 v5, v28
	v_cmp_gt_i32_e32 vcc_lo, 0, v28
	v_not_b32_e32 v6, v8
	v_ashrrev_i32_e32 v9, 31, v9
	ds_store_b32 v30, v7 offset:160
	v_ashrrev_i32_e32 v5, 31, v5
	s_wait_dscnt 0x0
	v_ashrrev_i32_e32 v6, 31, v6
	s_wait_alu 0xf1ff
	v_xor_b32_e32 v9, s18, v9
	v_cmp_gt_i32_e64 s18, 0, v8
	s_wait_alu 0xfffd
	v_xor_b32_e32 v5, vcc_lo, v5
	s_barrier_signal -1
	s_barrier_wait -1
	v_and_b32_e32 v3, v3, v9
	s_wait_alu 0xf1ff
	v_xor_b32_e32 v6, s18, v6
	global_inv scope:SCOPE_SE
	; wave barrier
	v_and_b32_e32 v5, v3, v5
	s_wait_kmcnt 0x0
	v_mad_co_u64_u32 v[2:3], null, v2, s19, v[1:2]
	s_delay_alu instid0(VALU_DEP_2) | instskip(NEXT) | instid1(VALU_DEP_2)
	v_and_b32_e32 v3, v5, v6
	v_lshrrev_b32_e32 v2, 3, v2
	s_delay_alu instid0(VALU_DEP_2) | instskip(SKIP_1) | instid1(VALU_DEP_3)
	v_mbcnt_lo_u32_b32 v27, v3, 0
	v_cmp_ne_u32_e64 s18, 0, v3
	v_and_b32_e32 v2, 0x1ffffffc, v2
	s_delay_alu instid0(VALU_DEP_3) | instskip(NEXT) | instid1(VALU_DEP_2)
	v_cmp_eq_u32_e32 vcc_lo, 0, v27
	v_add_nc_u32_e32 v31, v2, v4
	s_and_b32 s19, s18, vcc_lo
	s_wait_alu 0xfffe
	s_and_saveexec_b32 s18, s19
; %bb.34:
	v_bcnt_u32_b32 v3, v3, 0
	ds_store_b32 v31, v3 offset:128
; %bb.35:
	s_wait_alu 0xfffe
	s_or_b32 exec_lo, exec_lo, s18
	v_lshrrev_b32_e32 v3, s40, v11
	; wave barrier
	s_delay_alu instid0(VALU_DEP_1) | instskip(NEXT) | instid1(VALU_DEP_1)
	v_and_b32_e32 v3, s47, v3
	v_and_b32_e32 v5, 1, v3
	v_lshlrev_b32_e32 v6, 30, v3
	v_lshlrev_b32_e32 v7, 29, v3
	;; [unrolled: 1-line block ×4, first 2 shown]
	v_add_co_u32 v5, s18, v5, -1
	s_wait_alu 0xf1ff
	v_cndmask_b32_e64 v9, 0, 1, s18
	v_not_b32_e32 v33, v6
	v_cmp_gt_i32_e64 s18, 0, v6
	v_not_b32_e32 v6, v7
	v_lshlrev_b32_e32 v29, 26, v3
	v_cmp_ne_u32_e32 vcc_lo, 0, v9
	v_ashrrev_i32_e32 v9, 31, v33
	v_lshlrev_b32_e32 v32, 25, v3
	v_ashrrev_i32_e32 v6, 31, v6
	v_mul_lo_u32 v4, 0x84, v3
	s_wait_alu 0xfffd
	v_xor_b32_e32 v5, vcc_lo, v5
	v_cmp_gt_i32_e32 vcc_lo, 0, v7
	v_not_b32_e32 v7, v8
	s_wait_alu 0xf1ff
	v_xor_b32_e32 v9, s18, v9
	v_cmp_gt_i32_e64 s18, 0, v8
	v_and_b32_e32 v5, exec_lo, v5
	v_not_b32_e32 v8, v28
	v_ashrrev_i32_e32 v7, 31, v7
	s_wait_alu 0xfffd
	v_xor_b32_e32 v6, vcc_lo, v6
	v_cmp_gt_i32_e32 vcc_lo, 0, v28
	v_and_b32_e32 v5, v5, v9
	v_not_b32_e32 v9, v29
	v_ashrrev_i32_e32 v8, 31, v8
	s_wait_alu 0xf1ff
	v_xor_b32_e32 v7, s18, v7
	v_lshlrev_b32_e32 v3, 24, v3
	v_and_b32_e32 v5, v5, v6
	v_cmp_gt_i32_e64 s18, 0, v29
	v_not_b32_e32 v6, v32
	v_ashrrev_i32_e32 v9, 31, v9
	s_wait_alu 0xfffd
	v_xor_b32_e32 v8, vcc_lo, v8
	v_and_b32_e32 v5, v5, v7
	v_cmp_gt_i32_e32 vcc_lo, 0, v32
	v_not_b32_e32 v7, v3
	v_ashrrev_i32_e32 v6, 31, v6
	s_wait_alu 0xf1ff
	v_xor_b32_e32 v9, s18, v9
	v_and_b32_e32 v5, v5, v8
	v_cmp_gt_i32_e64 s18, 0, v3
	v_ashrrev_i32_e32 v3, 31, v7
	s_wait_alu 0xfffd
	v_xor_b32_e32 v6, vcc_lo, v6
	v_add_nc_u32_e32 v34, v2, v4
	v_and_b32_e32 v5, v5, v9
	s_wait_alu 0xf1ff
	v_xor_b32_e32 v3, s18, v3
	ds_load_b32 v28, v34 offset:128
	v_and_b32_e32 v4, v5, v6
	; wave barrier
	s_delay_alu instid0(VALU_DEP_1) | instskip(NEXT) | instid1(VALU_DEP_1)
	v_and_b32_e32 v3, v4, v3
	v_mbcnt_lo_u32_b32 v29, v3, 0
	v_cmp_ne_u32_e64 s18, 0, v3
	s_delay_alu instid0(VALU_DEP_2)
	v_cmp_eq_u32_e32 vcc_lo, 0, v29
	s_and_b32 s19, s18, vcc_lo
	s_wait_alu 0xfffe
	s_and_saveexec_b32 s18, s19
	s_cbranch_execz .LBB208_37
; %bb.36:
	s_wait_dscnt 0x0
	v_bcnt_u32_b32 v3, v3, v28
	ds_store_b32 v34, v3 offset:128
.LBB208_37:
	s_wait_alu 0xfffe
	s_or_b32 exec_lo, exec_lo, s18
	v_lshrrev_b32_e32 v3, s40, v14
	; wave barrier
	s_delay_alu instid0(VALU_DEP_1) | instskip(NEXT) | instid1(VALU_DEP_1)
	v_and_b32_e32 v3, s47, v3
	v_and_b32_e32 v5, 1, v3
	v_lshlrev_b32_e32 v6, 30, v3
	v_lshlrev_b32_e32 v7, 29, v3
	;; [unrolled: 1-line block ×4, first 2 shown]
	v_add_co_u32 v5, s18, v5, -1
	s_wait_alu 0xf1ff
	v_cndmask_b32_e64 v9, 0, 1, s18
	v_not_b32_e32 v37, v6
	v_cmp_gt_i32_e64 s18, 0, v6
	v_not_b32_e32 v6, v7
	v_lshlrev_b32_e32 v33, 26, v3
	v_cmp_ne_u32_e32 vcc_lo, 0, v9
	v_ashrrev_i32_e32 v9, 31, v37
	v_lshlrev_b32_e32 v35, 25, v3
	v_ashrrev_i32_e32 v6, 31, v6
	v_mul_lo_u32 v4, 0x84, v3
	s_wait_alu 0xfffd
	v_xor_b32_e32 v5, vcc_lo, v5
	v_cmp_gt_i32_e32 vcc_lo, 0, v7
	v_not_b32_e32 v7, v8
	s_wait_alu 0xf1ff
	v_xor_b32_e32 v9, s18, v9
	v_cmp_gt_i32_e64 s18, 0, v8
	v_and_b32_e32 v5, exec_lo, v5
	v_not_b32_e32 v8, v32
	v_ashrrev_i32_e32 v7, 31, v7
	s_wait_alu 0xfffd
	v_xor_b32_e32 v6, vcc_lo, v6
	v_cmp_gt_i32_e32 vcc_lo, 0, v32
	v_and_b32_e32 v5, v5, v9
	v_not_b32_e32 v9, v33
	v_ashrrev_i32_e32 v8, 31, v8
	s_wait_alu 0xf1ff
	v_xor_b32_e32 v7, s18, v7
	v_lshlrev_b32_e32 v3, 24, v3
	v_and_b32_e32 v5, v5, v6
	v_cmp_gt_i32_e64 s18, 0, v33
	v_not_b32_e32 v6, v35
	v_ashrrev_i32_e32 v9, 31, v9
	s_wait_alu 0xfffd
	v_xor_b32_e32 v8, vcc_lo, v8
	v_and_b32_e32 v5, v5, v7
	v_cmp_gt_i32_e32 vcc_lo, 0, v35
	v_not_b32_e32 v7, v3
	v_ashrrev_i32_e32 v6, 31, v6
	s_wait_alu 0xf1ff
	v_xor_b32_e32 v9, s18, v9
	v_and_b32_e32 v5, v5, v8
	v_cmp_gt_i32_e64 s18, 0, v3
	v_ashrrev_i32_e32 v3, 31, v7
	s_wait_alu 0xfffd
	v_xor_b32_e32 v6, vcc_lo, v6
	v_add_nc_u32_e32 v38, v2, v4
	v_and_b32_e32 v5, v5, v9
	s_wait_alu 0xf1ff
	v_xor_b32_e32 v3, s18, v3
	ds_load_b32 v32, v38 offset:128
	v_and_b32_e32 v4, v5, v6
	; wave barrier
	s_delay_alu instid0(VALU_DEP_1) | instskip(NEXT) | instid1(VALU_DEP_1)
	v_and_b32_e32 v3, v4, v3
	v_mbcnt_lo_u32_b32 v33, v3, 0
	v_cmp_ne_u32_e64 s18, 0, v3
	s_delay_alu instid0(VALU_DEP_2)
	v_cmp_eq_u32_e32 vcc_lo, 0, v33
	s_and_b32 s19, s18, vcc_lo
	s_wait_alu 0xfffe
	s_and_saveexec_b32 s18, s19
	s_cbranch_execz .LBB208_39
; %bb.38:
	s_wait_dscnt 0x0
	v_bcnt_u32_b32 v3, v3, v32
	ds_store_b32 v38, v3 offset:128
.LBB208_39:
	s_wait_alu 0xfffe
	s_or_b32 exec_lo, exec_lo, s18
	v_lshrrev_b32_e32 v3, s40, v13
	; wave barrier
	s_delay_alu instid0(VALU_DEP_1) | instskip(NEXT) | instid1(VALU_DEP_1)
	v_and_b32_e32 v3, s47, v3
	v_and_b32_e32 v5, 1, v3
	v_lshlrev_b32_e32 v6, 30, v3
	v_lshlrev_b32_e32 v7, 29, v3
	;; [unrolled: 1-line block ×4, first 2 shown]
	v_add_co_u32 v5, s18, v5, -1
	s_wait_alu 0xf1ff
	v_cndmask_b32_e64 v9, 0, 1, s18
	v_not_b32_e32 v40, v6
	v_cmp_gt_i32_e64 s18, 0, v6
	v_not_b32_e32 v6, v7
	v_lshlrev_b32_e32 v37, 26, v3
	v_cmp_ne_u32_e32 vcc_lo, 0, v9
	v_ashrrev_i32_e32 v9, 31, v40
	v_lshlrev_b32_e32 v39, 25, v3
	v_ashrrev_i32_e32 v6, 31, v6
	v_mul_lo_u32 v4, 0x84, v3
	s_wait_alu 0xfffd
	v_xor_b32_e32 v5, vcc_lo, v5
	v_cmp_gt_i32_e32 vcc_lo, 0, v7
	v_not_b32_e32 v7, v8
	s_wait_alu 0xf1ff
	v_xor_b32_e32 v9, s18, v9
	v_cmp_gt_i32_e64 s18, 0, v8
	v_and_b32_e32 v5, exec_lo, v5
	v_not_b32_e32 v8, v35
	v_ashrrev_i32_e32 v7, 31, v7
	s_wait_alu 0xfffd
	v_xor_b32_e32 v6, vcc_lo, v6
	v_cmp_gt_i32_e32 vcc_lo, 0, v35
	v_and_b32_e32 v5, v5, v9
	v_not_b32_e32 v9, v37
	v_ashrrev_i32_e32 v8, 31, v8
	s_wait_alu 0xf1ff
	v_xor_b32_e32 v7, s18, v7
	v_lshlrev_b32_e32 v3, 24, v3
	v_and_b32_e32 v5, v5, v6
	v_cmp_gt_i32_e64 s18, 0, v37
	v_not_b32_e32 v6, v39
	v_ashrrev_i32_e32 v9, 31, v9
	s_wait_alu 0xfffd
	v_xor_b32_e32 v8, vcc_lo, v8
	v_and_b32_e32 v5, v5, v7
	v_cmp_gt_i32_e32 vcc_lo, 0, v39
	v_not_b32_e32 v7, v3
	v_ashrrev_i32_e32 v6, 31, v6
	s_wait_alu 0xf1ff
	v_xor_b32_e32 v9, s18, v9
	v_and_b32_e32 v5, v5, v8
	v_cmp_gt_i32_e64 s18, 0, v3
	v_ashrrev_i32_e32 v3, 31, v7
	s_wait_alu 0xfffd
	v_xor_b32_e32 v6, vcc_lo, v6
	v_add_nc_u32_e32 v41, v2, v4
	v_and_b32_e32 v5, v5, v9
	s_wait_alu 0xf1ff
	v_xor_b32_e32 v3, s18, v3
	ds_load_b32 v35, v41 offset:128
	v_and_b32_e32 v4, v5, v6
	; wave barrier
	s_delay_alu instid0(VALU_DEP_1) | instskip(NEXT) | instid1(VALU_DEP_1)
	v_and_b32_e32 v3, v4, v3
	v_mbcnt_lo_u32_b32 v37, v3, 0
	v_cmp_ne_u32_e64 s18, 0, v3
	s_delay_alu instid0(VALU_DEP_2)
	v_cmp_eq_u32_e32 vcc_lo, 0, v37
	s_and_b32 s19, s18, vcc_lo
	s_wait_alu 0xfffe
	s_and_saveexec_b32 s18, s19
	s_cbranch_execz .LBB208_41
; %bb.40:
	s_wait_dscnt 0x0
	v_bcnt_u32_b32 v3, v3, v35
	ds_store_b32 v41, v3 offset:128
.LBB208_41:
	s_wait_alu 0xfffe
	s_or_b32 exec_lo, exec_lo, s18
	v_lshrrev_b32_e32 v3, s40, v16
	; wave barrier
	s_delay_alu instid0(VALU_DEP_1) | instskip(NEXT) | instid1(VALU_DEP_1)
	v_and_b32_e32 v3, s47, v3
	v_and_b32_e32 v5, 1, v3
	v_lshlrev_b32_e32 v6, 30, v3
	v_lshlrev_b32_e32 v7, 29, v3
	;; [unrolled: 1-line block ×4, first 2 shown]
	v_add_co_u32 v5, s18, v5, -1
	s_wait_alu 0xf1ff
	v_cndmask_b32_e64 v9, 0, 1, s18
	v_not_b32_e32 v43, v6
	v_cmp_gt_i32_e64 s18, 0, v6
	v_not_b32_e32 v6, v7
	v_lshlrev_b32_e32 v40, 26, v3
	v_cmp_ne_u32_e32 vcc_lo, 0, v9
	v_ashrrev_i32_e32 v9, 31, v43
	v_lshlrev_b32_e32 v42, 25, v3
	v_ashrrev_i32_e32 v6, 31, v6
	v_mul_lo_u32 v4, 0x84, v3
	s_wait_alu 0xfffd
	v_xor_b32_e32 v5, vcc_lo, v5
	v_cmp_gt_i32_e32 vcc_lo, 0, v7
	v_not_b32_e32 v7, v8
	s_wait_alu 0xf1ff
	v_xor_b32_e32 v9, s18, v9
	v_cmp_gt_i32_e64 s18, 0, v8
	v_and_b32_e32 v5, exec_lo, v5
	v_not_b32_e32 v8, v39
	v_ashrrev_i32_e32 v7, 31, v7
	s_wait_alu 0xfffd
	v_xor_b32_e32 v6, vcc_lo, v6
	v_cmp_gt_i32_e32 vcc_lo, 0, v39
	v_and_b32_e32 v5, v5, v9
	v_not_b32_e32 v9, v40
	v_ashrrev_i32_e32 v8, 31, v8
	s_wait_alu 0xf1ff
	v_xor_b32_e32 v7, s18, v7
	v_lshlrev_b32_e32 v3, 24, v3
	v_and_b32_e32 v5, v5, v6
	v_cmp_gt_i32_e64 s18, 0, v40
	v_not_b32_e32 v6, v42
	v_ashrrev_i32_e32 v9, 31, v9
	s_wait_alu 0xfffd
	v_xor_b32_e32 v8, vcc_lo, v8
	v_and_b32_e32 v5, v5, v7
	v_cmp_gt_i32_e32 vcc_lo, 0, v42
	v_not_b32_e32 v7, v3
	v_ashrrev_i32_e32 v6, 31, v6
	s_wait_alu 0xf1ff
	v_xor_b32_e32 v9, s18, v9
	v_and_b32_e32 v5, v5, v8
	v_cmp_gt_i32_e64 s18, 0, v3
	v_ashrrev_i32_e32 v3, 31, v7
	s_wait_alu 0xfffd
	v_xor_b32_e32 v6, vcc_lo, v6
	v_add_nc_u32_e32 v44, v2, v4
	v_and_b32_e32 v5, v5, v9
	s_wait_alu 0xf1ff
	v_xor_b32_e32 v3, s18, v3
	ds_load_b32 v39, v44 offset:128
	v_and_b32_e32 v4, v5, v6
	; wave barrier
	s_delay_alu instid0(VALU_DEP_1) | instskip(NEXT) | instid1(VALU_DEP_1)
	v_and_b32_e32 v3, v4, v3
	v_mbcnt_lo_u32_b32 v40, v3, 0
	v_cmp_ne_u32_e64 s18, 0, v3
	s_delay_alu instid0(VALU_DEP_2)
	v_cmp_eq_u32_e32 vcc_lo, 0, v40
	s_and_b32 s19, s18, vcc_lo
	s_wait_alu 0xfffe
	s_and_saveexec_b32 s18, s19
	s_cbranch_execz .LBB208_43
; %bb.42:
	s_wait_dscnt 0x0
	v_bcnt_u32_b32 v3, v3, v39
	ds_store_b32 v44, v3 offset:128
.LBB208_43:
	s_wait_alu 0xfffe
	s_or_b32 exec_lo, exec_lo, s18
	v_lshrrev_b32_e32 v3, s40, v15
	; wave barrier
	s_delay_alu instid0(VALU_DEP_1) | instskip(NEXT) | instid1(VALU_DEP_1)
	v_and_b32_e32 v3, s47, v3
	v_and_b32_e32 v5, 1, v3
	v_lshlrev_b32_e32 v6, 30, v3
	v_lshlrev_b32_e32 v7, 29, v3
	v_lshlrev_b32_e32 v8, 28, v3
	v_lshlrev_b32_e32 v42, 27, v3
	v_add_co_u32 v5, s18, v5, -1
	s_wait_alu 0xf1ff
	v_cndmask_b32_e64 v9, 0, 1, s18
	v_not_b32_e32 v46, v6
	v_cmp_gt_i32_e64 s18, 0, v6
	v_not_b32_e32 v6, v7
	v_lshlrev_b32_e32 v43, 26, v3
	v_cmp_ne_u32_e32 vcc_lo, 0, v9
	v_ashrrev_i32_e32 v9, 31, v46
	v_lshlrev_b32_e32 v45, 25, v3
	v_ashrrev_i32_e32 v6, 31, v6
	v_mul_lo_u32 v4, 0x84, v3
	s_wait_alu 0xfffd
	v_xor_b32_e32 v5, vcc_lo, v5
	v_cmp_gt_i32_e32 vcc_lo, 0, v7
	v_not_b32_e32 v7, v8
	s_wait_alu 0xf1ff
	v_xor_b32_e32 v9, s18, v9
	v_cmp_gt_i32_e64 s18, 0, v8
	v_and_b32_e32 v5, exec_lo, v5
	v_not_b32_e32 v8, v42
	v_ashrrev_i32_e32 v7, 31, v7
	s_wait_alu 0xfffd
	v_xor_b32_e32 v6, vcc_lo, v6
	v_cmp_gt_i32_e32 vcc_lo, 0, v42
	v_and_b32_e32 v5, v5, v9
	v_not_b32_e32 v9, v43
	v_ashrrev_i32_e32 v8, 31, v8
	s_wait_alu 0xf1ff
	v_xor_b32_e32 v7, s18, v7
	v_lshlrev_b32_e32 v3, 24, v3
	v_and_b32_e32 v5, v5, v6
	v_cmp_gt_i32_e64 s18, 0, v43
	v_not_b32_e32 v6, v45
	v_ashrrev_i32_e32 v9, 31, v9
	s_wait_alu 0xfffd
	v_xor_b32_e32 v8, vcc_lo, v8
	v_and_b32_e32 v5, v5, v7
	v_cmp_gt_i32_e32 vcc_lo, 0, v45
	v_not_b32_e32 v7, v3
	v_ashrrev_i32_e32 v6, 31, v6
	s_wait_alu 0xf1ff
	v_xor_b32_e32 v9, s18, v9
	v_and_b32_e32 v5, v5, v8
	v_cmp_gt_i32_e64 s18, 0, v3
	v_ashrrev_i32_e32 v3, 31, v7
	s_wait_alu 0xfffd
	v_xor_b32_e32 v6, vcc_lo, v6
	v_add_nc_u32_e32 v47, v2, v4
	v_and_b32_e32 v5, v5, v9
	s_wait_alu 0xf1ff
	v_xor_b32_e32 v3, s18, v3
	ds_load_b32 v42, v47 offset:128
	v_and_b32_e32 v4, v5, v6
	; wave barrier
	s_delay_alu instid0(VALU_DEP_1) | instskip(NEXT) | instid1(VALU_DEP_1)
	v_and_b32_e32 v3, v4, v3
	v_mbcnt_lo_u32_b32 v43, v3, 0
	v_cmp_ne_u32_e64 s18, 0, v3
	s_delay_alu instid0(VALU_DEP_2)
	v_cmp_eq_u32_e32 vcc_lo, 0, v43
	s_and_b32 s19, s18, vcc_lo
	s_wait_alu 0xfffe
	s_and_saveexec_b32 s18, s19
	s_cbranch_execz .LBB208_45
; %bb.44:
	s_wait_dscnt 0x0
	v_bcnt_u32_b32 v3, v3, v42
	ds_store_b32 v47, v3 offset:128
.LBB208_45:
	s_wait_alu 0xfffe
	s_or_b32 exec_lo, exec_lo, s18
	v_lshrrev_b32_e32 v3, s40, v18
	; wave barrier
	s_delay_alu instid0(VALU_DEP_1) | instskip(NEXT) | instid1(VALU_DEP_1)
	v_and_b32_e32 v3, s47, v3
	v_and_b32_e32 v5, 1, v3
	v_lshlrev_b32_e32 v6, 30, v3
	v_lshlrev_b32_e32 v7, 29, v3
	;; [unrolled: 1-line block ×4, first 2 shown]
	v_add_co_u32 v5, s18, v5, -1
	s_wait_alu 0xf1ff
	v_cndmask_b32_e64 v9, 0, 1, s18
	v_not_b32_e32 v49, v6
	v_cmp_gt_i32_e64 s18, 0, v6
	v_not_b32_e32 v6, v7
	v_lshlrev_b32_e32 v46, 26, v3
	v_cmp_ne_u32_e32 vcc_lo, 0, v9
	v_ashrrev_i32_e32 v9, 31, v49
	v_lshlrev_b32_e32 v48, 25, v3
	v_ashrrev_i32_e32 v6, 31, v6
	v_mul_lo_u32 v4, 0x84, v3
	s_wait_alu 0xfffd
	v_xor_b32_e32 v5, vcc_lo, v5
	v_cmp_gt_i32_e32 vcc_lo, 0, v7
	v_not_b32_e32 v7, v8
	s_wait_alu 0xf1ff
	v_xor_b32_e32 v9, s18, v9
	v_cmp_gt_i32_e64 s18, 0, v8
	v_and_b32_e32 v5, exec_lo, v5
	v_not_b32_e32 v8, v45
	v_ashrrev_i32_e32 v7, 31, v7
	s_wait_alu 0xfffd
	v_xor_b32_e32 v6, vcc_lo, v6
	v_cmp_gt_i32_e32 vcc_lo, 0, v45
	v_and_b32_e32 v5, v5, v9
	v_not_b32_e32 v9, v46
	v_ashrrev_i32_e32 v8, 31, v8
	s_wait_alu 0xf1ff
	v_xor_b32_e32 v7, s18, v7
	v_lshlrev_b32_e32 v3, 24, v3
	v_and_b32_e32 v5, v5, v6
	v_cmp_gt_i32_e64 s18, 0, v46
	v_not_b32_e32 v6, v48
	v_ashrrev_i32_e32 v9, 31, v9
	s_wait_alu 0xfffd
	v_xor_b32_e32 v8, vcc_lo, v8
	v_and_b32_e32 v5, v5, v7
	v_cmp_gt_i32_e32 vcc_lo, 0, v48
	v_not_b32_e32 v7, v3
	v_ashrrev_i32_e32 v6, 31, v6
	s_wait_alu 0xf1ff
	v_xor_b32_e32 v9, s18, v9
	v_and_b32_e32 v5, v5, v8
	v_cmp_gt_i32_e64 s18, 0, v3
	v_ashrrev_i32_e32 v3, 31, v7
	s_wait_alu 0xfffd
	v_xor_b32_e32 v6, vcc_lo, v6
	v_add_nc_u32_e32 v50, v2, v4
	v_and_b32_e32 v5, v5, v9
	s_wait_alu 0xf1ff
	v_xor_b32_e32 v3, s18, v3
	ds_load_b32 v45, v50 offset:128
	v_and_b32_e32 v4, v5, v6
	; wave barrier
	s_delay_alu instid0(VALU_DEP_1) | instskip(NEXT) | instid1(VALU_DEP_1)
	v_and_b32_e32 v3, v4, v3
	v_mbcnt_lo_u32_b32 v46, v3, 0
	v_cmp_ne_u32_e64 s18, 0, v3
	s_delay_alu instid0(VALU_DEP_2)
	v_cmp_eq_u32_e32 vcc_lo, 0, v46
	s_and_b32 s19, s18, vcc_lo
	s_wait_alu 0xfffe
	s_and_saveexec_b32 s18, s19
	s_cbranch_execz .LBB208_47
; %bb.46:
	s_wait_dscnt 0x0
	v_bcnt_u32_b32 v3, v3, v45
	ds_store_b32 v50, v3 offset:128
.LBB208_47:
	s_wait_alu 0xfffe
	s_or_b32 exec_lo, exec_lo, s18
	v_lshrrev_b32_e32 v3, s40, v17
	; wave barrier
	s_delay_alu instid0(VALU_DEP_1) | instskip(NEXT) | instid1(VALU_DEP_1)
	v_and_b32_e32 v3, s47, v3
	v_and_b32_e32 v5, 1, v3
	v_lshlrev_b32_e32 v6, 30, v3
	v_lshlrev_b32_e32 v7, 29, v3
	;; [unrolled: 1-line block ×4, first 2 shown]
	v_add_co_u32 v5, s18, v5, -1
	s_wait_alu 0xf1ff
	v_cndmask_b32_e64 v9, 0, 1, s18
	v_not_b32_e32 v52, v6
	v_cmp_gt_i32_e64 s18, 0, v6
	v_not_b32_e32 v6, v7
	v_lshlrev_b32_e32 v49, 26, v3
	v_cmp_ne_u32_e32 vcc_lo, 0, v9
	v_ashrrev_i32_e32 v9, 31, v52
	v_lshlrev_b32_e32 v51, 25, v3
	v_ashrrev_i32_e32 v6, 31, v6
	v_mul_lo_u32 v4, 0x84, v3
	s_wait_alu 0xfffd
	v_xor_b32_e32 v5, vcc_lo, v5
	v_cmp_gt_i32_e32 vcc_lo, 0, v7
	v_not_b32_e32 v7, v8
	s_wait_alu 0xf1ff
	v_xor_b32_e32 v9, s18, v9
	v_cmp_gt_i32_e64 s18, 0, v8
	v_and_b32_e32 v5, exec_lo, v5
	v_not_b32_e32 v8, v48
	v_ashrrev_i32_e32 v7, 31, v7
	s_wait_alu 0xfffd
	v_xor_b32_e32 v6, vcc_lo, v6
	v_cmp_gt_i32_e32 vcc_lo, 0, v48
	v_and_b32_e32 v5, v5, v9
	v_not_b32_e32 v9, v49
	v_ashrrev_i32_e32 v8, 31, v8
	s_wait_alu 0xf1ff
	v_xor_b32_e32 v7, s18, v7
	v_lshlrev_b32_e32 v3, 24, v3
	v_and_b32_e32 v5, v5, v6
	v_cmp_gt_i32_e64 s18, 0, v49
	v_not_b32_e32 v6, v51
	v_ashrrev_i32_e32 v9, 31, v9
	s_wait_alu 0xfffd
	v_xor_b32_e32 v8, vcc_lo, v8
	v_and_b32_e32 v5, v5, v7
	v_cmp_gt_i32_e32 vcc_lo, 0, v51
	v_not_b32_e32 v7, v3
	v_ashrrev_i32_e32 v6, 31, v6
	s_wait_alu 0xf1ff
	v_xor_b32_e32 v9, s18, v9
	v_and_b32_e32 v5, v5, v8
	v_cmp_gt_i32_e64 s18, 0, v3
	v_ashrrev_i32_e32 v3, 31, v7
	s_wait_alu 0xfffd
	v_xor_b32_e32 v6, vcc_lo, v6
	v_add_nc_u32_e32 v54, v2, v4
	v_and_b32_e32 v5, v5, v9
	s_wait_alu 0xf1ff
	v_xor_b32_e32 v3, s18, v3
	ds_load_b32 v48, v54 offset:128
	v_and_b32_e32 v4, v5, v6
	; wave barrier
	s_delay_alu instid0(VALU_DEP_1) | instskip(NEXT) | instid1(VALU_DEP_1)
	v_and_b32_e32 v3, v4, v3
	v_mbcnt_lo_u32_b32 v49, v3, 0
	v_cmp_ne_u32_e64 s18, 0, v3
	s_delay_alu instid0(VALU_DEP_2)
	v_cmp_eq_u32_e32 vcc_lo, 0, v49
	s_and_b32 s19, s18, vcc_lo
	s_wait_alu 0xfffe
	s_and_saveexec_b32 s18, s19
	s_cbranch_execz .LBB208_49
; %bb.48:
	s_wait_dscnt 0x0
	v_bcnt_u32_b32 v3, v3, v48
	ds_store_b32 v54, v3 offset:128
.LBB208_49:
	s_wait_alu 0xfffe
	s_or_b32 exec_lo, exec_lo, s18
	v_lshrrev_b32_e32 v3, s40, v20
	; wave barrier
	s_delay_alu instid0(VALU_DEP_1) | instskip(NEXT) | instid1(VALU_DEP_1)
	v_and_b32_e32 v3, s47, v3
	v_and_b32_e32 v5, 1, v3
	v_lshlrev_b32_e32 v6, 30, v3
	v_lshlrev_b32_e32 v7, 29, v3
	;; [unrolled: 1-line block ×4, first 2 shown]
	v_add_co_u32 v5, s18, v5, -1
	s_wait_alu 0xf1ff
	v_cndmask_b32_e64 v9, 0, 1, s18
	v_not_b32_e32 v55, v6
	v_cmp_gt_i32_e64 s18, 0, v6
	v_not_b32_e32 v6, v7
	v_lshlrev_b32_e32 v52, 26, v3
	v_cmp_ne_u32_e32 vcc_lo, 0, v9
	v_ashrrev_i32_e32 v9, 31, v55
	v_lshlrev_b32_e32 v53, 25, v3
	v_ashrrev_i32_e32 v6, 31, v6
	v_mul_lo_u32 v4, 0x84, v3
	s_wait_alu 0xfffd
	v_xor_b32_e32 v5, vcc_lo, v5
	v_cmp_gt_i32_e32 vcc_lo, 0, v7
	v_not_b32_e32 v7, v8
	s_wait_alu 0xf1ff
	v_xor_b32_e32 v9, s18, v9
	v_cmp_gt_i32_e64 s18, 0, v8
	v_and_b32_e32 v5, exec_lo, v5
	v_not_b32_e32 v8, v51
	v_ashrrev_i32_e32 v7, 31, v7
	s_wait_alu 0xfffd
	v_xor_b32_e32 v6, vcc_lo, v6
	v_cmp_gt_i32_e32 vcc_lo, 0, v51
	v_and_b32_e32 v5, v5, v9
	v_not_b32_e32 v9, v52
	v_ashrrev_i32_e32 v8, 31, v8
	s_wait_alu 0xf1ff
	v_xor_b32_e32 v7, s18, v7
	v_lshlrev_b32_e32 v3, 24, v3
	v_and_b32_e32 v5, v5, v6
	v_cmp_gt_i32_e64 s18, 0, v52
	v_not_b32_e32 v6, v53
	v_ashrrev_i32_e32 v9, 31, v9
	s_wait_alu 0xfffd
	v_xor_b32_e32 v8, vcc_lo, v8
	v_and_b32_e32 v5, v5, v7
	v_cmp_gt_i32_e32 vcc_lo, 0, v53
	v_not_b32_e32 v7, v3
	v_ashrrev_i32_e32 v6, 31, v6
	s_wait_alu 0xf1ff
	v_xor_b32_e32 v9, s18, v9
	v_and_b32_e32 v5, v5, v8
	v_cmp_gt_i32_e64 s18, 0, v3
	v_ashrrev_i32_e32 v3, 31, v7
	s_wait_alu 0xfffd
	v_xor_b32_e32 v6, vcc_lo, v6
	v_add_nc_u32_e32 v57, v2, v4
	v_and_b32_e32 v5, v5, v9
	s_wait_alu 0xf1ff
	v_xor_b32_e32 v3, s18, v3
	ds_load_b32 v52, v57 offset:128
	v_and_b32_e32 v4, v5, v6
	; wave barrier
	s_delay_alu instid0(VALU_DEP_1) | instskip(NEXT) | instid1(VALU_DEP_1)
	v_and_b32_e32 v3, v4, v3
	v_mbcnt_lo_u32_b32 v53, v3, 0
	v_cmp_ne_u32_e64 s18, 0, v3
	s_delay_alu instid0(VALU_DEP_2)
	v_cmp_eq_u32_e32 vcc_lo, 0, v53
	s_and_b32 s19, s18, vcc_lo
	s_wait_alu 0xfffe
	s_and_saveexec_b32 s18, s19
	s_cbranch_execz .LBB208_51
; %bb.50:
	s_wait_dscnt 0x0
	v_bcnt_u32_b32 v3, v3, v52
	ds_store_b32 v57, v3 offset:128
.LBB208_51:
	s_wait_alu 0xfffe
	s_or_b32 exec_lo, exec_lo, s18
	v_lshrrev_b32_e32 v3, s40, v19
	; wave barrier
	s_delay_alu instid0(VALU_DEP_1) | instskip(NEXT) | instid1(VALU_DEP_1)
	v_and_b32_e32 v3, s47, v3
	v_and_b32_e32 v5, 1, v3
	v_lshlrev_b32_e32 v6, 30, v3
	v_lshlrev_b32_e32 v7, 29, v3
	;; [unrolled: 1-line block ×4, first 2 shown]
	v_add_co_u32 v5, s18, v5, -1
	s_wait_alu 0xf1ff
	v_cndmask_b32_e64 v9, 0, 1, s18
	v_not_b32_e32 v58, v6
	v_cmp_gt_i32_e64 s18, 0, v6
	v_not_b32_e32 v6, v7
	v_lshlrev_b32_e32 v55, 26, v3
	v_cmp_ne_u32_e32 vcc_lo, 0, v9
	v_ashrrev_i32_e32 v9, 31, v58
	v_lshlrev_b32_e32 v56, 25, v3
	v_ashrrev_i32_e32 v6, 31, v6
	v_mul_lo_u32 v4, 0x84, v3
	s_wait_alu 0xfffd
	v_xor_b32_e32 v5, vcc_lo, v5
	v_cmp_gt_i32_e32 vcc_lo, 0, v7
	v_not_b32_e32 v7, v8
	s_wait_alu 0xf1ff
	v_xor_b32_e32 v9, s18, v9
	v_cmp_gt_i32_e64 s18, 0, v8
	v_and_b32_e32 v5, exec_lo, v5
	v_not_b32_e32 v8, v51
	v_ashrrev_i32_e32 v7, 31, v7
	s_wait_alu 0xfffd
	v_xor_b32_e32 v6, vcc_lo, v6
	v_cmp_gt_i32_e32 vcc_lo, 0, v51
	v_and_b32_e32 v5, v5, v9
	v_not_b32_e32 v9, v55
	v_ashrrev_i32_e32 v8, 31, v8
	s_wait_alu 0xf1ff
	v_xor_b32_e32 v7, s18, v7
	v_lshlrev_b32_e32 v3, 24, v3
	v_and_b32_e32 v5, v5, v6
	v_cmp_gt_i32_e64 s18, 0, v55
	v_not_b32_e32 v6, v56
	v_ashrrev_i32_e32 v9, 31, v9
	s_wait_alu 0xfffd
	v_xor_b32_e32 v8, vcc_lo, v8
	v_and_b32_e32 v5, v5, v7
	v_cmp_gt_i32_e32 vcc_lo, 0, v56
	v_not_b32_e32 v7, v3
	v_ashrrev_i32_e32 v6, 31, v6
	s_wait_alu 0xf1ff
	v_xor_b32_e32 v9, s18, v9
	v_and_b32_e32 v5, v5, v8
	v_cmp_gt_i32_e64 s18, 0, v3
	v_ashrrev_i32_e32 v3, 31, v7
	s_wait_alu 0xfffd
	v_xor_b32_e32 v6, vcc_lo, v6
	v_add_nc_u32_e32 v60, v2, v4
	v_and_b32_e32 v5, v5, v9
	s_wait_alu 0xf1ff
	v_xor_b32_e32 v3, s18, v3
	ds_load_b32 v55, v60 offset:128
	v_and_b32_e32 v4, v5, v6
	; wave barrier
	s_delay_alu instid0(VALU_DEP_1) | instskip(NEXT) | instid1(VALU_DEP_1)
	v_and_b32_e32 v3, v4, v3
	v_mbcnt_lo_u32_b32 v56, v3, 0
	v_cmp_ne_u32_e64 s18, 0, v3
	s_delay_alu instid0(VALU_DEP_2)
	v_cmp_eq_u32_e32 vcc_lo, 0, v56
	s_and_b32 s19, s18, vcc_lo
	s_wait_alu 0xfffe
	s_and_saveexec_b32 s18, s19
	s_cbranch_execz .LBB208_53
; %bb.52:
	s_wait_dscnt 0x0
	v_bcnt_u32_b32 v3, v3, v55
	ds_store_b32 v60, v3 offset:128
.LBB208_53:
	s_wait_alu 0xfffe
	s_or_b32 exec_lo, exec_lo, s18
	v_lshrrev_b32_e32 v3, s40, v22
	; wave barrier
	s_delay_alu instid0(VALU_DEP_1) | instskip(NEXT) | instid1(VALU_DEP_1)
	v_and_b32_e32 v3, s47, v3
	v_and_b32_e32 v5, 1, v3
	v_lshlrev_b32_e32 v6, 30, v3
	v_lshlrev_b32_e32 v7, 29, v3
	;; [unrolled: 1-line block ×4, first 2 shown]
	v_add_co_u32 v5, s18, v5, -1
	s_wait_alu 0xf1ff
	v_cndmask_b32_e64 v9, 0, 1, s18
	v_not_b32_e32 v61, v6
	v_cmp_gt_i32_e64 s18, 0, v6
	v_not_b32_e32 v6, v7
	v_lshlrev_b32_e32 v58, 26, v3
	v_cmp_ne_u32_e32 vcc_lo, 0, v9
	v_ashrrev_i32_e32 v9, 31, v61
	v_lshlrev_b32_e32 v59, 25, v3
	v_ashrrev_i32_e32 v6, 31, v6
	v_mul_lo_u32 v4, 0x84, v3
	s_wait_alu 0xfffd
	v_xor_b32_e32 v5, vcc_lo, v5
	v_cmp_gt_i32_e32 vcc_lo, 0, v7
	v_not_b32_e32 v7, v8
	s_wait_alu 0xf1ff
	v_xor_b32_e32 v9, s18, v9
	v_cmp_gt_i32_e64 s18, 0, v8
	v_and_b32_e32 v5, exec_lo, v5
	v_not_b32_e32 v8, v51
	v_ashrrev_i32_e32 v7, 31, v7
	s_wait_alu 0xfffd
	v_xor_b32_e32 v6, vcc_lo, v6
	v_cmp_gt_i32_e32 vcc_lo, 0, v51
	v_and_b32_e32 v5, v5, v9
	v_not_b32_e32 v9, v58
	v_ashrrev_i32_e32 v8, 31, v8
	s_wait_alu 0xf1ff
	v_xor_b32_e32 v7, s18, v7
	v_lshlrev_b32_e32 v3, 24, v3
	v_and_b32_e32 v5, v5, v6
	v_cmp_gt_i32_e64 s18, 0, v58
	v_not_b32_e32 v6, v59
	v_ashrrev_i32_e32 v9, 31, v9
	s_wait_alu 0xfffd
	v_xor_b32_e32 v8, vcc_lo, v8
	v_and_b32_e32 v5, v5, v7
	v_cmp_gt_i32_e32 vcc_lo, 0, v59
	v_not_b32_e32 v7, v3
	v_ashrrev_i32_e32 v6, 31, v6
	s_wait_alu 0xf1ff
	v_xor_b32_e32 v9, s18, v9
	v_and_b32_e32 v5, v5, v8
	v_cmp_gt_i32_e64 s18, 0, v3
	v_ashrrev_i32_e32 v3, 31, v7
	s_wait_alu 0xfffd
	v_xor_b32_e32 v6, vcc_lo, v6
	v_add_nc_u32_e32 v63, v2, v4
	v_and_b32_e32 v5, v5, v9
	s_wait_alu 0xf1ff
	v_xor_b32_e32 v3, s18, v3
	ds_load_b32 v58, v63 offset:128
	v_and_b32_e32 v4, v5, v6
	; wave barrier
	s_delay_alu instid0(VALU_DEP_1) | instskip(NEXT) | instid1(VALU_DEP_1)
	v_and_b32_e32 v3, v4, v3
	v_mbcnt_lo_u32_b32 v59, v3, 0
	v_cmp_ne_u32_e64 s18, 0, v3
	s_delay_alu instid0(VALU_DEP_2)
	v_cmp_eq_u32_e32 vcc_lo, 0, v59
	s_and_b32 s19, s18, vcc_lo
	s_wait_alu 0xfffe
	s_and_saveexec_b32 s18, s19
	s_cbranch_execz .LBB208_55
; %bb.54:
	s_wait_dscnt 0x0
	v_bcnt_u32_b32 v3, v3, v58
	ds_store_b32 v63, v3 offset:128
.LBB208_55:
	s_wait_alu 0xfffe
	s_or_b32 exec_lo, exec_lo, s18
	v_lshrrev_b32_e32 v3, s40, v21
	; wave barrier
	s_delay_alu instid0(VALU_DEP_1) | instskip(NEXT) | instid1(VALU_DEP_1)
	v_and_b32_e32 v3, s47, v3
	v_and_b32_e32 v5, 1, v3
	v_lshlrev_b32_e32 v6, 30, v3
	v_lshlrev_b32_e32 v7, 29, v3
	;; [unrolled: 1-line block ×4, first 2 shown]
	v_add_co_u32 v5, s18, v5, -1
	s_wait_alu 0xf1ff
	v_cndmask_b32_e64 v9, 0, 1, s18
	v_not_b32_e32 v64, v6
	v_cmp_gt_i32_e64 s18, 0, v6
	v_not_b32_e32 v6, v7
	v_lshlrev_b32_e32 v61, 26, v3
	v_cmp_ne_u32_e32 vcc_lo, 0, v9
	v_ashrrev_i32_e32 v9, 31, v64
	v_lshlrev_b32_e32 v62, 25, v3
	v_ashrrev_i32_e32 v6, 31, v6
	v_mul_lo_u32 v4, 0x84, v3
	s_wait_alu 0xfffd
	v_xor_b32_e32 v5, vcc_lo, v5
	v_cmp_gt_i32_e32 vcc_lo, 0, v7
	v_not_b32_e32 v7, v8
	s_wait_alu 0xf1ff
	v_xor_b32_e32 v9, s18, v9
	v_cmp_gt_i32_e64 s18, 0, v8
	v_and_b32_e32 v5, exec_lo, v5
	v_not_b32_e32 v8, v51
	v_ashrrev_i32_e32 v7, 31, v7
	s_wait_alu 0xfffd
	v_xor_b32_e32 v6, vcc_lo, v6
	v_cmp_gt_i32_e32 vcc_lo, 0, v51
	v_and_b32_e32 v5, v5, v9
	v_not_b32_e32 v9, v61
	v_ashrrev_i32_e32 v8, 31, v8
	s_wait_alu 0xf1ff
	v_xor_b32_e32 v7, s18, v7
	v_lshlrev_b32_e32 v3, 24, v3
	v_and_b32_e32 v5, v5, v6
	v_cmp_gt_i32_e64 s18, 0, v61
	v_not_b32_e32 v6, v62
	v_ashrrev_i32_e32 v9, 31, v9
	s_wait_alu 0xfffd
	v_xor_b32_e32 v8, vcc_lo, v8
	v_and_b32_e32 v5, v5, v7
	v_cmp_gt_i32_e32 vcc_lo, 0, v62
	v_not_b32_e32 v7, v3
	v_ashrrev_i32_e32 v6, 31, v6
	s_wait_alu 0xf1ff
	v_xor_b32_e32 v9, s18, v9
	v_and_b32_e32 v5, v5, v8
	v_cmp_gt_i32_e64 s18, 0, v3
	v_ashrrev_i32_e32 v3, 31, v7
	s_wait_alu 0xfffd
	v_xor_b32_e32 v6, vcc_lo, v6
	v_add_nc_u32_e32 v66, v2, v4
	v_and_b32_e32 v5, v5, v9
	s_wait_alu 0xf1ff
	v_xor_b32_e32 v3, s18, v3
	ds_load_b32 v61, v66 offset:128
	v_and_b32_e32 v4, v5, v6
	; wave barrier
	s_delay_alu instid0(VALU_DEP_1) | instskip(NEXT) | instid1(VALU_DEP_1)
	v_and_b32_e32 v3, v4, v3
	v_mbcnt_lo_u32_b32 v62, v3, 0
	v_cmp_ne_u32_e64 s18, 0, v3
	s_delay_alu instid0(VALU_DEP_2)
	v_cmp_eq_u32_e32 vcc_lo, 0, v62
	s_and_b32 s19, s18, vcc_lo
	s_wait_alu 0xfffe
	s_and_saveexec_b32 s18, s19
	s_cbranch_execz .LBB208_57
; %bb.56:
	s_wait_dscnt 0x0
	v_bcnt_u32_b32 v3, v3, v61
	ds_store_b32 v66, v3 offset:128
.LBB208_57:
	s_wait_alu 0xfffe
	s_or_b32 exec_lo, exec_lo, s18
	v_lshrrev_b32_e32 v3, s40, v24
	; wave barrier
	s_delay_alu instid0(VALU_DEP_1) | instskip(NEXT) | instid1(VALU_DEP_1)
	v_and_b32_e32 v3, s47, v3
	v_and_b32_e32 v5, 1, v3
	v_lshlrev_b32_e32 v6, 30, v3
	v_lshlrev_b32_e32 v7, 29, v3
	;; [unrolled: 1-line block ×4, first 2 shown]
	v_add_co_u32 v5, s18, v5, -1
	s_wait_alu 0xf1ff
	v_cndmask_b32_e64 v9, 0, 1, s18
	v_not_b32_e32 v67, v6
	v_cmp_gt_i32_e64 s18, 0, v6
	v_not_b32_e32 v6, v7
	v_lshlrev_b32_e32 v64, 26, v3
	v_cmp_ne_u32_e32 vcc_lo, 0, v9
	v_ashrrev_i32_e32 v9, 31, v67
	v_lshlrev_b32_e32 v65, 25, v3
	v_ashrrev_i32_e32 v6, 31, v6
	v_mul_lo_u32 v4, 0x84, v3
	s_wait_alu 0xfffd
	v_xor_b32_e32 v5, vcc_lo, v5
	v_cmp_gt_i32_e32 vcc_lo, 0, v7
	v_not_b32_e32 v7, v8
	s_wait_alu 0xf1ff
	v_xor_b32_e32 v9, s18, v9
	v_cmp_gt_i32_e64 s18, 0, v8
	v_and_b32_e32 v5, exec_lo, v5
	v_not_b32_e32 v8, v51
	v_ashrrev_i32_e32 v7, 31, v7
	s_wait_alu 0xfffd
	v_xor_b32_e32 v6, vcc_lo, v6
	v_cmp_gt_i32_e32 vcc_lo, 0, v51
	v_and_b32_e32 v5, v5, v9
	v_not_b32_e32 v9, v64
	v_ashrrev_i32_e32 v8, 31, v8
	s_wait_alu 0xf1ff
	v_xor_b32_e32 v7, s18, v7
	v_lshlrev_b32_e32 v3, 24, v3
	v_and_b32_e32 v5, v5, v6
	v_cmp_gt_i32_e64 s18, 0, v64
	v_not_b32_e32 v6, v65
	v_ashrrev_i32_e32 v9, 31, v9
	s_wait_alu 0xfffd
	v_xor_b32_e32 v8, vcc_lo, v8
	v_and_b32_e32 v5, v5, v7
	v_cmp_gt_i32_e32 vcc_lo, 0, v65
	v_not_b32_e32 v7, v3
	v_ashrrev_i32_e32 v6, 31, v6
	s_wait_alu 0xf1ff
	v_xor_b32_e32 v9, s18, v9
	v_and_b32_e32 v5, v5, v8
	v_cmp_gt_i32_e64 s18, 0, v3
	v_ashrrev_i32_e32 v3, 31, v7
	s_wait_alu 0xfffd
	v_xor_b32_e32 v6, vcc_lo, v6
	v_add_nc_u32_e32 v69, v2, v4
	v_and_b32_e32 v5, v5, v9
	s_wait_alu 0xf1ff
	v_xor_b32_e32 v3, s18, v3
	ds_load_b32 v64, v69 offset:128
	v_and_b32_e32 v4, v5, v6
	; wave barrier
	s_delay_alu instid0(VALU_DEP_1) | instskip(NEXT) | instid1(VALU_DEP_1)
	v_and_b32_e32 v3, v4, v3
	v_mbcnt_lo_u32_b32 v65, v3, 0
	v_cmp_ne_u32_e64 s18, 0, v3
	s_delay_alu instid0(VALU_DEP_2)
	v_cmp_eq_u32_e32 vcc_lo, 0, v65
	s_and_b32 s19, s18, vcc_lo
	s_wait_alu 0xfffe
	s_and_saveexec_b32 s18, s19
	s_cbranch_execz .LBB208_59
; %bb.58:
	s_wait_dscnt 0x0
	v_bcnt_u32_b32 v3, v3, v64
	ds_store_b32 v69, v3 offset:128
.LBB208_59:
	s_wait_alu 0xfffe
	s_or_b32 exec_lo, exec_lo, s18
	v_lshrrev_b32_e32 v3, s40, v23
	; wave barrier
	s_delay_alu instid0(VALU_DEP_1) | instskip(NEXT) | instid1(VALU_DEP_1)
	v_and_b32_e32 v3, s47, v3
	v_and_b32_e32 v5, 1, v3
	v_lshlrev_b32_e32 v6, 30, v3
	v_lshlrev_b32_e32 v7, 29, v3
	;; [unrolled: 1-line block ×4, first 2 shown]
	v_add_co_u32 v5, s18, v5, -1
	s_wait_alu 0xf1ff
	v_cndmask_b32_e64 v9, 0, 1, s18
	v_not_b32_e32 v70, v6
	v_cmp_gt_i32_e64 s18, 0, v6
	v_not_b32_e32 v6, v7
	v_lshlrev_b32_e32 v67, 26, v3
	v_cmp_ne_u32_e32 vcc_lo, 0, v9
	v_ashrrev_i32_e32 v9, 31, v70
	v_lshlrev_b32_e32 v68, 25, v3
	v_ashrrev_i32_e32 v6, 31, v6
	v_mul_lo_u32 v4, 0x84, v3
	s_wait_alu 0xfffd
	v_xor_b32_e32 v5, vcc_lo, v5
	v_cmp_gt_i32_e32 vcc_lo, 0, v7
	v_not_b32_e32 v7, v8
	s_wait_alu 0xf1ff
	v_xor_b32_e32 v9, s18, v9
	v_cmp_gt_i32_e64 s18, 0, v8
	v_and_b32_e32 v5, exec_lo, v5
	v_not_b32_e32 v8, v51
	v_ashrrev_i32_e32 v7, 31, v7
	s_wait_alu 0xfffd
	v_xor_b32_e32 v6, vcc_lo, v6
	v_cmp_gt_i32_e32 vcc_lo, 0, v51
	v_and_b32_e32 v5, v5, v9
	v_not_b32_e32 v9, v67
	v_ashrrev_i32_e32 v8, 31, v8
	s_wait_alu 0xf1ff
	v_xor_b32_e32 v7, s18, v7
	v_lshlrev_b32_e32 v3, 24, v3
	v_and_b32_e32 v5, v5, v6
	v_cmp_gt_i32_e64 s18, 0, v67
	v_not_b32_e32 v6, v68
	v_ashrrev_i32_e32 v9, 31, v9
	s_wait_alu 0xfffd
	v_xor_b32_e32 v8, vcc_lo, v8
	v_and_b32_e32 v5, v5, v7
	v_cmp_gt_i32_e32 vcc_lo, 0, v68
	v_not_b32_e32 v7, v3
	v_ashrrev_i32_e32 v6, 31, v6
	s_wait_alu 0xf1ff
	v_xor_b32_e32 v9, s18, v9
	v_and_b32_e32 v5, v5, v8
	v_cmp_gt_i32_e64 s18, 0, v3
	v_ashrrev_i32_e32 v3, 31, v7
	s_wait_alu 0xfffd
	v_xor_b32_e32 v6, vcc_lo, v6
	v_add_nc_u32_e32 v72, v2, v4
	v_and_b32_e32 v5, v5, v9
	s_wait_alu 0xf1ff
	v_xor_b32_e32 v3, s18, v3
	ds_load_b32 v67, v72 offset:128
	v_and_b32_e32 v4, v5, v6
	; wave barrier
	s_delay_alu instid0(VALU_DEP_1) | instskip(NEXT) | instid1(VALU_DEP_1)
	v_and_b32_e32 v3, v4, v3
	v_mbcnt_lo_u32_b32 v68, v3, 0
	v_cmp_ne_u32_e64 s18, 0, v3
	s_delay_alu instid0(VALU_DEP_2)
	v_cmp_eq_u32_e32 vcc_lo, 0, v68
	s_and_b32 s19, s18, vcc_lo
	s_wait_alu 0xfffe
	s_and_saveexec_b32 s18, s19
	s_cbranch_execz .LBB208_61
; %bb.60:
	s_wait_dscnt 0x0
	v_bcnt_u32_b32 v3, v3, v67
	ds_store_b32 v72, v3 offset:128
.LBB208_61:
	s_wait_alu 0xfffe
	s_or_b32 exec_lo, exec_lo, s18
	v_lshrrev_b32_e32 v3, s40, v26
	; wave barrier
	s_delay_alu instid0(VALU_DEP_1) | instskip(NEXT) | instid1(VALU_DEP_1)
	v_and_b32_e32 v3, s47, v3
	v_and_b32_e32 v5, 1, v3
	v_lshlrev_b32_e32 v6, 30, v3
	v_lshlrev_b32_e32 v7, 29, v3
	;; [unrolled: 1-line block ×4, first 2 shown]
	v_add_co_u32 v5, s18, v5, -1
	s_wait_alu 0xf1ff
	v_cndmask_b32_e64 v9, 0, 1, s18
	v_not_b32_e32 v73, v6
	v_cmp_gt_i32_e64 s18, 0, v6
	v_not_b32_e32 v6, v7
	v_lshlrev_b32_e32 v70, 26, v3
	v_cmp_ne_u32_e32 vcc_lo, 0, v9
	v_ashrrev_i32_e32 v9, 31, v73
	v_lshlrev_b32_e32 v71, 25, v3
	v_ashrrev_i32_e32 v6, 31, v6
	v_mul_lo_u32 v4, 0x84, v3
	s_wait_alu 0xfffd
	v_xor_b32_e32 v5, vcc_lo, v5
	v_cmp_gt_i32_e32 vcc_lo, 0, v7
	v_not_b32_e32 v7, v8
	s_wait_alu 0xf1ff
	v_xor_b32_e32 v9, s18, v9
	v_cmp_gt_i32_e64 s18, 0, v8
	v_and_b32_e32 v5, exec_lo, v5
	v_not_b32_e32 v8, v51
	v_ashrrev_i32_e32 v7, 31, v7
	s_wait_alu 0xfffd
	v_xor_b32_e32 v6, vcc_lo, v6
	v_cmp_gt_i32_e32 vcc_lo, 0, v51
	v_and_b32_e32 v5, v5, v9
	v_not_b32_e32 v9, v70
	v_ashrrev_i32_e32 v8, 31, v8
	s_wait_alu 0xf1ff
	v_xor_b32_e32 v7, s18, v7
	v_lshlrev_b32_e32 v3, 24, v3
	v_and_b32_e32 v5, v5, v6
	v_cmp_gt_i32_e64 s18, 0, v70
	v_not_b32_e32 v6, v71
	v_ashrrev_i32_e32 v9, 31, v9
	s_wait_alu 0xfffd
	v_xor_b32_e32 v8, vcc_lo, v8
	v_and_b32_e32 v5, v5, v7
	v_cmp_gt_i32_e32 vcc_lo, 0, v71
	v_not_b32_e32 v7, v3
	v_ashrrev_i32_e32 v6, 31, v6
	s_wait_alu 0xf1ff
	v_xor_b32_e32 v9, s18, v9
	v_and_b32_e32 v5, v5, v8
	v_cmp_gt_i32_e64 s18, 0, v3
	v_ashrrev_i32_e32 v3, 31, v7
	s_wait_alu 0xfffd
	v_xor_b32_e32 v6, vcc_lo, v6
	v_add_nc_u32_e32 v75, v2, v4
	v_and_b32_e32 v5, v5, v9
	s_wait_alu 0xf1ff
	v_xor_b32_e32 v3, s18, v3
	ds_load_b32 v70, v75 offset:128
	v_and_b32_e32 v4, v5, v6
	; wave barrier
	s_delay_alu instid0(VALU_DEP_1) | instskip(NEXT) | instid1(VALU_DEP_1)
	v_and_b32_e32 v3, v4, v3
	v_mbcnt_lo_u32_b32 v71, v3, 0
	v_cmp_ne_u32_e64 s18, 0, v3
	s_delay_alu instid0(VALU_DEP_2)
	v_cmp_eq_u32_e32 vcc_lo, 0, v71
	s_and_b32 s19, s18, vcc_lo
	s_wait_alu 0xfffe
	s_and_saveexec_b32 s18, s19
	s_cbranch_execz .LBB208_63
; %bb.62:
	s_wait_dscnt 0x0
	v_bcnt_u32_b32 v3, v3, v70
	ds_store_b32 v75, v3 offset:128
.LBB208_63:
	s_wait_alu 0xfffe
	s_or_b32 exec_lo, exec_lo, s18
	v_lshrrev_b32_e32 v3, s40, v25
	; wave barrier
	s_delay_alu instid0(VALU_DEP_1) | instskip(NEXT) | instid1(VALU_DEP_1)
	v_and_b32_e32 v3, s47, v3
	v_and_b32_e32 v5, 1, v3
	v_lshlrev_b32_e32 v6, 30, v3
	v_lshlrev_b32_e32 v7, 29, v3
	;; [unrolled: 1-line block ×4, first 2 shown]
	v_add_co_u32 v5, s18, v5, -1
	s_wait_alu 0xf1ff
	v_cndmask_b32_e64 v9, 0, 1, s18
	v_not_b32_e32 v76, v6
	v_cmp_gt_i32_e64 s18, 0, v6
	v_not_b32_e32 v6, v7
	v_lshlrev_b32_e32 v73, 26, v3
	v_cmp_ne_u32_e32 vcc_lo, 0, v9
	v_ashrrev_i32_e32 v9, 31, v76
	v_lshlrev_b32_e32 v74, 25, v3
	v_ashrrev_i32_e32 v6, 31, v6
	v_mul_lo_u32 v4, 0x84, v3
	s_wait_alu 0xfffd
	v_xor_b32_e32 v5, vcc_lo, v5
	v_cmp_gt_i32_e32 vcc_lo, 0, v7
	v_not_b32_e32 v7, v8
	s_wait_alu 0xf1ff
	v_xor_b32_e32 v9, s18, v9
	v_cmp_gt_i32_e64 s18, 0, v8
	v_and_b32_e32 v5, exec_lo, v5
	v_not_b32_e32 v8, v51
	v_ashrrev_i32_e32 v7, 31, v7
	s_wait_alu 0xfffd
	v_xor_b32_e32 v6, vcc_lo, v6
	v_cmp_gt_i32_e32 vcc_lo, 0, v51
	v_and_b32_e32 v5, v5, v9
	v_not_b32_e32 v9, v73
	v_ashrrev_i32_e32 v8, 31, v8
	s_wait_alu 0xf1ff
	v_xor_b32_e32 v7, s18, v7
	v_lshlrev_b32_e32 v3, 24, v3
	v_and_b32_e32 v5, v5, v6
	v_cmp_gt_i32_e64 s18, 0, v73
	v_not_b32_e32 v6, v74
	v_ashrrev_i32_e32 v9, 31, v9
	s_wait_alu 0xfffd
	v_xor_b32_e32 v8, vcc_lo, v8
	v_and_b32_e32 v5, v5, v7
	v_cmp_gt_i32_e32 vcc_lo, 0, v74
	v_not_b32_e32 v7, v3
	v_ashrrev_i32_e32 v6, 31, v6
	s_wait_alu 0xf1ff
	v_xor_b32_e32 v9, s18, v9
	v_and_b32_e32 v5, v5, v8
	v_cmp_gt_i32_e64 s18, 0, v3
	v_ashrrev_i32_e32 v3, 31, v7
	s_wait_alu 0xfffd
	v_xor_b32_e32 v6, vcc_lo, v6
	v_add_nc_u32_e32 v78, v2, v4
	v_and_b32_e32 v5, v5, v9
	s_wait_alu 0xf1ff
	v_xor_b32_e32 v2, s18, v3
	ds_load_b32 v73, v78 offset:128
	v_and_b32_e32 v3, v5, v6
	; wave barrier
	s_delay_alu instid0(VALU_DEP_1) | instskip(NEXT) | instid1(VALU_DEP_1)
	v_and_b32_e32 v2, v3, v2
	v_mbcnt_lo_u32_b32 v74, v2, 0
	v_cmp_ne_u32_e64 s18, 0, v2
	s_delay_alu instid0(VALU_DEP_2)
	v_cmp_eq_u32_e32 vcc_lo, 0, v74
	s_and_b32 s19, s18, vcc_lo
	s_wait_alu 0xfffe
	s_and_saveexec_b32 s18, s19
	s_cbranch_execz .LBB208_65
; %bb.64:
	s_wait_dscnt 0x0
	v_bcnt_u32_b32 v2, v2, v73
	ds_store_b32 v78, v2 offset:128
.LBB208_65:
	s_wait_alu 0xfffe
	s_or_b32 exec_lo, exec_lo, s18
	; wave barrier
	s_wait_loadcnt_dscnt 0x0
	s_barrier_signal -1
	s_barrier_wait -1
	global_inv scope:SCOPE_SE
	ds_load_2addr_b32 v[8:9], v30 offset0:32 offset1:33
	ds_load_2addr_b32 v[6:7], v30 offset0:34 offset1:35
	;; [unrolled: 1-line block ×4, first 2 shown]
	ds_load_b32 v51, v30 offset:160
	v_and_b32_e32 v79, 16, v36
	v_and_b32_e32 v80, 31, v1
	s_mov_b32 s23, exec_lo
	s_delay_alu instid0(VALU_DEP_2) | instskip(SKIP_3) | instid1(VALU_DEP_1)
	v_cmp_eq_u32_e64 s21, 0, v79
	s_wait_dscnt 0x3
	v_add3_u32 v76, v9, v8, v6
	s_wait_dscnt 0x2
	v_add3_u32 v76, v76, v7, v4
	s_wait_dscnt 0x1
	s_delay_alu instid0(VALU_DEP_1) | instskip(SKIP_1) | instid1(VALU_DEP_1)
	v_add3_u32 v76, v76, v5, v2
	s_wait_dscnt 0x0
	v_add3_u32 v51, v76, v3, v51
	v_and_b32_e32 v76, 15, v36
	s_delay_alu instid0(VALU_DEP_2) | instskip(NEXT) | instid1(VALU_DEP_2)
	v_mov_b32_dpp v77, v51 row_shr:1 row_mask:0xf bank_mask:0xf
	v_cmp_eq_u32_e32 vcc_lo, 0, v76
	v_cmp_lt_u32_e64 s18, 1, v76
	v_cmp_lt_u32_e64 s19, 3, v76
	;; [unrolled: 1-line block ×3, first 2 shown]
	s_wait_alu 0xfffd
	v_cndmask_b32_e64 v77, v77, 0, vcc_lo
	s_delay_alu instid0(VALU_DEP_1) | instskip(NEXT) | instid1(VALU_DEP_1)
	v_add_nc_u32_e32 v51, v77, v51
	v_mov_b32_dpp v77, v51 row_shr:2 row_mask:0xf bank_mask:0xf
	s_wait_alu 0xf1ff
	s_delay_alu instid0(VALU_DEP_1) | instskip(NEXT) | instid1(VALU_DEP_1)
	v_cndmask_b32_e64 v77, 0, v77, s18
	v_add_nc_u32_e32 v51, v51, v77
	s_delay_alu instid0(VALU_DEP_1) | instskip(NEXT) | instid1(VALU_DEP_1)
	v_mov_b32_dpp v77, v51 row_shr:4 row_mask:0xf bank_mask:0xf
	v_cndmask_b32_e64 v77, 0, v77, s19
	s_delay_alu instid0(VALU_DEP_1) | instskip(NEXT) | instid1(VALU_DEP_1)
	v_add_nc_u32_e32 v51, v51, v77
	v_mov_b32_dpp v77, v51 row_shr:8 row_mask:0xf bank_mask:0xf
	s_delay_alu instid0(VALU_DEP_1) | instskip(SKIP_1) | instid1(VALU_DEP_2)
	v_cndmask_b32_e64 v76, 0, v77, s20
	v_bfe_i32 v77, v36, 4, 1
	v_add_nc_u32_e32 v51, v51, v76
	ds_swizzle_b32 v76, v51 offset:swizzle(BROADCAST,32,15)
	s_wait_dscnt 0x0
	v_and_b32_e32 v76, v77, v76
	v_lshrrev_b32_e32 v77, 5, v1
	s_delay_alu instid0(VALU_DEP_2)
	v_add_nc_u32_e32 v76, v51, v76
	v_cmpx_eq_u32_e32 31, v80
; %bb.66:
	s_delay_alu instid0(VALU_DEP_3)
	v_lshlrev_b32_e32 v51, 2, v77
	ds_store_b32 v51, v76
; %bb.67:
	s_or_b32 exec_lo, exec_lo, s23
	v_cmp_lt_u32_e64 s22, 31, v1
	v_lshlrev_b32_e32 v51, 2, v1
	s_mov_b32 s48, exec_lo
	s_wait_loadcnt_dscnt 0x0
	s_barrier_signal -1
	s_barrier_wait -1
	global_inv scope:SCOPE_SE
	v_cmpx_gt_u32_e32 32, v1
	s_cbranch_execz .LBB208_69
; %bb.68:
	ds_load_b32 v79, v51
	s_wait_dscnt 0x0
	v_mov_b32_dpp v80, v79 row_shr:1 row_mask:0xf bank_mask:0xf
	s_delay_alu instid0(VALU_DEP_1) | instskip(NEXT) | instid1(VALU_DEP_1)
	v_cndmask_b32_e64 v80, v80, 0, vcc_lo
	v_add_nc_u32_e32 v79, v80, v79
	s_delay_alu instid0(VALU_DEP_1) | instskip(NEXT) | instid1(VALU_DEP_1)
	v_mov_b32_dpp v80, v79 row_shr:2 row_mask:0xf bank_mask:0xf
	v_cndmask_b32_e64 v80, 0, v80, s18
	s_delay_alu instid0(VALU_DEP_1) | instskip(NEXT) | instid1(VALU_DEP_1)
	v_add_nc_u32_e32 v79, v79, v80
	v_mov_b32_dpp v80, v79 row_shr:4 row_mask:0xf bank_mask:0xf
	s_delay_alu instid0(VALU_DEP_1) | instskip(NEXT) | instid1(VALU_DEP_1)
	v_cndmask_b32_e64 v80, 0, v80, s19
	v_add_nc_u32_e32 v79, v79, v80
	s_delay_alu instid0(VALU_DEP_1) | instskip(NEXT) | instid1(VALU_DEP_1)
	v_mov_b32_dpp v80, v79 row_shr:8 row_mask:0xf bank_mask:0xf
	v_cndmask_b32_e64 v80, 0, v80, s20
	s_delay_alu instid0(VALU_DEP_1) | instskip(SKIP_3) | instid1(VALU_DEP_1)
	v_add_nc_u32_e32 v79, v79, v80
	ds_swizzle_b32 v80, v79 offset:swizzle(BROADCAST,32,15)
	s_wait_dscnt 0x0
	v_cndmask_b32_e64 v80, v80, 0, s21
	v_add_nc_u32_e32 v79, v79, v80
	ds_store_b32 v51, v79
.LBB208_69:
	s_or_b32 exec_lo, exec_lo, s48
	v_mov_b32_e32 v79, 0
	s_wait_loadcnt_dscnt 0x0
	s_barrier_signal -1
	s_barrier_wait -1
	global_inv scope:SCOPE_SE
	s_and_saveexec_b32 s18, s22
; %bb.70:
	v_lshl_add_u32 v77, v77, 2, -4
	ds_load_b32 v79, v77
; %bb.71:
	s_wait_alu 0xfffe
	s_or_b32 exec_lo, exec_lo, s18
	v_sub_co_u32 v77, vcc_lo, v36, 1
	s_wait_dscnt 0x0
	v_add_nc_u32_e32 v76, v79, v76
	s_delay_alu instid0(VALU_DEP_2) | instskip(SKIP_1) | instid1(VALU_DEP_1)
	v_cmp_gt_i32_e64 s18, 0, v77
	s_wait_alu 0xf1ff
	v_cndmask_b32_e64 v77, v77, v36, s18
	v_cmp_lt_u32_e64 s18, 0xff, v1
	s_delay_alu instid0(VALU_DEP_2)
	v_lshlrev_b32_e32 v77, 2, v77
	ds_bpermute_b32 v76, v77, v76
	s_wait_dscnt 0x0
	s_wait_alu 0xfffd
	v_cndmask_b32_e32 v76, v76, v79, vcc_lo
	v_cmp_ne_u32_e32 vcc_lo, 0, v1
	s_wait_alu 0xfffd
	s_delay_alu instid0(VALU_DEP_2) | instskip(SKIP_1) | instid1(VALU_DEP_2)
	v_cndmask_b32_e32 v76, 0, v76, vcc_lo
	v_cmp_gt_u32_e32 vcc_lo, 0x100, v1
	v_add_nc_u32_e32 v8, v76, v8
	s_delay_alu instid0(VALU_DEP_1) | instskip(NEXT) | instid1(VALU_DEP_1)
	v_add_nc_u32_e32 v9, v8, v9
	v_add_nc_u32_e32 v6, v9, v6
	s_delay_alu instid0(VALU_DEP_1) | instskip(NEXT) | instid1(VALU_DEP_1)
	v_add_nc_u32_e32 v7, v6, v7
	;; [unrolled: 3-line block ×3, first 2 shown]
	v_add_nc_u32_e32 v2, v5, v2
	s_delay_alu instid0(VALU_DEP_1)
	v_add_nc_u32_e32 v3, v2, v3
	ds_store_2addr_b32 v30, v76, v8 offset0:32 offset1:33
	ds_store_2addr_b32 v30, v9, v6 offset0:34 offset1:35
	;; [unrolled: 1-line block ×4, first 2 shown]
	ds_store_b32 v30, v3 offset:160
	s_wait_loadcnt_dscnt 0x0
	s_barrier_signal -1
	s_barrier_wait -1
	global_inv scope:SCOPE_SE
	ds_load_b32 v8, v34 offset:128
	ds_load_b32 v9, v38 offset:128
	;; [unrolled: 1-line block ×16, first 2 shown]
                                        ; implicit-def: $vgpr38
                                        ; implicit-def: $vgpr41
	s_and_saveexec_b32 s20, vcc_lo
	s_cbranch_execz .LBB208_75
; %bb.72:
	v_mul_u32_u24_e32 v2, 0x84, v1
	v_add_nc_u32_e32 v3, 1, v1
	s_mov_b32 s21, exec_lo
	ds_load_b32 v38, v2 offset:128
	v_mov_b32_e32 v2, 0x4000
	v_cmpx_ne_u32_e32 0x100, v3
; %bb.73:
	v_mul_u32_u24_e32 v2, 0x84, v3
	ds_load_b32 v2, v2 offset:128
; %bb.74:
	s_wait_alu 0xfffe
	s_or_b32 exec_lo, exec_lo, s21
	s_wait_dscnt 0x0
	v_sub_nc_u32_e32 v41, v2, v38
.LBB208_75:
	s_wait_alu 0xfffe
	s_or_b32 exec_lo, exec_lo, s20
	v_mov_b32_e32 v3, 0
	s_wait_loadcnt_dscnt 0x0
	s_barrier_signal -1
	s_barrier_wait -1
	global_inv scope:SCOPE_SE
	s_and_saveexec_b32 s19, vcc_lo
	s_cbranch_execz .LBB208_85
; %bb.76:
	v_lshl_add_u32 v2, ttmp9, 8, v1
	v_mov_b32_e32 v66, 0
	s_mov_b32 s20, ttmp9
	s_mov_b32 s21, 0
                                        ; implicit-def: $sgpr22
	s_delay_alu instid0(VALU_DEP_2) | instskip(SKIP_1) | instid1(VALU_DEP_2)
	v_lshlrev_b64_e32 v[4:5], 2, v[2:3]
	v_or_b32_e32 v2, 2.0, v41
	v_add_co_u32 v4, vcc_lo, s34, v4
	s_wait_alu 0xfffd
	s_delay_alu instid0(VALU_DEP_3)
	v_add_co_ci_u32_e64 v5, null, s35, v5, vcc_lo
	global_store_b32 v[4:5], v2, off scope:SCOPE_DEV
	s_branch .LBB208_79
.LBB208_77:                             ;   in Loop: Header=BB208_79 Depth=1
	s_or_b32 exec_lo, exec_lo, s23
.LBB208_78:                             ;   in Loop: Header=BB208_79 Depth=1
	s_delay_alu instid0(SALU_CYCLE_1) | instskip(SKIP_2) | instid1(VALU_DEP_2)
	s_or_b32 exec_lo, exec_lo, s22
	v_and_b32_e32 v6, 0x3fffffff, v2
	v_cmp_gt_i32_e64 s22, -2.0, v2
	v_add_nc_u32_e32 v66, v6, v66
	s_and_b32 s23, exec_lo, s22
	s_delay_alu instid0(SALU_CYCLE_1)
	s_or_b32 s21, s23, s21
	s_wait_alu 0xfffe
	s_and_not1_b32 exec_lo, exec_lo, s21
	s_cbranch_execz .LBB208_84
.LBB208_79:                             ; =>This Loop Header: Depth=1
                                        ;     Child Loop BB208_82 Depth 2
	s_or_b32 s22, s22, exec_lo
	s_wait_alu 0xfffe
	s_cmp_eq_u32 s20, 0
	s_cbranch_scc1 .LBB208_83
; %bb.80:                               ;   in Loop: Header=BB208_79 Depth=1
	s_add_co_i32 s20, s20, -1
	s_mov_b32 s22, exec_lo
	s_wait_alu 0xfffe
	v_lshl_or_b32 v2, s20, 8, v1
	s_delay_alu instid0(VALU_DEP_1) | instskip(NEXT) | instid1(VALU_DEP_1)
	v_lshlrev_b64_e32 v[6:7], 2, v[2:3]
	v_add_co_u32 v6, vcc_lo, s34, v6
	s_wait_alu 0xfffd
	s_delay_alu instid0(VALU_DEP_2)
	v_add_co_ci_u32_e64 v7, null, s35, v7, vcc_lo
	global_load_b32 v2, v[6:7], off scope:SCOPE_DEV
	s_wait_loadcnt 0x0
	v_cmpx_gt_u32_e32 2.0, v2
	s_cbranch_execz .LBB208_78
; %bb.81:                               ;   in Loop: Header=BB208_79 Depth=1
	s_mov_b32 s23, 0
.LBB208_82:                             ;   Parent Loop BB208_79 Depth=1
                                        ; =>  This Inner Loop Header: Depth=2
	global_load_b32 v2, v[6:7], off scope:SCOPE_DEV
	s_wait_loadcnt 0x0
	v_cmp_lt_u32_e32 vcc_lo, 0x3fffffff, v2
	s_or_b32 s23, vcc_lo, s23
	s_delay_alu instid0(SALU_CYCLE_1)
	s_and_not1_b32 exec_lo, exec_lo, s23
	s_cbranch_execnz .LBB208_82
	s_branch .LBB208_77
.LBB208_83:                             ;   in Loop: Header=BB208_79 Depth=1
                                        ; implicit-def: $sgpr20
	s_and_b32 s23, exec_lo, s22
	s_delay_alu instid0(SALU_CYCLE_1)
	s_or_b32 s21, s23, s21
	s_wait_alu 0xfffe
	s_and_not1_b32 exec_lo, exec_lo, s21
	s_cbranch_execnz .LBB208_79
.LBB208_84:
	s_or_b32 exec_lo, exec_lo, s21
	v_add_nc_u32_e32 v2, v66, v41
	v_sub_nc_u32_e32 v3, v66, v38
	s_delay_alu instid0(VALU_DEP_2)
	v_or_b32_e32 v2, 0x80000000, v2
	global_store_b32 v[4:5], v2, off scope:SCOPE_DEV
	global_load_b32 v2, v51, s[36:37]
	s_wait_loadcnt 0x0
	v_add_nc_u32_e32 v2, v3, v2
	ds_store_b32 v51, v2
.LBB208_85:
	s_wait_alu 0xfffe
	s_or_b32 exec_lo, exec_lo, s19
	v_dual_mov_b32 v3, 0 :: v_dual_add_nc_u32 v44, v44, v27
	v_add3_u32 v47, v74, v47, v73
	v_add3_u32 v50, v71, v50, v70
	v_add3_u32 v54, v68, v54, v67
	v_add3_u32 v57, v65, v57, v64
	v_add3_u32 v60, v62, v60, v61
	v_add3_u32 v58, v59, v63, v58
	v_add3_u32 v55, v56, v31, v55
	v_add3_u32 v52, v53, v80, v52
	v_add3_u32 v48, v49, v79, v48
	v_add3_u32 v45, v46, v77, v45
	v_add3_u32 v42, v43, v76, v42
	v_add3_u32 v39, v40, v34, v39
	v_add3_u32 v37, v37, v30, v35
	v_add3_u32 v40, v33, v9, v32
	v_add3_u32 v43, v29, v8, v28
	v_mov_b32_e32 v4, v1
	s_mov_b32 s19, 32
	s_mov_b32 s22, 0
	s_mov_b32 s21, -1
	s_mov_b32 s20, 0
	s_branch .LBB208_87
.LBB208_86:                             ;   in Loop: Header=BB208_87 Depth=1
	s_or_b32 exec_lo, exec_lo, s23
	v_add_nc_u32_e32 v4, 0x2000, v4
	s_xor_b32 s22, s21, -1
	s_addk_co_i32 s20, 0xe000
	s_mov_b32 s21, 0
	s_and_b32 vcc_lo, exec_lo, s22
	s_mov_b32 s22, s19
	s_wait_loadcnt 0x0
	s_wait_storecnt 0x0
	s_barrier_signal -1
	s_barrier_wait -1
	global_inv scope:SCOPE_SE
	s_wait_alu 0xfffe
	s_cbranch_vccnz .LBB208_103
.LBB208_87:                             ; =>This Inner Loop Header: Depth=1
	s_wait_alu 0xfffe
	v_add_nc_u32_e32 v2, s20, v44
	v_add_nc_u32_e32 v5, s20, v43
	;; [unrolled: 1-line block ×5, first 2 shown]
	v_min_u32_e32 v2, 0x2000, v2
	v_add_nc_u32_e32 v9, s20, v42
	v_min_u32_e32 v5, 0x2000, v5
	v_min_u32_e32 v6, 0x2000, v6
	;; [unrolled: 1-line block ×3, first 2 shown]
	v_lshlrev_b32_e32 v2, 2, v2
	v_min_u32_e32 v8, 0x2000, v8
	v_min_u32_e32 v9, 0x2000, v9
	v_lshlrev_b32_e32 v5, 2, v5
	v_lshlrev_b32_e32 v6, 2, v6
	ds_store_b32 v2, v12 offset:1024
	v_lshlrev_b32_e32 v2, 2, v7
	v_lshlrev_b32_e32 v7, 2, v8
	;; [unrolled: 1-line block ×3, first 2 shown]
	ds_store_b32 v5, v11 offset:1024
	ds_store_b32 v6, v14 offset:1024
	;; [unrolled: 1-line block ×5, first 2 shown]
	v_add_nc_u32_e32 v2, s20, v45
	v_add_nc_u32_e32 v5, s20, v48
	;; [unrolled: 1-line block ×5, first 2 shown]
	v_min_u32_e32 v2, 0x2000, v2
	v_min_u32_e32 v5, 0x2000, v5
	;; [unrolled: 1-line block ×5, first 2 shown]
	v_lshlrev_b32_e32 v2, 2, v2
	v_lshlrev_b32_e32 v5, 2, v5
	v_lshlrev_b32_e32 v6, 2, v6
	v_lshlrev_b32_e32 v7, 2, v7
	v_lshlrev_b32_e32 v8, 2, v8
	ds_store_b32 v2, v18 offset:1024
	ds_store_b32 v5, v17 offset:1024
	;; [unrolled: 1-line block ×5, first 2 shown]
	v_add_nc_u32_e32 v2, s20, v60
	v_add_nc_u32_e32 v5, s20, v57
	;; [unrolled: 1-line block ×5, first 2 shown]
	v_min_u32_e32 v2, 0x2000, v2
	v_min_u32_e32 v5, 0x2000, v5
	;; [unrolled: 1-line block ×5, first 2 shown]
	v_lshlrev_b32_e32 v2, 2, v2
	v_lshlrev_b32_e32 v5, 2, v5
	;; [unrolled: 1-line block ×4, first 2 shown]
	s_mov_b32 s23, exec_lo
	v_lshlrev_b32_e32 v8, 2, v8
	ds_store_b32 v2, v21 offset:1024
	ds_store_b32 v5, v24 offset:1024
	;; [unrolled: 1-line block ×5, first 2 shown]
	s_wait_storecnt 0x0
	s_wait_loadcnt_dscnt 0x0
	s_barrier_signal -1
	s_barrier_wait -1
	global_inv scope:SCOPE_SE
	v_cmpx_gt_u32_e64 s33, v4
	s_cbranch_execz .LBB208_89
; %bb.88:                               ;   in Loop: Header=BB208_87 Depth=1
	ds_load_b32 v7, v51 offset:1024
	s_wait_dscnt 0x0
	v_lshrrev_b32_e32 v2, s40, v7
	s_delay_alu instid0(VALU_DEP_1) | instskip(NEXT) | instid1(VALU_DEP_1)
	v_and_b32_e32 v8, s47, v2
	v_lshlrev_b32_e32 v2, 2, v8
	ds_load_b32 v2, v2
	s_wait_dscnt 0x0
	v_add_nc_u32_e32 v2, v4, v2
	s_delay_alu instid0(VALU_DEP_1) | instskip(NEXT) | instid1(VALU_DEP_1)
	v_lshlrev_b64_e32 v[5:6], 2, v[2:3]
	v_add_co_u32 v5, vcc_lo, s26, v5
	s_wait_alu 0xfffd
	s_delay_alu instid0(VALU_DEP_2)
	v_add_co_ci_u32_e64 v6, null, s27, v6, vcc_lo
	global_store_b32 v[5:6], v7, off
	scratch_store_b32 off, v8, s22
.LBB208_89:                             ;   in Loop: Header=BB208_87 Depth=1
	s_or_b32 exec_lo, exec_lo, s23
	v_add_nc_u32_e32 v2, 0x400, v4
	s_mov_b32 s23, exec_lo
	s_delay_alu instid0(VALU_DEP_1)
	v_cmpx_gt_u32_e64 s33, v2
	s_cbranch_execz .LBB208_91
; %bb.90:                               ;   in Loop: Header=BB208_87 Depth=1
	ds_load_b32 v7, v51 offset:5120
	s_wait_dscnt 0x0
	v_lshrrev_b32_e32 v2, s40, v7
	s_delay_alu instid0(VALU_DEP_1) | instskip(NEXT) | instid1(VALU_DEP_1)
	v_and_b32_e32 v8, s47, v2
	v_lshlrev_b32_e32 v2, 2, v8
	ds_load_b32 v2, v2
	s_wait_dscnt 0x0
	v_add3_u32 v2, v4, v2, 0x400
	s_delay_alu instid0(VALU_DEP_1) | instskip(NEXT) | instid1(VALU_DEP_1)
	v_lshlrev_b64_e32 v[5:6], 2, v[2:3]
	v_add_co_u32 v5, vcc_lo, s26, v5
	s_wait_alu 0xfffd
	s_delay_alu instid0(VALU_DEP_2)
	v_add_co_ci_u32_e64 v6, null, s27, v6, vcc_lo
	global_store_b32 v[5:6], v7, off
	scratch_store_b32 off, v8, s22 offset:4
.LBB208_91:                             ;   in Loop: Header=BB208_87 Depth=1
	s_or_b32 exec_lo, exec_lo, s23
	v_add_nc_u32_e32 v2, 0x800, v4
	s_mov_b32 s23, exec_lo
	s_delay_alu instid0(VALU_DEP_1)
	v_cmpx_gt_u32_e64 s33, v2
	s_cbranch_execz .LBB208_93
; %bb.92:                               ;   in Loop: Header=BB208_87 Depth=1
	ds_load_b32 v7, v51 offset:9216
	s_wait_dscnt 0x0
	v_lshrrev_b32_e32 v2, s40, v7
	s_delay_alu instid0(VALU_DEP_1) | instskip(NEXT) | instid1(VALU_DEP_1)
	v_and_b32_e32 v8, s47, v2
	v_lshlrev_b32_e32 v2, 2, v8
	ds_load_b32 v2, v2
	s_wait_dscnt 0x0
	v_add3_u32 v2, v4, v2, 0x800
	s_delay_alu instid0(VALU_DEP_1) | instskip(NEXT) | instid1(VALU_DEP_1)
	v_lshlrev_b64_e32 v[5:6], 2, v[2:3]
	v_add_co_u32 v5, vcc_lo, s26, v5
	s_wait_alu 0xfffd
	s_delay_alu instid0(VALU_DEP_2)
	v_add_co_ci_u32_e64 v6, null, s27, v6, vcc_lo
	global_store_b32 v[5:6], v7, off
	scratch_store_b32 off, v8, s22 offset:8
.LBB208_93:                             ;   in Loop: Header=BB208_87 Depth=1
	;; [unrolled: 25-line block ×5, first 2 shown]
	s_or_b32 exec_lo, exec_lo, s23
	v_add_nc_u32_e32 v2, 0x1800, v4
	s_mov_b32 s23, exec_lo
	s_delay_alu instid0(VALU_DEP_1)
	v_cmpx_gt_u32_e64 s33, v2
	s_cbranch_execz .LBB208_101
; %bb.100:                              ;   in Loop: Header=BB208_87 Depth=1
	ds_load_b32 v7, v51 offset:25600
	s_wait_dscnt 0x0
	v_lshrrev_b32_e32 v2, s40, v7
	s_delay_alu instid0(VALU_DEP_1) | instskip(NEXT) | instid1(VALU_DEP_1)
	v_and_b32_e32 v8, s47, v2
	v_lshlrev_b32_e32 v2, 2, v8
	ds_load_b32 v2, v2
	s_wait_dscnt 0x0
	v_add3_u32 v2, v4, v2, 0x1800
	s_delay_alu instid0(VALU_DEP_1) | instskip(NEXT) | instid1(VALU_DEP_1)
	v_lshlrev_b64_e32 v[5:6], 2, v[2:3]
	v_add_co_u32 v5, vcc_lo, s26, v5
	s_wait_alu 0xfffd
	s_delay_alu instid0(VALU_DEP_2)
	v_add_co_ci_u32_e64 v6, null, s27, v6, vcc_lo
	global_store_b32 v[5:6], v7, off
	scratch_store_b32 off, v8, s22 offset:24
.LBB208_101:                            ;   in Loop: Header=BB208_87 Depth=1
	s_or_b32 exec_lo, exec_lo, s23
	v_add_nc_u32_e32 v2, 0x1c00, v4
	s_mov_b32 s23, exec_lo
	s_delay_alu instid0(VALU_DEP_1)
	v_cmpx_gt_u32_e64 s33, v2
	s_cbranch_execz .LBB208_86
; %bb.102:                              ;   in Loop: Header=BB208_87 Depth=1
	ds_load_b32 v7, v51 offset:29696
	s_wait_dscnt 0x0
	v_lshrrev_b32_e32 v2, s40, v7
	s_delay_alu instid0(VALU_DEP_1) | instskip(NEXT) | instid1(VALU_DEP_1)
	v_and_b32_e32 v8, s47, v2
	v_lshlrev_b32_e32 v2, 2, v8
	ds_load_b32 v2, v2
	s_wait_dscnt 0x0
	v_add3_u32 v2, v4, v2, 0x1c00
	s_delay_alu instid0(VALU_DEP_1) | instskip(NEXT) | instid1(VALU_DEP_1)
	v_lshlrev_b64_e32 v[5:6], 2, v[2:3]
	v_add_co_u32 v5, vcc_lo, s26, v5
	s_wait_alu 0xfffd
	s_delay_alu instid0(VALU_DEP_2)
	v_add_co_ci_u32_e64 v6, null, s27, v6, vcc_lo
	global_store_b32 v[5:6], v7, off
	scratch_store_b32 off, v8, s22 offset:28
	s_branch .LBB208_86
.LBB208_103:
	v_dual_mov_b32 v3, 0 :: v_dual_lshlrev_b32 v2, 3, v36
	s_lshl_b64 s[20:21], s[42:43], 3
	v_lshlrev_b32_e32 v4, 3, v10
	s_wait_alu 0xfffe
	s_add_nc_u64 s[20:21], s[28:29], s[20:21]
	s_wait_alu 0xfffe
	v_add_co_u32 v2, s19, s20, v2
	s_wait_alu 0xf1ff
	v_add_co_ci_u32_e64 v5, null, s21, 0, s19
	s_delay_alu instid0(VALU_DEP_2) | instskip(SKIP_1) | instid1(VALU_DEP_2)
	v_add_co_u32 v34, vcc_lo, v2, v4
	s_wait_alu 0xfffd
	v_add_co_ci_u32_e64 v35, null, 0, v5, vcc_lo
	v_dual_mov_b32 v5, 0 :: v_dual_mov_b32 v4, 0
	s_and_saveexec_b32 s19, s17
	s_cbranch_execz .LBB208_105
; %bb.104:
	global_load_b64 v[4:5], v[34:35], off
.LBB208_105:
	s_wait_alu 0xfffe
	s_or_b32 exec_lo, exec_lo, s19
	v_mov_b32_e32 v2, 0
	s_and_saveexec_b32 s17, s16
	s_cbranch_execz .LBB208_107
; %bb.106:
	global_load_b64 v[2:3], v[34:35], off offset:256
.LBB208_107:
	s_or_b32 exec_lo, exec_lo, s17
	v_dual_mov_b32 v7, 0 :: v_dual_mov_b32 v8, 0
	v_mov_b32_e32 v9, 0
	s_and_saveexec_b32 s16, s15
	s_cbranch_execz .LBB208_109
; %bb.108:
	global_load_b64 v[8:9], v[34:35], off offset:512
.LBB208_109:
	s_or_b32 exec_lo, exec_lo, s16
	v_mov_b32_e32 v6, 0
	s_and_saveexec_b32 s15, s14
	s_cbranch_execz .LBB208_111
; %bb.110:
	global_load_b64 v[6:7], v[34:35], off offset:768
.LBB208_111:
	s_or_b32 exec_lo, exec_lo, s15
	v_dual_mov_b32 v11, 0 :: v_dual_mov_b32 v12, 0
	v_mov_b32_e32 v13, 0
	s_and_saveexec_b32 s14, s13
	s_cbranch_execz .LBB208_113
; %bb.112:
	global_load_b64 v[12:13], v[34:35], off offset:1024
.LBB208_113:
	s_or_b32 exec_lo, exec_lo, s14
	v_mov_b32_e32 v10, 0
	s_and_saveexec_b32 s13, s12
	s_cbranch_execz .LBB208_115
; %bb.114:
	global_load_b64 v[10:11], v[34:35], off offset:1280
.LBB208_115:
	s_or_b32 exec_lo, exec_lo, s13
	v_dual_mov_b32 v15, 0 :: v_dual_mov_b32 v16, 0
	v_mov_b32_e32 v17, 0
	s_and_saveexec_b32 s12, s11
	s_cbranch_execz .LBB208_117
; %bb.116:
	global_load_b64 v[16:17], v[34:35], off offset:1536
.LBB208_117:
	s_or_b32 exec_lo, exec_lo, s12
	v_mov_b32_e32 v14, 0
	s_and_saveexec_b32 s11, s10
	s_cbranch_execz .LBB208_119
; %bb.118:
	global_load_b64 v[14:15], v[34:35], off offset:1792
.LBB208_119:
	s_or_b32 exec_lo, exec_lo, s11
	v_dual_mov_b32 v19, 0 :: v_dual_mov_b32 v20, 0
	v_mov_b32_e32 v21, 0
	s_and_saveexec_b32 s10, s9
	s_cbranch_execz .LBB208_121
; %bb.120:
	global_load_b64 v[20:21], v[34:35], off offset:2048
.LBB208_121:
	s_or_b32 exec_lo, exec_lo, s10
	v_mov_b32_e32 v18, 0
	s_and_saveexec_b32 s9, s8
	s_cbranch_execz .LBB208_123
; %bb.122:
	global_load_b64 v[18:19], v[34:35], off offset:2304
.LBB208_123:
	s_or_b32 exec_lo, exec_lo, s9
	v_dual_mov_b32 v23, 0 :: v_dual_mov_b32 v24, 0
	v_mov_b32_e32 v25, 0
	s_and_saveexec_b32 s8, s7
	s_cbranch_execz .LBB208_125
; %bb.124:
	global_load_b64 v[24:25], v[34:35], off offset:2560
.LBB208_125:
	s_or_b32 exec_lo, exec_lo, s8
	v_mov_b32_e32 v22, 0
	s_and_saveexec_b32 s7, s6
	s_cbranch_execz .LBB208_127
; %bb.126:
	global_load_b64 v[22:23], v[34:35], off offset:2816
.LBB208_127:
	s_or_b32 exec_lo, exec_lo, s7
	v_dual_mov_b32 v27, 0 :: v_dual_mov_b32 v28, 0
	v_mov_b32_e32 v29, 0
	s_and_saveexec_b32 s6, s5
	s_cbranch_execz .LBB208_129
; %bb.128:
	global_load_b64 v[28:29], v[34:35], off offset:3072
.LBB208_129:
	s_or_b32 exec_lo, exec_lo, s6
	v_mov_b32_e32 v26, 0
	s_and_saveexec_b32 s5, s4
	s_cbranch_execz .LBB208_131
; %bb.130:
	global_load_b64 v[26:27], v[34:35], off offset:3328
.LBB208_131:
	s_or_b32 exec_lo, exec_lo, s5
	v_dual_mov_b32 v31, 0 :: v_dual_mov_b32 v32, 0
	v_mov_b32_e32 v33, 0
	s_and_saveexec_b32 s4, s3
	s_cbranch_execz .LBB208_133
; %bb.132:
	global_load_b64 v[32:33], v[34:35], off offset:3584
.LBB208_133:
	s_or_b32 exec_lo, exec_lo, s4
	v_mov_b32_e32 v30, 0
	s_and_saveexec_b32 s3, s2
	s_cbranch_execz .LBB208_135
; %bb.134:
	global_load_b64 v[30:31], v[34:35], off offset:3840
.LBB208_135:
	s_wait_alu 0xfffe
	s_or_b32 exec_lo, exec_lo, s3
	v_dual_mov_b32 v35, 0 :: v_dual_lshlrev_b32 v46, 3, v1
	v_mov_b32_e32 v49, v1
	s_or_b32 s2, 0, 8
	s_mov_b32 s3, 0
	s_branch .LBB208_137
.LBB208_136:                            ;   in Loop: Header=BB208_137 Depth=1
	s_or_b32 exec_lo, exec_lo, s4
	v_add_nc_u32_e32 v49, 0x1000, v49
	s_addk_co_i32 s3, 0xf000
	s_add_co_i32 s2, s2, 16
	s_wait_alu 0xfffe
	s_cmp_eq_u32 s3, 0xffffc000
	s_wait_loadcnt 0x0
	s_wait_storecnt 0x0
	s_barrier_signal -1
	s_barrier_wait -1
	global_inv scope:SCOPE_SE
	s_cbranch_scc1 .LBB208_145
.LBB208_137:                            ; =>This Inner Loop Header: Depth=1
	s_wait_alu 0xfffe
	v_add_nc_u32_e32 v34, s3, v44
	v_add_nc_u32_e32 v53, s3, v43
	;; [unrolled: 1-line block ×5, first 2 shown]
	v_min_u32_e32 v34, 0x1000, v34
	v_add_nc_u32_e32 v62, s3, v42
	v_min_u32_e32 v53, 0x1000, v53
	v_min_u32_e32 v56, 0x1000, v56
	;; [unrolled: 1-line block ×3, first 2 shown]
	v_lshlrev_b32_e32 v34, 3, v34
	v_min_u32_e32 v61, 0x1000, v61
	v_min_u32_e32 v62, 0x1000, v62
	v_lshlrev_b32_e32 v53, 3, v53
	v_lshlrev_b32_e32 v56, 3, v56
	s_wait_loadcnt 0x0
	ds_store_b64 v34, v[4:5] offset:1024
	v_lshlrev_b32_e32 v34, 3, v59
	v_lshlrev_b32_e32 v59, 3, v61
	;; [unrolled: 1-line block ×3, first 2 shown]
	ds_store_b64 v53, v[2:3] offset:1024
	ds_store_b64 v56, v[8:9] offset:1024
	;; [unrolled: 1-line block ×5, first 2 shown]
	v_add_nc_u32_e32 v34, s3, v45
	v_add_nc_u32_e32 v53, s3, v48
	;; [unrolled: 1-line block ×5, first 2 shown]
	v_min_u32_e32 v34, 0x1000, v34
	v_min_u32_e32 v53, 0x1000, v53
	;; [unrolled: 1-line block ×5, first 2 shown]
	v_lshlrev_b32_e32 v34, 3, v34
	v_lshlrev_b32_e32 v53, 3, v53
	;; [unrolled: 1-line block ×5, first 2 shown]
	ds_store_b64 v34, v[16:17] offset:1024
	ds_store_b64 v53, v[14:15] offset:1024
	;; [unrolled: 1-line block ×5, first 2 shown]
	v_add_nc_u32_e32 v34, s3, v60
	v_add_nc_u32_e32 v53, s3, v57
	;; [unrolled: 1-line block ×5, first 2 shown]
	v_min_u32_e32 v34, 0x1000, v34
	v_min_u32_e32 v53, 0x1000, v53
	;; [unrolled: 1-line block ×5, first 2 shown]
	v_lshlrev_b32_e32 v34, 3, v34
	v_lshlrev_b32_e32 v53, 3, v53
	;; [unrolled: 1-line block ×4, first 2 shown]
	s_mov_b32 s4, exec_lo
	v_lshlrev_b32_e32 v61, 3, v61
	ds_store_b64 v34, v[22:23] offset:1024
	ds_store_b64 v53, v[28:29] offset:1024
	;; [unrolled: 1-line block ×5, first 2 shown]
	s_wait_dscnt 0x0
	s_barrier_signal -1
	s_barrier_wait -1
	global_inv scope:SCOPE_SE
	v_cmpx_gt_u32_e64 s33, v49
	s_cbranch_execz .LBB208_139
; %bb.138:                              ;   in Loop: Header=BB208_137 Depth=1
	scratch_load_b32 v34, off, s2 offset:-8
	s_wait_loadcnt 0x0
	v_lshlrev_b32_e32 v34, 2, v34
	ds_load_b32 v34, v34
	ds_load_b64 v[61:62], v46 offset:1024
	s_wait_dscnt 0x1
	v_add_nc_u32_e32 v34, v49, v34
	s_delay_alu instid0(VALU_DEP_1) | instskip(NEXT) | instid1(VALU_DEP_1)
	v_lshlrev_b64_e32 v[63:64], 3, v[34:35]
	v_add_co_u32 v63, vcc_lo, s30, v63
	s_wait_alu 0xfffd
	s_delay_alu instid0(VALU_DEP_2)
	v_add_co_ci_u32_e64 v64, null, s31, v64, vcc_lo
	s_wait_dscnt 0x0
	global_store_b64 v[63:64], v[61:62], off
.LBB208_139:                            ;   in Loop: Header=BB208_137 Depth=1
	s_or_b32 exec_lo, exec_lo, s4
	v_add_nc_u32_e32 v34, 0x400, v49
	s_mov_b32 s4, exec_lo
	s_delay_alu instid0(VALU_DEP_1)
	v_cmpx_gt_u32_e64 s33, v34
	s_cbranch_execz .LBB208_141
; %bb.140:                              ;   in Loop: Header=BB208_137 Depth=1
	scratch_load_b32 v34, off, s2 offset:-4
	s_wait_loadcnt 0x0
	v_lshlrev_b32_e32 v34, 2, v34
	ds_load_b32 v34, v34
	ds_load_b64 v[61:62], v46 offset:9216
	s_wait_dscnt 0x1
	v_add3_u32 v34, v49, v34, 0x400
	s_delay_alu instid0(VALU_DEP_1) | instskip(NEXT) | instid1(VALU_DEP_1)
	v_lshlrev_b64_e32 v[63:64], 3, v[34:35]
	v_add_co_u32 v63, vcc_lo, s30, v63
	s_wait_alu 0xfffd
	s_delay_alu instid0(VALU_DEP_2)
	v_add_co_ci_u32_e64 v64, null, s31, v64, vcc_lo
	s_wait_dscnt 0x0
	global_store_b64 v[63:64], v[61:62], off
.LBB208_141:                            ;   in Loop: Header=BB208_137 Depth=1
	s_or_b32 exec_lo, exec_lo, s4
	v_add_nc_u32_e32 v34, 0x800, v49
	s_mov_b32 s4, exec_lo
	s_delay_alu instid0(VALU_DEP_1)
	v_cmpx_gt_u32_e64 s33, v34
	s_cbranch_execz .LBB208_143
; %bb.142:                              ;   in Loop: Header=BB208_137 Depth=1
	scratch_load_b32 v34, off, s2
	s_wait_loadcnt 0x0
	v_lshlrev_b32_e32 v34, 2, v34
	ds_load_b32 v34, v34
	ds_load_b64 v[61:62], v46 offset:17408
	s_wait_dscnt 0x1
	v_add3_u32 v34, v49, v34, 0x800
	s_delay_alu instid0(VALU_DEP_1) | instskip(NEXT) | instid1(VALU_DEP_1)
	v_lshlrev_b64_e32 v[63:64], 3, v[34:35]
	v_add_co_u32 v63, vcc_lo, s30, v63
	s_wait_alu 0xfffd
	s_delay_alu instid0(VALU_DEP_2)
	v_add_co_ci_u32_e64 v64, null, s31, v64, vcc_lo
	s_wait_dscnt 0x0
	global_store_b64 v[63:64], v[61:62], off
.LBB208_143:                            ;   in Loop: Header=BB208_137 Depth=1
	s_or_b32 exec_lo, exec_lo, s4
	v_add_nc_u32_e32 v34, 0xc00, v49
	s_mov_b32 s4, exec_lo
	s_delay_alu instid0(VALU_DEP_1)
	v_cmpx_gt_u32_e64 s33, v34
	s_cbranch_execz .LBB208_136
; %bb.144:                              ;   in Loop: Header=BB208_137 Depth=1
	scratch_load_b32 v34, off, s2 offset:4
	s_wait_loadcnt 0x0
	v_lshlrev_b32_e32 v34, 2, v34
	ds_load_b32 v34, v34
	ds_load_b64 v[61:62], v46 offset:25600
	s_wait_dscnt 0x1
	v_add3_u32 v34, v49, v34, 0xc00
	s_delay_alu instid0(VALU_DEP_1) | instskip(NEXT) | instid1(VALU_DEP_1)
	v_lshlrev_b64_e32 v[63:64], 3, v[34:35]
	v_add_co_u32 v63, vcc_lo, s30, v63
	s_wait_alu 0xfffd
	s_delay_alu instid0(VALU_DEP_2)
	v_add_co_ci_u32_e64 v64, null, s31, v64, vcc_lo
	s_wait_dscnt 0x0
	global_store_b64 v[63:64], v[61:62], off
	s_branch .LBB208_136
.LBB208_145:
	s_add_co_i32 s46, s46, -1
	s_wait_alu 0xfffe
	s_cmp_eq_u32 ttmp9, s46
	s_cselect_b32 s2, -1, 0
	s_xor_b32 s3, s18, -1
	s_wait_alu 0xfffe
	s_and_b32 s3, s3, s2
	s_wait_alu 0xfffe
	s_and_saveexec_b32 s2, s3
	s_cbranch_execz .LBB208_147
; %bb.146:
	ds_load_b32 v2, v51
	s_wait_dscnt 0x0
	v_add3_u32 v2, v38, v41, v2
	global_store_b32 v51, v2, s[38:39]
.LBB208_147:
	s_wait_alu 0xfffe
	s_or_b32 exec_lo, exec_lo, s2
	s_mov_b32 s2, 0
.LBB208_148:
	s_wait_alu 0xfffe
	s_and_b32 vcc_lo, exec_lo, s2
	s_wait_alu 0xfffe
	s_cbranch_vccz .LBB208_207
; %bb.149:
	v_lshlrev_b32_e32 v2, 4, v1
	s_lshl_b32 s6, ttmp9, 14
	s_mov_b32 s7, 0
	s_delay_alu instid0(SALU_CYCLE_1) | instskip(NEXT) | instid1(VALU_DEP_1)
	s_lshl_b64 s[2:3], s[6:7], 2
	v_and_b32_e32 v10, 0x3e00, v2
	v_lshlrev_b32_e32 v2, 2, v36
	s_wait_alu 0xfffe
	s_add_nc_u64 s[2:3], s[24:25], s[2:3]
	s_delay_alu instid0(VALU_DEP_2) | instskip(SKIP_4) | instid1(VALU_DEP_2)
	v_lshlrev_b32_e32 v3, 2, v10
	s_wait_alu 0xfffe
	v_add_co_u32 v2, s2, s2, v2
	s_wait_alu 0xf1ff
	v_add_co_ci_u32_e64 v4, null, s3, 0, s2
	v_add_co_u32 v2, vcc_lo, v2, v3
	s_wait_alu 0xfffd
	s_delay_alu instid0(VALU_DEP_2)
	v_add_co_ci_u32_e64 v3, null, 0, v4, vcc_lo
	s_clause 0xf
	global_load_b32 v11, v[2:3], off
	global_load_b32 v12, v[2:3], off offset:128
	global_load_b32 v13, v[2:3], off offset:256
	;; [unrolled: 1-line block ×15, first 2 shown]
	s_clause 0x1
	s_load_b32 s8, s[0:1], 0x58
	s_load_u16 s2, s[0:1], 0x66
	s_wait_kmcnt 0x0
	s_cmp_lt_u32 ttmp9, s8
	s_cselect_b32 s0, 12, 18
	s_lshl_b32 s1, -1, s41
	s_wait_alu 0xfffe
	s_not_b32 s9, s1
	s_mov_b32 s1, s7
	s_wait_alu 0xfffe
	s_add_nc_u64 s[0:1], s[44:45], s[0:1]
	s_load_u16 s1, s[0:1], 0x0
	s_wait_loadcnt 0xf
	v_lshrrev_b32_e32 v2, s40, v11
	s_delay_alu instid0(VALU_DEP_1) | instskip(SKIP_2) | instid1(VALU_DEP_3)
	v_and_b32_e32 v4, s9, v2
	v_bfe_u32 v2, v0, 10, 10
	v_bfe_u32 v0, v0, 20, 10
	v_and_b32_e32 v3, 1, v4
	v_lshlrev_b32_e32 v5, 30, v4
	v_lshlrev_b32_e32 v6, 29, v4
	;; [unrolled: 1-line block ×4, first 2 shown]
	v_add_co_u32 v3, s0, v3, -1
	s_wait_alu 0xf1ff
	v_cndmask_b32_e64 v8, 0, 1, s0
	v_not_b32_e32 v29, v5
	v_cmp_gt_i32_e64 s0, 0, v5
	v_not_b32_e32 v5, v6
	v_lshlrev_b32_e32 v27, 26, v4
	v_cmp_ne_u32_e32 vcc_lo, 0, v8
	v_ashrrev_i32_e32 v29, 31, v29
	v_lshlrev_b32_e32 v28, 25, v4
	v_ashrrev_i32_e32 v5, 31, v5
	v_lshlrev_b32_e32 v8, 24, v4
	s_wait_alu 0xfffd
	v_xor_b32_e32 v3, vcc_lo, v3
	v_cmp_gt_i32_e32 vcc_lo, 0, v6
	v_not_b32_e32 v6, v7
	s_wait_alu 0xf1ff
	v_xor_b32_e32 v29, s0, v29
	v_cmp_gt_i32_e64 s0, 0, v7
	v_and_b32_e32 v3, exec_lo, v3
	v_not_b32_e32 v7, v9
	v_ashrrev_i32_e32 v6, 31, v6
	s_wait_alu 0xfffd
	v_xor_b32_e32 v5, vcc_lo, v5
	v_cmp_gt_i32_e32 vcc_lo, 0, v9
	v_and_b32_e32 v3, v3, v29
	v_not_b32_e32 v9, v27
	v_ashrrev_i32_e32 v7, 31, v7
	s_wait_alu 0xf1ff
	v_xor_b32_e32 v6, s0, v6
	v_cmp_gt_i32_e64 s0, 0, v27
	v_and_b32_e32 v3, v3, v5
	v_not_b32_e32 v5, v28
	v_ashrrev_i32_e32 v9, 31, v9
	s_wait_alu 0xfffd
	v_xor_b32_e32 v7, vcc_lo, v7
	v_cmp_gt_i32_e32 vcc_lo, 0, v28
	v_and_b32_e32 v3, v3, v6
	v_ashrrev_i32_e32 v5, 31, v5
	s_wait_alu 0xf1ff
	v_xor_b32_e32 v9, s0, v9
	v_not_b32_e32 v6, v8
	v_mad_u32_u24 v0, v0, s2, v2
	v_and_b32_e32 v3, v3, v7
	s_wait_alu 0xfffd
	v_xor_b32_e32 v5, vcc_lo, v5
	v_cmp_gt_i32_e64 s0, 0, v8
	v_ashrrev_i32_e32 v6, 31, v6
	v_mul_lo_u32 v4, 0x84, v4
	v_and_b32_e32 v3, v3, v9
	v_mul_u32_u24_e32 v29, 36, v1
	v_mov_b32_e32 v7, 0
	s_wait_alu 0xf1ff
	v_xor_b32_e32 v6, s0, v6
	ds_store_2addr_b32 v29, v7, v7 offset0:32 offset1:33
	ds_store_2addr_b32 v29, v7, v7 offset0:34 offset1:35
	;; [unrolled: 1-line block ×4, first 2 shown]
	v_and_b32_e32 v5, v3, v5
	s_wait_kmcnt 0x0
	v_mad_co_u64_u32 v[2:3], null, v0, s1, v[1:2]
	ds_store_b32 v29, v7 offset:160
	s_wait_storecnt 0x0
	s_wait_loadcnt_dscnt 0x0
	v_and_b32_e32 v3, v5, v6
	s_barrier_signal -1
	s_barrier_wait -1
	global_inv scope:SCOPE_SE
	v_lshrrev_b32_e32 v2, 3, v2
	v_mbcnt_lo_u32_b32 v0, v3, 0
	v_cmp_ne_u32_e64 s0, 0, v3
	; wave barrier
	s_delay_alu instid0(VALU_DEP_3) | instskip(NEXT) | instid1(VALU_DEP_3)
	v_and_b32_e32 v2, 0x1ffffffc, v2
	v_cmp_eq_u32_e32 vcc_lo, 0, v0
	s_delay_alu instid0(VALU_DEP_2)
	v_add_nc_u32_e32 v30, v2, v4
	s_and_b32 s1, s0, vcc_lo
	s_wait_alu 0xfffe
	s_and_saveexec_b32 s0, s1
; %bb.150:
	v_bcnt_u32_b32 v3, v3, 0
	ds_store_b32 v30, v3 offset:128
; %bb.151:
	s_wait_alu 0xfffe
	s_or_b32 exec_lo, exec_lo, s0
	v_lshrrev_b32_e32 v3, s40, v12
	; wave barrier
	s_delay_alu instid0(VALU_DEP_1) | instskip(NEXT) | instid1(VALU_DEP_1)
	v_and_b32_e32 v3, s9, v3
	v_and_b32_e32 v5, 1, v3
	v_lshlrev_b32_e32 v6, 30, v3
	v_lshlrev_b32_e32 v7, 29, v3
	;; [unrolled: 1-line block ×4, first 2 shown]
	v_add_co_u32 v5, s0, v5, -1
	s_wait_alu 0xf1ff
	v_cndmask_b32_e64 v9, 0, 1, s0
	v_not_b32_e32 v32, v6
	v_cmp_gt_i32_e64 s0, 0, v6
	v_not_b32_e32 v6, v7
	v_lshlrev_b32_e32 v28, 26, v3
	v_cmp_ne_u32_e32 vcc_lo, 0, v9
	v_ashrrev_i32_e32 v9, 31, v32
	v_lshlrev_b32_e32 v31, 25, v3
	v_ashrrev_i32_e32 v6, 31, v6
	v_mul_lo_u32 v4, 0x84, v3
	s_wait_alu 0xfffd
	v_xor_b32_e32 v5, vcc_lo, v5
	v_cmp_gt_i32_e32 vcc_lo, 0, v7
	v_not_b32_e32 v7, v8
	s_wait_alu 0xf1ff
	v_xor_b32_e32 v9, s0, v9
	v_cmp_gt_i32_e64 s0, 0, v8
	v_and_b32_e32 v5, exec_lo, v5
	v_not_b32_e32 v8, v27
	v_ashrrev_i32_e32 v7, 31, v7
	s_wait_alu 0xfffd
	v_xor_b32_e32 v6, vcc_lo, v6
	v_cmp_gt_i32_e32 vcc_lo, 0, v27
	v_and_b32_e32 v5, v5, v9
	v_not_b32_e32 v9, v28
	v_ashrrev_i32_e32 v8, 31, v8
	s_wait_alu 0xf1ff
	v_xor_b32_e32 v7, s0, v7
	v_lshlrev_b32_e32 v3, 24, v3
	v_and_b32_e32 v5, v5, v6
	v_cmp_gt_i32_e64 s0, 0, v28
	v_not_b32_e32 v6, v31
	v_ashrrev_i32_e32 v9, 31, v9
	s_wait_alu 0xfffd
	v_xor_b32_e32 v8, vcc_lo, v8
	v_and_b32_e32 v5, v5, v7
	v_cmp_gt_i32_e32 vcc_lo, 0, v31
	v_not_b32_e32 v7, v3
	v_ashrrev_i32_e32 v6, 31, v6
	s_wait_alu 0xf1ff
	v_xor_b32_e32 v9, s0, v9
	v_and_b32_e32 v5, v5, v8
	v_cmp_gt_i32_e64 s0, 0, v3
	v_ashrrev_i32_e32 v3, 31, v7
	s_wait_alu 0xfffd
	v_xor_b32_e32 v6, vcc_lo, v6
	v_add_nc_u32_e32 v33, v2, v4
	v_and_b32_e32 v5, v5, v9
	s_wait_alu 0xf1ff
	v_xor_b32_e32 v3, s0, v3
	ds_load_b32 v27, v33 offset:128
	v_and_b32_e32 v4, v5, v6
	; wave barrier
	s_delay_alu instid0(VALU_DEP_1) | instskip(NEXT) | instid1(VALU_DEP_1)
	v_and_b32_e32 v3, v4, v3
	v_mbcnt_lo_u32_b32 v28, v3, 0
	v_cmp_ne_u32_e64 s0, 0, v3
	s_delay_alu instid0(VALU_DEP_2)
	v_cmp_eq_u32_e32 vcc_lo, 0, v28
	s_and_b32 s1, s0, vcc_lo
	s_wait_alu 0xfffe
	s_and_saveexec_b32 s0, s1
	s_cbranch_execz .LBB208_153
; %bb.152:
	s_wait_dscnt 0x0
	v_bcnt_u32_b32 v3, v3, v27
	ds_store_b32 v33, v3 offset:128
.LBB208_153:
	s_wait_alu 0xfffe
	s_or_b32 exec_lo, exec_lo, s0
	v_lshrrev_b32_e32 v3, s40, v13
	; wave barrier
	s_delay_alu instid0(VALU_DEP_1) | instskip(NEXT) | instid1(VALU_DEP_1)
	v_and_b32_e32 v3, s9, v3
	v_and_b32_e32 v5, 1, v3
	v_lshlrev_b32_e32 v6, 30, v3
	v_lshlrev_b32_e32 v7, 29, v3
	;; [unrolled: 1-line block ×4, first 2 shown]
	v_add_co_u32 v5, s0, v5, -1
	s_wait_alu 0xf1ff
	v_cndmask_b32_e64 v9, 0, 1, s0
	v_not_b32_e32 v35, v6
	v_cmp_gt_i32_e64 s0, 0, v6
	v_not_b32_e32 v6, v7
	v_lshlrev_b32_e32 v32, 26, v3
	v_cmp_ne_u32_e32 vcc_lo, 0, v9
	v_ashrrev_i32_e32 v9, 31, v35
	v_lshlrev_b32_e32 v34, 25, v3
	v_ashrrev_i32_e32 v6, 31, v6
	v_mul_lo_u32 v4, 0x84, v3
	s_wait_alu 0xfffd
	v_xor_b32_e32 v5, vcc_lo, v5
	v_cmp_gt_i32_e32 vcc_lo, 0, v7
	v_not_b32_e32 v7, v8
	s_wait_alu 0xf1ff
	v_xor_b32_e32 v9, s0, v9
	v_cmp_gt_i32_e64 s0, 0, v8
	v_and_b32_e32 v5, exec_lo, v5
	v_not_b32_e32 v8, v31
	v_ashrrev_i32_e32 v7, 31, v7
	s_wait_alu 0xfffd
	v_xor_b32_e32 v6, vcc_lo, v6
	v_cmp_gt_i32_e32 vcc_lo, 0, v31
	v_and_b32_e32 v5, v5, v9
	v_not_b32_e32 v9, v32
	v_ashrrev_i32_e32 v8, 31, v8
	s_wait_alu 0xf1ff
	v_xor_b32_e32 v7, s0, v7
	v_lshlrev_b32_e32 v3, 24, v3
	v_and_b32_e32 v5, v5, v6
	v_cmp_gt_i32_e64 s0, 0, v32
	v_not_b32_e32 v6, v34
	v_ashrrev_i32_e32 v9, 31, v9
	s_wait_alu 0xfffd
	v_xor_b32_e32 v8, vcc_lo, v8
	v_and_b32_e32 v5, v5, v7
	v_cmp_gt_i32_e32 vcc_lo, 0, v34
	v_not_b32_e32 v7, v3
	v_ashrrev_i32_e32 v6, 31, v6
	s_wait_alu 0xf1ff
	v_xor_b32_e32 v9, s0, v9
	v_and_b32_e32 v5, v5, v8
	v_cmp_gt_i32_e64 s0, 0, v3
	v_ashrrev_i32_e32 v3, 31, v7
	s_wait_alu 0xfffd
	v_xor_b32_e32 v6, vcc_lo, v6
	v_add_nc_u32_e32 v37, v2, v4
	v_and_b32_e32 v5, v5, v9
	s_wait_alu 0xf1ff
	v_xor_b32_e32 v3, s0, v3
	ds_load_b32 v31, v37 offset:128
	v_and_b32_e32 v4, v5, v6
	; wave barrier
	s_delay_alu instid0(VALU_DEP_1) | instskip(NEXT) | instid1(VALU_DEP_1)
	v_and_b32_e32 v3, v4, v3
	v_mbcnt_lo_u32_b32 v32, v3, 0
	v_cmp_ne_u32_e64 s0, 0, v3
	s_delay_alu instid0(VALU_DEP_2)
	v_cmp_eq_u32_e32 vcc_lo, 0, v32
	s_and_b32 s1, s0, vcc_lo
	s_wait_alu 0xfffe
	s_and_saveexec_b32 s0, s1
	s_cbranch_execz .LBB208_155
; %bb.154:
	s_wait_dscnt 0x0
	v_bcnt_u32_b32 v3, v3, v31
	ds_store_b32 v37, v3 offset:128
.LBB208_155:
	s_wait_alu 0xfffe
	s_or_b32 exec_lo, exec_lo, s0
	v_lshrrev_b32_e32 v3, s40, v14
	; wave barrier
	s_delay_alu instid0(VALU_DEP_1) | instskip(NEXT) | instid1(VALU_DEP_1)
	v_and_b32_e32 v3, s9, v3
	v_and_b32_e32 v5, 1, v3
	v_lshlrev_b32_e32 v6, 30, v3
	v_lshlrev_b32_e32 v7, 29, v3
	;; [unrolled: 1-line block ×4, first 2 shown]
	v_add_co_u32 v5, s0, v5, -1
	s_wait_alu 0xf1ff
	v_cndmask_b32_e64 v9, 0, 1, s0
	v_not_b32_e32 v39, v6
	v_cmp_gt_i32_e64 s0, 0, v6
	v_not_b32_e32 v6, v7
	v_lshlrev_b32_e32 v35, 26, v3
	v_cmp_ne_u32_e32 vcc_lo, 0, v9
	v_ashrrev_i32_e32 v9, 31, v39
	v_lshlrev_b32_e32 v38, 25, v3
	v_ashrrev_i32_e32 v6, 31, v6
	v_mul_lo_u32 v4, 0x84, v3
	s_wait_alu 0xfffd
	v_xor_b32_e32 v5, vcc_lo, v5
	v_cmp_gt_i32_e32 vcc_lo, 0, v7
	v_not_b32_e32 v7, v8
	s_wait_alu 0xf1ff
	v_xor_b32_e32 v9, s0, v9
	v_cmp_gt_i32_e64 s0, 0, v8
	v_and_b32_e32 v5, exec_lo, v5
	v_not_b32_e32 v8, v34
	v_ashrrev_i32_e32 v7, 31, v7
	s_wait_alu 0xfffd
	v_xor_b32_e32 v6, vcc_lo, v6
	v_cmp_gt_i32_e32 vcc_lo, 0, v34
	v_and_b32_e32 v5, v5, v9
	v_not_b32_e32 v9, v35
	v_ashrrev_i32_e32 v8, 31, v8
	s_wait_alu 0xf1ff
	v_xor_b32_e32 v7, s0, v7
	v_lshlrev_b32_e32 v3, 24, v3
	v_and_b32_e32 v5, v5, v6
	v_cmp_gt_i32_e64 s0, 0, v35
	v_not_b32_e32 v6, v38
	v_ashrrev_i32_e32 v9, 31, v9
	s_wait_alu 0xfffd
	v_xor_b32_e32 v8, vcc_lo, v8
	v_and_b32_e32 v5, v5, v7
	v_cmp_gt_i32_e32 vcc_lo, 0, v38
	v_not_b32_e32 v7, v3
	v_ashrrev_i32_e32 v6, 31, v6
	s_wait_alu 0xf1ff
	v_xor_b32_e32 v9, s0, v9
	v_and_b32_e32 v5, v5, v8
	v_cmp_gt_i32_e64 s0, 0, v3
	v_ashrrev_i32_e32 v3, 31, v7
	s_wait_alu 0xfffd
	v_xor_b32_e32 v6, vcc_lo, v6
	v_add_nc_u32_e32 v40, v2, v4
	v_and_b32_e32 v5, v5, v9
	s_wait_alu 0xf1ff
	v_xor_b32_e32 v3, s0, v3
	ds_load_b32 v34, v40 offset:128
	v_and_b32_e32 v4, v5, v6
	; wave barrier
	s_delay_alu instid0(VALU_DEP_1) | instskip(NEXT) | instid1(VALU_DEP_1)
	v_and_b32_e32 v3, v4, v3
	v_mbcnt_lo_u32_b32 v35, v3, 0
	v_cmp_ne_u32_e64 s0, 0, v3
	s_delay_alu instid0(VALU_DEP_2)
	v_cmp_eq_u32_e32 vcc_lo, 0, v35
	s_and_b32 s1, s0, vcc_lo
	s_wait_alu 0xfffe
	s_and_saveexec_b32 s0, s1
	s_cbranch_execz .LBB208_157
; %bb.156:
	s_wait_dscnt 0x0
	v_bcnt_u32_b32 v3, v3, v34
	ds_store_b32 v40, v3 offset:128
.LBB208_157:
	s_wait_alu 0xfffe
	s_or_b32 exec_lo, exec_lo, s0
	v_lshrrev_b32_e32 v3, s40, v15
	; wave barrier
	s_delay_alu instid0(VALU_DEP_1) | instskip(NEXT) | instid1(VALU_DEP_1)
	v_and_b32_e32 v3, s9, v3
	v_and_b32_e32 v5, 1, v3
	v_lshlrev_b32_e32 v6, 30, v3
	v_lshlrev_b32_e32 v7, 29, v3
	;; [unrolled: 1-line block ×4, first 2 shown]
	v_add_co_u32 v5, s0, v5, -1
	s_wait_alu 0xf1ff
	v_cndmask_b32_e64 v9, 0, 1, s0
	v_not_b32_e32 v42, v6
	v_cmp_gt_i32_e64 s0, 0, v6
	v_not_b32_e32 v6, v7
	v_lshlrev_b32_e32 v39, 26, v3
	v_cmp_ne_u32_e32 vcc_lo, 0, v9
	v_ashrrev_i32_e32 v9, 31, v42
	v_lshlrev_b32_e32 v41, 25, v3
	v_ashrrev_i32_e32 v6, 31, v6
	v_mul_lo_u32 v4, 0x84, v3
	s_wait_alu 0xfffd
	v_xor_b32_e32 v5, vcc_lo, v5
	v_cmp_gt_i32_e32 vcc_lo, 0, v7
	v_not_b32_e32 v7, v8
	s_wait_alu 0xf1ff
	v_xor_b32_e32 v9, s0, v9
	v_cmp_gt_i32_e64 s0, 0, v8
	v_and_b32_e32 v5, exec_lo, v5
	v_not_b32_e32 v8, v38
	v_ashrrev_i32_e32 v7, 31, v7
	s_wait_alu 0xfffd
	v_xor_b32_e32 v6, vcc_lo, v6
	v_cmp_gt_i32_e32 vcc_lo, 0, v38
	v_and_b32_e32 v5, v5, v9
	v_not_b32_e32 v9, v39
	v_ashrrev_i32_e32 v8, 31, v8
	s_wait_alu 0xf1ff
	v_xor_b32_e32 v7, s0, v7
	v_lshlrev_b32_e32 v3, 24, v3
	v_and_b32_e32 v5, v5, v6
	v_cmp_gt_i32_e64 s0, 0, v39
	v_not_b32_e32 v6, v41
	v_ashrrev_i32_e32 v9, 31, v9
	s_wait_alu 0xfffd
	v_xor_b32_e32 v8, vcc_lo, v8
	v_and_b32_e32 v5, v5, v7
	v_cmp_gt_i32_e32 vcc_lo, 0, v41
	v_not_b32_e32 v7, v3
	v_ashrrev_i32_e32 v6, 31, v6
	s_wait_alu 0xf1ff
	v_xor_b32_e32 v9, s0, v9
	v_and_b32_e32 v5, v5, v8
	v_cmp_gt_i32_e64 s0, 0, v3
	v_ashrrev_i32_e32 v3, 31, v7
	s_wait_alu 0xfffd
	v_xor_b32_e32 v6, vcc_lo, v6
	v_add_nc_u32_e32 v43, v2, v4
	v_and_b32_e32 v5, v5, v9
	s_wait_alu 0xf1ff
	v_xor_b32_e32 v3, s0, v3
	ds_load_b32 v38, v43 offset:128
	v_and_b32_e32 v4, v5, v6
	; wave barrier
	s_delay_alu instid0(VALU_DEP_1) | instskip(NEXT) | instid1(VALU_DEP_1)
	v_and_b32_e32 v3, v4, v3
	v_mbcnt_lo_u32_b32 v39, v3, 0
	v_cmp_ne_u32_e64 s0, 0, v3
	s_delay_alu instid0(VALU_DEP_2)
	v_cmp_eq_u32_e32 vcc_lo, 0, v39
	s_and_b32 s1, s0, vcc_lo
	s_wait_alu 0xfffe
	s_and_saveexec_b32 s0, s1
	s_cbranch_execz .LBB208_159
; %bb.158:
	s_wait_dscnt 0x0
	v_bcnt_u32_b32 v3, v3, v38
	ds_store_b32 v43, v3 offset:128
.LBB208_159:
	s_wait_alu 0xfffe
	s_or_b32 exec_lo, exec_lo, s0
	v_lshrrev_b32_e32 v3, s40, v16
	; wave barrier
	s_delay_alu instid0(VALU_DEP_1) | instskip(NEXT) | instid1(VALU_DEP_1)
	v_and_b32_e32 v3, s9, v3
	v_and_b32_e32 v5, 1, v3
	v_lshlrev_b32_e32 v6, 30, v3
	v_lshlrev_b32_e32 v7, 29, v3
	;; [unrolled: 1-line block ×4, first 2 shown]
	v_add_co_u32 v5, s0, v5, -1
	s_wait_alu 0xf1ff
	v_cndmask_b32_e64 v9, 0, 1, s0
	v_not_b32_e32 v45, v6
	v_cmp_gt_i32_e64 s0, 0, v6
	v_not_b32_e32 v6, v7
	v_lshlrev_b32_e32 v42, 26, v3
	v_cmp_ne_u32_e32 vcc_lo, 0, v9
	v_ashrrev_i32_e32 v9, 31, v45
	v_lshlrev_b32_e32 v44, 25, v3
	v_ashrrev_i32_e32 v6, 31, v6
	v_mul_lo_u32 v4, 0x84, v3
	s_wait_alu 0xfffd
	v_xor_b32_e32 v5, vcc_lo, v5
	v_cmp_gt_i32_e32 vcc_lo, 0, v7
	v_not_b32_e32 v7, v8
	s_wait_alu 0xf1ff
	v_xor_b32_e32 v9, s0, v9
	v_cmp_gt_i32_e64 s0, 0, v8
	v_and_b32_e32 v5, exec_lo, v5
	v_not_b32_e32 v8, v41
	v_ashrrev_i32_e32 v7, 31, v7
	s_wait_alu 0xfffd
	v_xor_b32_e32 v6, vcc_lo, v6
	v_cmp_gt_i32_e32 vcc_lo, 0, v41
	v_and_b32_e32 v5, v5, v9
	v_not_b32_e32 v9, v42
	v_ashrrev_i32_e32 v8, 31, v8
	s_wait_alu 0xf1ff
	v_xor_b32_e32 v7, s0, v7
	v_lshlrev_b32_e32 v3, 24, v3
	v_and_b32_e32 v5, v5, v6
	v_cmp_gt_i32_e64 s0, 0, v42
	v_not_b32_e32 v6, v44
	v_ashrrev_i32_e32 v9, 31, v9
	s_wait_alu 0xfffd
	v_xor_b32_e32 v8, vcc_lo, v8
	v_and_b32_e32 v5, v5, v7
	v_cmp_gt_i32_e32 vcc_lo, 0, v44
	v_not_b32_e32 v7, v3
	v_ashrrev_i32_e32 v6, 31, v6
	s_wait_alu 0xf1ff
	v_xor_b32_e32 v9, s0, v9
	v_and_b32_e32 v5, v5, v8
	v_cmp_gt_i32_e64 s0, 0, v3
	v_ashrrev_i32_e32 v3, 31, v7
	s_wait_alu 0xfffd
	v_xor_b32_e32 v6, vcc_lo, v6
	v_add_nc_u32_e32 v46, v2, v4
	v_and_b32_e32 v5, v5, v9
	s_wait_alu 0xf1ff
	v_xor_b32_e32 v3, s0, v3
	ds_load_b32 v41, v46 offset:128
	v_and_b32_e32 v4, v5, v6
	; wave barrier
	s_delay_alu instid0(VALU_DEP_1) | instskip(NEXT) | instid1(VALU_DEP_1)
	v_and_b32_e32 v3, v4, v3
	v_mbcnt_lo_u32_b32 v42, v3, 0
	v_cmp_ne_u32_e64 s0, 0, v3
	s_delay_alu instid0(VALU_DEP_2)
	v_cmp_eq_u32_e32 vcc_lo, 0, v42
	s_and_b32 s1, s0, vcc_lo
	s_wait_alu 0xfffe
	s_and_saveexec_b32 s0, s1
	s_cbranch_execz .LBB208_161
; %bb.160:
	s_wait_dscnt 0x0
	v_bcnt_u32_b32 v3, v3, v41
	ds_store_b32 v46, v3 offset:128
.LBB208_161:
	s_wait_alu 0xfffe
	s_or_b32 exec_lo, exec_lo, s0
	v_lshrrev_b32_e32 v3, s40, v17
	; wave barrier
	s_delay_alu instid0(VALU_DEP_1) | instskip(NEXT) | instid1(VALU_DEP_1)
	v_and_b32_e32 v3, s9, v3
	v_and_b32_e32 v5, 1, v3
	v_lshlrev_b32_e32 v6, 30, v3
	v_lshlrev_b32_e32 v7, 29, v3
	;; [unrolled: 1-line block ×4, first 2 shown]
	v_add_co_u32 v5, s0, v5, -1
	s_wait_alu 0xf1ff
	v_cndmask_b32_e64 v9, 0, 1, s0
	v_not_b32_e32 v48, v6
	v_cmp_gt_i32_e64 s0, 0, v6
	v_not_b32_e32 v6, v7
	v_lshlrev_b32_e32 v45, 26, v3
	v_cmp_ne_u32_e32 vcc_lo, 0, v9
	v_ashrrev_i32_e32 v9, 31, v48
	v_lshlrev_b32_e32 v47, 25, v3
	v_ashrrev_i32_e32 v6, 31, v6
	v_mul_lo_u32 v4, 0x84, v3
	s_wait_alu 0xfffd
	v_xor_b32_e32 v5, vcc_lo, v5
	v_cmp_gt_i32_e32 vcc_lo, 0, v7
	v_not_b32_e32 v7, v8
	s_wait_alu 0xf1ff
	v_xor_b32_e32 v9, s0, v9
	v_cmp_gt_i32_e64 s0, 0, v8
	v_and_b32_e32 v5, exec_lo, v5
	v_not_b32_e32 v8, v44
	v_ashrrev_i32_e32 v7, 31, v7
	s_wait_alu 0xfffd
	v_xor_b32_e32 v6, vcc_lo, v6
	v_cmp_gt_i32_e32 vcc_lo, 0, v44
	v_and_b32_e32 v5, v5, v9
	v_not_b32_e32 v9, v45
	v_ashrrev_i32_e32 v8, 31, v8
	s_wait_alu 0xf1ff
	v_xor_b32_e32 v7, s0, v7
	v_lshlrev_b32_e32 v3, 24, v3
	v_and_b32_e32 v5, v5, v6
	v_cmp_gt_i32_e64 s0, 0, v45
	v_not_b32_e32 v6, v47
	v_ashrrev_i32_e32 v9, 31, v9
	s_wait_alu 0xfffd
	v_xor_b32_e32 v8, vcc_lo, v8
	v_and_b32_e32 v5, v5, v7
	v_cmp_gt_i32_e32 vcc_lo, 0, v47
	v_not_b32_e32 v7, v3
	v_ashrrev_i32_e32 v6, 31, v6
	s_wait_alu 0xf1ff
	v_xor_b32_e32 v9, s0, v9
	v_and_b32_e32 v5, v5, v8
	v_cmp_gt_i32_e64 s0, 0, v3
	v_ashrrev_i32_e32 v3, 31, v7
	s_wait_alu 0xfffd
	v_xor_b32_e32 v6, vcc_lo, v6
	v_add_nc_u32_e32 v49, v2, v4
	v_and_b32_e32 v5, v5, v9
	s_wait_alu 0xf1ff
	v_xor_b32_e32 v3, s0, v3
	ds_load_b32 v44, v49 offset:128
	v_and_b32_e32 v4, v5, v6
	; wave barrier
	s_delay_alu instid0(VALU_DEP_1) | instskip(NEXT) | instid1(VALU_DEP_1)
	v_and_b32_e32 v3, v4, v3
	v_mbcnt_lo_u32_b32 v45, v3, 0
	v_cmp_ne_u32_e64 s0, 0, v3
	s_delay_alu instid0(VALU_DEP_2)
	v_cmp_eq_u32_e32 vcc_lo, 0, v45
	s_and_b32 s1, s0, vcc_lo
	s_wait_alu 0xfffe
	s_and_saveexec_b32 s0, s1
	s_cbranch_execz .LBB208_163
; %bb.162:
	s_wait_dscnt 0x0
	v_bcnt_u32_b32 v3, v3, v44
	ds_store_b32 v49, v3 offset:128
.LBB208_163:
	s_wait_alu 0xfffe
	s_or_b32 exec_lo, exec_lo, s0
	v_lshrrev_b32_e32 v3, s40, v18
	; wave barrier
	s_delay_alu instid0(VALU_DEP_1) | instskip(NEXT) | instid1(VALU_DEP_1)
	v_and_b32_e32 v3, s9, v3
	v_and_b32_e32 v5, 1, v3
	v_lshlrev_b32_e32 v6, 30, v3
	v_lshlrev_b32_e32 v7, 29, v3
	;; [unrolled: 1-line block ×4, first 2 shown]
	v_add_co_u32 v5, s0, v5, -1
	s_wait_alu 0xf1ff
	v_cndmask_b32_e64 v9, 0, 1, s0
	v_not_b32_e32 v51, v6
	v_cmp_gt_i32_e64 s0, 0, v6
	v_not_b32_e32 v6, v7
	v_lshlrev_b32_e32 v48, 26, v3
	v_cmp_ne_u32_e32 vcc_lo, 0, v9
	v_ashrrev_i32_e32 v9, 31, v51
	v_lshlrev_b32_e32 v50, 25, v3
	v_ashrrev_i32_e32 v6, 31, v6
	v_mul_lo_u32 v4, 0x84, v3
	s_wait_alu 0xfffd
	v_xor_b32_e32 v5, vcc_lo, v5
	v_cmp_gt_i32_e32 vcc_lo, 0, v7
	v_not_b32_e32 v7, v8
	s_wait_alu 0xf1ff
	v_xor_b32_e32 v9, s0, v9
	v_cmp_gt_i32_e64 s0, 0, v8
	v_and_b32_e32 v5, exec_lo, v5
	v_not_b32_e32 v8, v47
	v_ashrrev_i32_e32 v7, 31, v7
	s_wait_alu 0xfffd
	v_xor_b32_e32 v6, vcc_lo, v6
	v_cmp_gt_i32_e32 vcc_lo, 0, v47
	v_and_b32_e32 v5, v5, v9
	v_not_b32_e32 v9, v48
	v_ashrrev_i32_e32 v8, 31, v8
	s_wait_alu 0xf1ff
	v_xor_b32_e32 v7, s0, v7
	v_lshlrev_b32_e32 v3, 24, v3
	v_and_b32_e32 v5, v5, v6
	v_cmp_gt_i32_e64 s0, 0, v48
	v_not_b32_e32 v6, v50
	v_ashrrev_i32_e32 v9, 31, v9
	s_wait_alu 0xfffd
	v_xor_b32_e32 v8, vcc_lo, v8
	v_and_b32_e32 v5, v5, v7
	v_cmp_gt_i32_e32 vcc_lo, 0, v50
	v_not_b32_e32 v7, v3
	v_ashrrev_i32_e32 v6, 31, v6
	s_wait_alu 0xf1ff
	v_xor_b32_e32 v9, s0, v9
	v_and_b32_e32 v5, v5, v8
	v_cmp_gt_i32_e64 s0, 0, v3
	v_ashrrev_i32_e32 v3, 31, v7
	s_wait_alu 0xfffd
	v_xor_b32_e32 v6, vcc_lo, v6
	v_add_nc_u32_e32 v52, v2, v4
	v_and_b32_e32 v5, v5, v9
	s_wait_alu 0xf1ff
	v_xor_b32_e32 v3, s0, v3
	ds_load_b32 v47, v52 offset:128
	v_and_b32_e32 v4, v5, v6
	; wave barrier
	s_delay_alu instid0(VALU_DEP_1) | instskip(NEXT) | instid1(VALU_DEP_1)
	v_and_b32_e32 v3, v4, v3
	v_mbcnt_lo_u32_b32 v48, v3, 0
	v_cmp_ne_u32_e64 s0, 0, v3
	s_delay_alu instid0(VALU_DEP_2)
	v_cmp_eq_u32_e32 vcc_lo, 0, v48
	s_and_b32 s1, s0, vcc_lo
	s_wait_alu 0xfffe
	s_and_saveexec_b32 s0, s1
	s_cbranch_execz .LBB208_165
; %bb.164:
	s_wait_dscnt 0x0
	v_bcnt_u32_b32 v3, v3, v47
	ds_store_b32 v52, v3 offset:128
.LBB208_165:
	s_wait_alu 0xfffe
	s_or_b32 exec_lo, exec_lo, s0
	v_lshrrev_b32_e32 v3, s40, v19
	; wave barrier
	s_delay_alu instid0(VALU_DEP_1) | instskip(NEXT) | instid1(VALU_DEP_1)
	v_and_b32_e32 v3, s9, v3
	v_and_b32_e32 v5, 1, v3
	v_lshlrev_b32_e32 v6, 30, v3
	v_lshlrev_b32_e32 v7, 29, v3
	;; [unrolled: 1-line block ×4, first 2 shown]
	v_add_co_u32 v5, s0, v5, -1
	s_wait_alu 0xf1ff
	v_cndmask_b32_e64 v9, 0, 1, s0
	v_not_b32_e32 v54, v6
	v_cmp_gt_i32_e64 s0, 0, v6
	v_not_b32_e32 v6, v7
	v_lshlrev_b32_e32 v51, 26, v3
	v_cmp_ne_u32_e32 vcc_lo, 0, v9
	v_ashrrev_i32_e32 v9, 31, v54
	v_lshlrev_b32_e32 v53, 25, v3
	v_ashrrev_i32_e32 v6, 31, v6
	v_mul_lo_u32 v4, 0x84, v3
	s_wait_alu 0xfffd
	v_xor_b32_e32 v5, vcc_lo, v5
	v_cmp_gt_i32_e32 vcc_lo, 0, v7
	v_not_b32_e32 v7, v8
	s_wait_alu 0xf1ff
	v_xor_b32_e32 v9, s0, v9
	v_cmp_gt_i32_e64 s0, 0, v8
	v_and_b32_e32 v5, exec_lo, v5
	v_not_b32_e32 v8, v50
	v_ashrrev_i32_e32 v7, 31, v7
	s_wait_alu 0xfffd
	v_xor_b32_e32 v6, vcc_lo, v6
	v_cmp_gt_i32_e32 vcc_lo, 0, v50
	v_and_b32_e32 v5, v5, v9
	v_not_b32_e32 v9, v51
	v_ashrrev_i32_e32 v8, 31, v8
	s_wait_alu 0xf1ff
	v_xor_b32_e32 v7, s0, v7
	v_lshlrev_b32_e32 v3, 24, v3
	v_and_b32_e32 v5, v5, v6
	v_cmp_gt_i32_e64 s0, 0, v51
	v_not_b32_e32 v6, v53
	v_ashrrev_i32_e32 v9, 31, v9
	s_wait_alu 0xfffd
	v_xor_b32_e32 v8, vcc_lo, v8
	v_and_b32_e32 v5, v5, v7
	v_cmp_gt_i32_e32 vcc_lo, 0, v53
	v_not_b32_e32 v7, v3
	v_ashrrev_i32_e32 v6, 31, v6
	s_wait_alu 0xf1ff
	v_xor_b32_e32 v9, s0, v9
	v_and_b32_e32 v5, v5, v8
	v_cmp_gt_i32_e64 s0, 0, v3
	v_ashrrev_i32_e32 v3, 31, v7
	s_wait_alu 0xfffd
	v_xor_b32_e32 v6, vcc_lo, v6
	v_add_nc_u32_e32 v55, v2, v4
	v_and_b32_e32 v5, v5, v9
	s_wait_alu 0xf1ff
	v_xor_b32_e32 v3, s0, v3
	ds_load_b32 v50, v55 offset:128
	v_and_b32_e32 v4, v5, v6
	; wave barrier
	s_delay_alu instid0(VALU_DEP_1) | instskip(NEXT) | instid1(VALU_DEP_1)
	v_and_b32_e32 v3, v4, v3
	v_mbcnt_lo_u32_b32 v51, v3, 0
	v_cmp_ne_u32_e64 s0, 0, v3
	s_delay_alu instid0(VALU_DEP_2)
	v_cmp_eq_u32_e32 vcc_lo, 0, v51
	s_and_b32 s1, s0, vcc_lo
	s_wait_alu 0xfffe
	s_and_saveexec_b32 s0, s1
	s_cbranch_execz .LBB208_167
; %bb.166:
	s_wait_dscnt 0x0
	v_bcnt_u32_b32 v3, v3, v50
	ds_store_b32 v55, v3 offset:128
.LBB208_167:
	s_wait_alu 0xfffe
	s_or_b32 exec_lo, exec_lo, s0
	v_lshrrev_b32_e32 v3, s40, v20
	; wave barrier
	s_delay_alu instid0(VALU_DEP_1) | instskip(NEXT) | instid1(VALU_DEP_1)
	v_and_b32_e32 v3, s9, v3
	v_and_b32_e32 v5, 1, v3
	v_lshlrev_b32_e32 v6, 30, v3
	v_lshlrev_b32_e32 v7, 29, v3
	;; [unrolled: 1-line block ×4, first 2 shown]
	v_add_co_u32 v5, s0, v5, -1
	s_wait_alu 0xf1ff
	v_cndmask_b32_e64 v9, 0, 1, s0
	v_not_b32_e32 v57, v6
	v_cmp_gt_i32_e64 s0, 0, v6
	v_not_b32_e32 v6, v7
	v_lshlrev_b32_e32 v54, 26, v3
	v_cmp_ne_u32_e32 vcc_lo, 0, v9
	v_ashrrev_i32_e32 v9, 31, v57
	v_lshlrev_b32_e32 v56, 25, v3
	v_ashrrev_i32_e32 v6, 31, v6
	v_mul_lo_u32 v4, 0x84, v3
	s_wait_alu 0xfffd
	v_xor_b32_e32 v5, vcc_lo, v5
	v_cmp_gt_i32_e32 vcc_lo, 0, v7
	v_not_b32_e32 v7, v8
	s_wait_alu 0xf1ff
	v_xor_b32_e32 v9, s0, v9
	v_cmp_gt_i32_e64 s0, 0, v8
	v_and_b32_e32 v5, exec_lo, v5
	v_not_b32_e32 v8, v53
	v_ashrrev_i32_e32 v7, 31, v7
	s_wait_alu 0xfffd
	v_xor_b32_e32 v6, vcc_lo, v6
	v_cmp_gt_i32_e32 vcc_lo, 0, v53
	v_and_b32_e32 v5, v5, v9
	v_not_b32_e32 v9, v54
	v_ashrrev_i32_e32 v8, 31, v8
	s_wait_alu 0xf1ff
	v_xor_b32_e32 v7, s0, v7
	v_lshlrev_b32_e32 v3, 24, v3
	v_and_b32_e32 v5, v5, v6
	v_cmp_gt_i32_e64 s0, 0, v54
	v_not_b32_e32 v6, v56
	v_ashrrev_i32_e32 v9, 31, v9
	s_wait_alu 0xfffd
	v_xor_b32_e32 v8, vcc_lo, v8
	v_and_b32_e32 v5, v5, v7
	v_cmp_gt_i32_e32 vcc_lo, 0, v56
	v_not_b32_e32 v7, v3
	v_ashrrev_i32_e32 v6, 31, v6
	s_wait_alu 0xf1ff
	v_xor_b32_e32 v9, s0, v9
	v_and_b32_e32 v5, v5, v8
	v_cmp_gt_i32_e64 s0, 0, v3
	v_ashrrev_i32_e32 v3, 31, v7
	s_wait_alu 0xfffd
	v_xor_b32_e32 v6, vcc_lo, v6
	v_add_nc_u32_e32 v59, v2, v4
	v_and_b32_e32 v5, v5, v9
	s_wait_alu 0xf1ff
	v_xor_b32_e32 v3, s0, v3
	ds_load_b32 v53, v59 offset:128
	v_and_b32_e32 v4, v5, v6
	; wave barrier
	s_delay_alu instid0(VALU_DEP_1) | instskip(NEXT) | instid1(VALU_DEP_1)
	v_and_b32_e32 v3, v4, v3
	v_mbcnt_lo_u32_b32 v54, v3, 0
	v_cmp_ne_u32_e64 s0, 0, v3
	s_delay_alu instid0(VALU_DEP_2)
	v_cmp_eq_u32_e32 vcc_lo, 0, v54
	s_and_b32 s1, s0, vcc_lo
	s_wait_alu 0xfffe
	s_and_saveexec_b32 s0, s1
	s_cbranch_execz .LBB208_169
; %bb.168:
	s_wait_dscnt 0x0
	v_bcnt_u32_b32 v3, v3, v53
	ds_store_b32 v59, v3 offset:128
.LBB208_169:
	s_wait_alu 0xfffe
	s_or_b32 exec_lo, exec_lo, s0
	v_lshrrev_b32_e32 v3, s40, v21
	; wave barrier
	s_delay_alu instid0(VALU_DEP_1) | instskip(NEXT) | instid1(VALU_DEP_1)
	v_and_b32_e32 v3, s9, v3
	v_and_b32_e32 v5, 1, v3
	v_lshlrev_b32_e32 v6, 30, v3
	v_lshlrev_b32_e32 v7, 29, v3
	;; [unrolled: 1-line block ×4, first 2 shown]
	v_add_co_u32 v5, s0, v5, -1
	s_wait_alu 0xf1ff
	v_cndmask_b32_e64 v9, 0, 1, s0
	v_not_b32_e32 v60, v6
	v_cmp_gt_i32_e64 s0, 0, v6
	v_not_b32_e32 v6, v7
	v_lshlrev_b32_e32 v57, 26, v3
	v_cmp_ne_u32_e32 vcc_lo, 0, v9
	v_ashrrev_i32_e32 v9, 31, v60
	v_lshlrev_b32_e32 v58, 25, v3
	v_ashrrev_i32_e32 v6, 31, v6
	v_mul_lo_u32 v4, 0x84, v3
	s_wait_alu 0xfffd
	v_xor_b32_e32 v5, vcc_lo, v5
	v_cmp_gt_i32_e32 vcc_lo, 0, v7
	v_not_b32_e32 v7, v8
	s_wait_alu 0xf1ff
	v_xor_b32_e32 v9, s0, v9
	v_cmp_gt_i32_e64 s0, 0, v8
	v_and_b32_e32 v5, exec_lo, v5
	v_not_b32_e32 v8, v56
	v_ashrrev_i32_e32 v7, 31, v7
	s_wait_alu 0xfffd
	v_xor_b32_e32 v6, vcc_lo, v6
	v_cmp_gt_i32_e32 vcc_lo, 0, v56
	v_and_b32_e32 v5, v5, v9
	v_not_b32_e32 v9, v57
	v_ashrrev_i32_e32 v8, 31, v8
	s_wait_alu 0xf1ff
	v_xor_b32_e32 v7, s0, v7
	v_lshlrev_b32_e32 v3, 24, v3
	v_and_b32_e32 v5, v5, v6
	v_cmp_gt_i32_e64 s0, 0, v57
	v_not_b32_e32 v6, v58
	v_ashrrev_i32_e32 v9, 31, v9
	s_wait_alu 0xfffd
	v_xor_b32_e32 v8, vcc_lo, v8
	v_and_b32_e32 v5, v5, v7
	v_cmp_gt_i32_e32 vcc_lo, 0, v58
	v_not_b32_e32 v7, v3
	v_ashrrev_i32_e32 v6, 31, v6
	s_wait_alu 0xf1ff
	v_xor_b32_e32 v9, s0, v9
	v_and_b32_e32 v5, v5, v8
	v_cmp_gt_i32_e64 s0, 0, v3
	v_ashrrev_i32_e32 v3, 31, v7
	s_wait_alu 0xfffd
	v_xor_b32_e32 v6, vcc_lo, v6
	v_add_nc_u32_e32 v62, v2, v4
	v_and_b32_e32 v5, v5, v9
	s_wait_alu 0xf1ff
	v_xor_b32_e32 v3, s0, v3
	ds_load_b32 v56, v62 offset:128
	v_and_b32_e32 v4, v5, v6
	; wave barrier
	s_delay_alu instid0(VALU_DEP_1) | instskip(NEXT) | instid1(VALU_DEP_1)
	v_and_b32_e32 v3, v4, v3
	v_mbcnt_lo_u32_b32 v57, v3, 0
	v_cmp_ne_u32_e64 s0, 0, v3
	s_delay_alu instid0(VALU_DEP_2)
	v_cmp_eq_u32_e32 vcc_lo, 0, v57
	s_and_b32 s1, s0, vcc_lo
	s_wait_alu 0xfffe
	s_and_saveexec_b32 s0, s1
	s_cbranch_execz .LBB208_171
; %bb.170:
	s_wait_dscnt 0x0
	v_bcnt_u32_b32 v3, v3, v56
	ds_store_b32 v62, v3 offset:128
.LBB208_171:
	s_wait_alu 0xfffe
	s_or_b32 exec_lo, exec_lo, s0
	v_lshrrev_b32_e32 v3, s40, v22
	; wave barrier
	s_delay_alu instid0(VALU_DEP_1) | instskip(NEXT) | instid1(VALU_DEP_1)
	v_and_b32_e32 v3, s9, v3
	v_and_b32_e32 v5, 1, v3
	v_lshlrev_b32_e32 v6, 30, v3
	v_lshlrev_b32_e32 v7, 29, v3
	;; [unrolled: 1-line block ×4, first 2 shown]
	v_add_co_u32 v5, s0, v5, -1
	s_wait_alu 0xf1ff
	v_cndmask_b32_e64 v9, 0, 1, s0
	v_not_b32_e32 v63, v6
	v_cmp_gt_i32_e64 s0, 0, v6
	v_not_b32_e32 v6, v7
	v_lshlrev_b32_e32 v60, 26, v3
	v_cmp_ne_u32_e32 vcc_lo, 0, v9
	v_ashrrev_i32_e32 v9, 31, v63
	v_lshlrev_b32_e32 v61, 25, v3
	v_ashrrev_i32_e32 v6, 31, v6
	v_mul_lo_u32 v4, 0x84, v3
	s_wait_alu 0xfffd
	v_xor_b32_e32 v5, vcc_lo, v5
	v_cmp_gt_i32_e32 vcc_lo, 0, v7
	v_not_b32_e32 v7, v8
	s_wait_alu 0xf1ff
	v_xor_b32_e32 v9, s0, v9
	v_cmp_gt_i32_e64 s0, 0, v8
	v_and_b32_e32 v5, exec_lo, v5
	v_not_b32_e32 v8, v58
	v_ashrrev_i32_e32 v7, 31, v7
	s_wait_alu 0xfffd
	v_xor_b32_e32 v6, vcc_lo, v6
	v_cmp_gt_i32_e32 vcc_lo, 0, v58
	v_and_b32_e32 v5, v5, v9
	v_not_b32_e32 v9, v60
	v_ashrrev_i32_e32 v8, 31, v8
	s_wait_alu 0xf1ff
	v_xor_b32_e32 v7, s0, v7
	v_lshlrev_b32_e32 v3, 24, v3
	v_and_b32_e32 v5, v5, v6
	v_cmp_gt_i32_e64 s0, 0, v60
	v_not_b32_e32 v6, v61
	v_ashrrev_i32_e32 v9, 31, v9
	s_wait_alu 0xfffd
	v_xor_b32_e32 v8, vcc_lo, v8
	v_and_b32_e32 v5, v5, v7
	v_cmp_gt_i32_e32 vcc_lo, 0, v61
	v_not_b32_e32 v7, v3
	v_ashrrev_i32_e32 v6, 31, v6
	s_wait_alu 0xf1ff
	v_xor_b32_e32 v9, s0, v9
	v_and_b32_e32 v5, v5, v8
	v_cmp_gt_i32_e64 s0, 0, v3
	v_ashrrev_i32_e32 v3, 31, v7
	s_wait_alu 0xfffd
	v_xor_b32_e32 v6, vcc_lo, v6
	v_add_nc_u32_e32 v65, v2, v4
	v_and_b32_e32 v5, v5, v9
	s_wait_alu 0xf1ff
	v_xor_b32_e32 v3, s0, v3
	ds_load_b32 v60, v65 offset:128
	v_and_b32_e32 v4, v5, v6
	; wave barrier
	s_delay_alu instid0(VALU_DEP_1) | instskip(NEXT) | instid1(VALU_DEP_1)
	v_and_b32_e32 v3, v4, v3
	v_mbcnt_lo_u32_b32 v61, v3, 0
	v_cmp_ne_u32_e64 s0, 0, v3
	s_delay_alu instid0(VALU_DEP_2)
	v_cmp_eq_u32_e32 vcc_lo, 0, v61
	s_and_b32 s1, s0, vcc_lo
	s_wait_alu 0xfffe
	s_and_saveexec_b32 s0, s1
	s_cbranch_execz .LBB208_173
; %bb.172:
	s_wait_dscnt 0x0
	v_bcnt_u32_b32 v3, v3, v60
	ds_store_b32 v65, v3 offset:128
.LBB208_173:
	s_wait_alu 0xfffe
	s_or_b32 exec_lo, exec_lo, s0
	v_lshrrev_b32_e32 v3, s40, v23
	; wave barrier
	s_delay_alu instid0(VALU_DEP_1) | instskip(NEXT) | instid1(VALU_DEP_1)
	v_and_b32_e32 v3, s9, v3
	v_and_b32_e32 v5, 1, v3
	v_lshlrev_b32_e32 v6, 30, v3
	v_lshlrev_b32_e32 v7, 29, v3
	;; [unrolled: 1-line block ×4, first 2 shown]
	v_add_co_u32 v5, s0, v5, -1
	s_wait_alu 0xf1ff
	v_cndmask_b32_e64 v9, 0, 1, s0
	v_not_b32_e32 v66, v6
	v_cmp_gt_i32_e64 s0, 0, v6
	v_not_b32_e32 v6, v7
	v_lshlrev_b32_e32 v63, 26, v3
	v_cmp_ne_u32_e32 vcc_lo, 0, v9
	v_ashrrev_i32_e32 v9, 31, v66
	v_lshlrev_b32_e32 v64, 25, v3
	v_ashrrev_i32_e32 v6, 31, v6
	v_mul_lo_u32 v4, 0x84, v3
	s_wait_alu 0xfffd
	v_xor_b32_e32 v5, vcc_lo, v5
	v_cmp_gt_i32_e32 vcc_lo, 0, v7
	v_not_b32_e32 v7, v8
	s_wait_alu 0xf1ff
	v_xor_b32_e32 v9, s0, v9
	v_cmp_gt_i32_e64 s0, 0, v8
	v_and_b32_e32 v5, exec_lo, v5
	v_not_b32_e32 v8, v58
	v_ashrrev_i32_e32 v7, 31, v7
	s_wait_alu 0xfffd
	v_xor_b32_e32 v6, vcc_lo, v6
	v_cmp_gt_i32_e32 vcc_lo, 0, v58
	v_and_b32_e32 v5, v5, v9
	v_not_b32_e32 v9, v63
	v_ashrrev_i32_e32 v8, 31, v8
	s_wait_alu 0xf1ff
	v_xor_b32_e32 v7, s0, v7
	v_lshlrev_b32_e32 v3, 24, v3
	v_and_b32_e32 v5, v5, v6
	v_cmp_gt_i32_e64 s0, 0, v63
	v_not_b32_e32 v6, v64
	v_ashrrev_i32_e32 v9, 31, v9
	s_wait_alu 0xfffd
	v_xor_b32_e32 v8, vcc_lo, v8
	v_and_b32_e32 v5, v5, v7
	v_cmp_gt_i32_e32 vcc_lo, 0, v64
	v_not_b32_e32 v7, v3
	v_ashrrev_i32_e32 v6, 31, v6
	s_wait_alu 0xf1ff
	v_xor_b32_e32 v9, s0, v9
	v_and_b32_e32 v5, v5, v8
	v_cmp_gt_i32_e64 s0, 0, v3
	v_ashrrev_i32_e32 v3, 31, v7
	s_wait_alu 0xfffd
	v_xor_b32_e32 v6, vcc_lo, v6
	v_add_nc_u32_e32 v68, v2, v4
	v_and_b32_e32 v5, v5, v9
	s_wait_alu 0xf1ff
	v_xor_b32_e32 v3, s0, v3
	ds_load_b32 v63, v68 offset:128
	v_and_b32_e32 v4, v5, v6
	; wave barrier
	s_delay_alu instid0(VALU_DEP_1) | instskip(NEXT) | instid1(VALU_DEP_1)
	v_and_b32_e32 v3, v4, v3
	v_mbcnt_lo_u32_b32 v64, v3, 0
	v_cmp_ne_u32_e64 s0, 0, v3
	s_delay_alu instid0(VALU_DEP_2)
	v_cmp_eq_u32_e32 vcc_lo, 0, v64
	s_and_b32 s1, s0, vcc_lo
	s_wait_alu 0xfffe
	s_and_saveexec_b32 s0, s1
	s_cbranch_execz .LBB208_175
; %bb.174:
	s_wait_dscnt 0x0
	v_bcnt_u32_b32 v3, v3, v63
	ds_store_b32 v68, v3 offset:128
.LBB208_175:
	s_wait_alu 0xfffe
	s_or_b32 exec_lo, exec_lo, s0
	v_lshrrev_b32_e32 v3, s40, v24
	; wave barrier
	s_delay_alu instid0(VALU_DEP_1) | instskip(NEXT) | instid1(VALU_DEP_1)
	v_and_b32_e32 v3, s9, v3
	v_and_b32_e32 v5, 1, v3
	v_lshlrev_b32_e32 v6, 30, v3
	v_lshlrev_b32_e32 v7, 29, v3
	;; [unrolled: 1-line block ×4, first 2 shown]
	v_add_co_u32 v5, s0, v5, -1
	s_wait_alu 0xf1ff
	v_cndmask_b32_e64 v9, 0, 1, s0
	v_not_b32_e32 v69, v6
	v_cmp_gt_i32_e64 s0, 0, v6
	v_not_b32_e32 v6, v7
	v_lshlrev_b32_e32 v66, 26, v3
	v_cmp_ne_u32_e32 vcc_lo, 0, v9
	v_ashrrev_i32_e32 v9, 31, v69
	v_lshlrev_b32_e32 v67, 25, v3
	v_ashrrev_i32_e32 v6, 31, v6
	v_mul_lo_u32 v4, 0x84, v3
	s_wait_alu 0xfffd
	v_xor_b32_e32 v5, vcc_lo, v5
	v_cmp_gt_i32_e32 vcc_lo, 0, v7
	v_not_b32_e32 v7, v8
	s_wait_alu 0xf1ff
	v_xor_b32_e32 v9, s0, v9
	v_cmp_gt_i32_e64 s0, 0, v8
	v_and_b32_e32 v5, exec_lo, v5
	v_not_b32_e32 v8, v58
	v_ashrrev_i32_e32 v7, 31, v7
	s_wait_alu 0xfffd
	v_xor_b32_e32 v6, vcc_lo, v6
	v_cmp_gt_i32_e32 vcc_lo, 0, v58
	v_and_b32_e32 v5, v5, v9
	v_not_b32_e32 v9, v66
	v_ashrrev_i32_e32 v8, 31, v8
	s_wait_alu 0xf1ff
	v_xor_b32_e32 v7, s0, v7
	v_lshlrev_b32_e32 v3, 24, v3
	v_and_b32_e32 v5, v5, v6
	v_cmp_gt_i32_e64 s0, 0, v66
	v_not_b32_e32 v6, v67
	v_ashrrev_i32_e32 v9, 31, v9
	s_wait_alu 0xfffd
	v_xor_b32_e32 v8, vcc_lo, v8
	v_and_b32_e32 v5, v5, v7
	v_cmp_gt_i32_e32 vcc_lo, 0, v67
	v_not_b32_e32 v7, v3
	v_ashrrev_i32_e32 v6, 31, v6
	s_wait_alu 0xf1ff
	v_xor_b32_e32 v9, s0, v9
	v_and_b32_e32 v5, v5, v8
	v_cmp_gt_i32_e64 s0, 0, v3
	v_ashrrev_i32_e32 v3, 31, v7
	s_wait_alu 0xfffd
	v_xor_b32_e32 v6, vcc_lo, v6
	v_add_nc_u32_e32 v71, v2, v4
	v_and_b32_e32 v5, v5, v9
	s_wait_alu 0xf1ff
	v_xor_b32_e32 v3, s0, v3
	ds_load_b32 v66, v71 offset:128
	v_and_b32_e32 v4, v5, v6
	; wave barrier
	s_delay_alu instid0(VALU_DEP_1) | instskip(NEXT) | instid1(VALU_DEP_1)
	v_and_b32_e32 v3, v4, v3
	v_mbcnt_lo_u32_b32 v67, v3, 0
	v_cmp_ne_u32_e64 s0, 0, v3
	s_delay_alu instid0(VALU_DEP_2)
	v_cmp_eq_u32_e32 vcc_lo, 0, v67
	s_and_b32 s1, s0, vcc_lo
	s_wait_alu 0xfffe
	s_and_saveexec_b32 s0, s1
	s_cbranch_execz .LBB208_177
; %bb.176:
	s_wait_dscnt 0x0
	v_bcnt_u32_b32 v3, v3, v66
	ds_store_b32 v71, v3 offset:128
.LBB208_177:
	s_wait_alu 0xfffe
	s_or_b32 exec_lo, exec_lo, s0
	v_lshrrev_b32_e32 v3, s40, v25
	; wave barrier
	s_delay_alu instid0(VALU_DEP_1) | instskip(NEXT) | instid1(VALU_DEP_1)
	v_and_b32_e32 v3, s9, v3
	v_and_b32_e32 v5, 1, v3
	v_lshlrev_b32_e32 v6, 30, v3
	v_lshlrev_b32_e32 v7, 29, v3
	;; [unrolled: 1-line block ×4, first 2 shown]
	v_add_co_u32 v5, s0, v5, -1
	s_wait_alu 0xf1ff
	v_cndmask_b32_e64 v9, 0, 1, s0
	v_not_b32_e32 v72, v6
	v_cmp_gt_i32_e64 s0, 0, v6
	v_not_b32_e32 v6, v7
	v_lshlrev_b32_e32 v69, 26, v3
	v_cmp_ne_u32_e32 vcc_lo, 0, v9
	v_ashrrev_i32_e32 v9, 31, v72
	v_lshlrev_b32_e32 v70, 25, v3
	v_ashrrev_i32_e32 v6, 31, v6
	v_mul_lo_u32 v4, 0x84, v3
	s_wait_alu 0xfffd
	v_xor_b32_e32 v5, vcc_lo, v5
	v_cmp_gt_i32_e32 vcc_lo, 0, v7
	v_not_b32_e32 v7, v8
	s_wait_alu 0xf1ff
	v_xor_b32_e32 v9, s0, v9
	v_cmp_gt_i32_e64 s0, 0, v8
	v_and_b32_e32 v5, exec_lo, v5
	v_not_b32_e32 v8, v58
	v_ashrrev_i32_e32 v7, 31, v7
	s_wait_alu 0xfffd
	v_xor_b32_e32 v6, vcc_lo, v6
	v_cmp_gt_i32_e32 vcc_lo, 0, v58
	v_and_b32_e32 v5, v5, v9
	v_not_b32_e32 v9, v69
	v_ashrrev_i32_e32 v8, 31, v8
	s_wait_alu 0xf1ff
	v_xor_b32_e32 v7, s0, v7
	v_lshlrev_b32_e32 v3, 24, v3
	v_and_b32_e32 v5, v5, v6
	v_cmp_gt_i32_e64 s0, 0, v69
	v_not_b32_e32 v6, v70
	v_ashrrev_i32_e32 v9, 31, v9
	s_wait_alu 0xfffd
	v_xor_b32_e32 v8, vcc_lo, v8
	v_and_b32_e32 v5, v5, v7
	v_cmp_gt_i32_e32 vcc_lo, 0, v70
	v_not_b32_e32 v7, v3
	v_ashrrev_i32_e32 v6, 31, v6
	s_wait_alu 0xf1ff
	v_xor_b32_e32 v9, s0, v9
	v_and_b32_e32 v5, v5, v8
	v_cmp_gt_i32_e64 s0, 0, v3
	v_ashrrev_i32_e32 v3, 31, v7
	s_wait_alu 0xfffd
	v_xor_b32_e32 v6, vcc_lo, v6
	v_add_nc_u32_e32 v74, v2, v4
	v_and_b32_e32 v5, v5, v9
	s_wait_alu 0xf1ff
	v_xor_b32_e32 v3, s0, v3
	ds_load_b32 v69, v74 offset:128
	v_and_b32_e32 v4, v5, v6
	; wave barrier
	s_delay_alu instid0(VALU_DEP_1) | instskip(NEXT) | instid1(VALU_DEP_1)
	v_and_b32_e32 v3, v4, v3
	v_mbcnt_lo_u32_b32 v70, v3, 0
	v_cmp_ne_u32_e64 s0, 0, v3
	s_delay_alu instid0(VALU_DEP_2)
	v_cmp_eq_u32_e32 vcc_lo, 0, v70
	s_and_b32 s1, s0, vcc_lo
	s_wait_alu 0xfffe
	s_and_saveexec_b32 s0, s1
	s_cbranch_execz .LBB208_179
; %bb.178:
	s_wait_dscnt 0x0
	v_bcnt_u32_b32 v3, v3, v69
	ds_store_b32 v74, v3 offset:128
.LBB208_179:
	s_wait_alu 0xfffe
	s_or_b32 exec_lo, exec_lo, s0
	v_lshrrev_b32_e32 v3, s40, v26
	; wave barrier
	s_delay_alu instid0(VALU_DEP_1) | instskip(NEXT) | instid1(VALU_DEP_1)
	v_and_b32_e32 v3, s9, v3
	v_and_b32_e32 v5, 1, v3
	v_lshlrev_b32_e32 v6, 30, v3
	v_lshlrev_b32_e32 v7, 29, v3
	;; [unrolled: 1-line block ×4, first 2 shown]
	v_add_co_u32 v5, s0, v5, -1
	s_wait_alu 0xf1ff
	v_cndmask_b32_e64 v9, 0, 1, s0
	v_not_b32_e32 v75, v6
	v_cmp_gt_i32_e64 s0, 0, v6
	v_not_b32_e32 v6, v7
	v_lshlrev_b32_e32 v72, 26, v3
	v_cmp_ne_u32_e32 vcc_lo, 0, v9
	v_ashrrev_i32_e32 v9, 31, v75
	v_lshlrev_b32_e32 v73, 25, v3
	v_ashrrev_i32_e32 v6, 31, v6
	v_mul_lo_u32 v4, 0x84, v3
	s_wait_alu 0xfffd
	v_xor_b32_e32 v5, vcc_lo, v5
	v_cmp_gt_i32_e32 vcc_lo, 0, v7
	v_not_b32_e32 v7, v8
	s_wait_alu 0xf1ff
	v_xor_b32_e32 v9, s0, v9
	v_cmp_gt_i32_e64 s0, 0, v8
	v_and_b32_e32 v5, exec_lo, v5
	v_not_b32_e32 v8, v58
	v_ashrrev_i32_e32 v7, 31, v7
	s_wait_alu 0xfffd
	v_xor_b32_e32 v6, vcc_lo, v6
	v_cmp_gt_i32_e32 vcc_lo, 0, v58
	v_and_b32_e32 v5, v5, v9
	v_not_b32_e32 v9, v72
	v_ashrrev_i32_e32 v8, 31, v8
	s_wait_alu 0xf1ff
	v_xor_b32_e32 v7, s0, v7
	v_lshlrev_b32_e32 v3, 24, v3
	v_and_b32_e32 v5, v5, v6
	v_cmp_gt_i32_e64 s0, 0, v72
	v_not_b32_e32 v6, v73
	v_ashrrev_i32_e32 v9, 31, v9
	s_wait_alu 0xfffd
	v_xor_b32_e32 v8, vcc_lo, v8
	v_and_b32_e32 v5, v5, v7
	v_cmp_gt_i32_e32 vcc_lo, 0, v73
	v_not_b32_e32 v7, v3
	v_ashrrev_i32_e32 v6, 31, v6
	s_wait_alu 0xf1ff
	v_xor_b32_e32 v9, s0, v9
	v_and_b32_e32 v5, v5, v8
	v_cmp_gt_i32_e64 s0, 0, v3
	v_ashrrev_i32_e32 v3, 31, v7
	s_wait_alu 0xfffd
	v_xor_b32_e32 v6, vcc_lo, v6
	v_add_nc_u32_e32 v77, v2, v4
	v_and_b32_e32 v5, v5, v9
	s_wait_alu 0xf1ff
	v_xor_b32_e32 v2, s0, v3
	ds_load_b32 v72, v77 offset:128
	v_and_b32_e32 v3, v5, v6
	; wave barrier
	s_delay_alu instid0(VALU_DEP_1) | instskip(NEXT) | instid1(VALU_DEP_1)
	v_and_b32_e32 v2, v3, v2
	v_mbcnt_lo_u32_b32 v73, v2, 0
	v_cmp_ne_u32_e64 s0, 0, v2
	s_delay_alu instid0(VALU_DEP_2)
	v_cmp_eq_u32_e32 vcc_lo, 0, v73
	s_and_b32 s1, s0, vcc_lo
	s_wait_alu 0xfffe
	s_and_saveexec_b32 s0, s1
	s_cbranch_execz .LBB208_181
; %bb.180:
	s_wait_dscnt 0x0
	v_bcnt_u32_b32 v2, v2, v72
	ds_store_b32 v77, v2 offset:128
.LBB208_181:
	s_wait_alu 0xfffe
	s_or_b32 exec_lo, exec_lo, s0
	; wave barrier
	s_wait_loadcnt_dscnt 0x0
	s_barrier_signal -1
	s_barrier_wait -1
	global_inv scope:SCOPE_SE
	ds_load_2addr_b32 v[8:9], v29 offset0:32 offset1:33
	ds_load_2addr_b32 v[6:7], v29 offset0:34 offset1:35
	;; [unrolled: 1-line block ×4, first 2 shown]
	ds_load_b32 v58, v29 offset:160
	v_and_b32_e32 v78, 16, v36
	v_and_b32_e32 v79, 31, v1
	s_mov_b32 s5, exec_lo
	s_delay_alu instid0(VALU_DEP_2) | instskip(SKIP_3) | instid1(VALU_DEP_1)
	v_cmp_eq_u32_e64 s3, 0, v78
	s_wait_dscnt 0x3
	v_add3_u32 v75, v9, v8, v6
	s_wait_dscnt 0x2
	v_add3_u32 v75, v75, v7, v4
	s_wait_dscnt 0x1
	s_delay_alu instid0(VALU_DEP_1) | instskip(SKIP_1) | instid1(VALU_DEP_1)
	v_add3_u32 v75, v75, v5, v2
	s_wait_dscnt 0x0
	v_add3_u32 v58, v75, v3, v58
	v_and_b32_e32 v75, 15, v36
	s_delay_alu instid0(VALU_DEP_2) | instskip(NEXT) | instid1(VALU_DEP_2)
	v_mov_b32_dpp v76, v58 row_shr:1 row_mask:0xf bank_mask:0xf
	v_cmp_eq_u32_e32 vcc_lo, 0, v75
	v_cmp_lt_u32_e64 s0, 1, v75
	v_cmp_lt_u32_e64 s1, 3, v75
	;; [unrolled: 1-line block ×3, first 2 shown]
	s_wait_alu 0xfffd
	v_cndmask_b32_e64 v76, v76, 0, vcc_lo
	s_delay_alu instid0(VALU_DEP_1) | instskip(NEXT) | instid1(VALU_DEP_1)
	v_add_nc_u32_e32 v58, v76, v58
	v_mov_b32_dpp v76, v58 row_shr:2 row_mask:0xf bank_mask:0xf
	s_wait_alu 0xf1ff
	s_delay_alu instid0(VALU_DEP_1) | instskip(NEXT) | instid1(VALU_DEP_1)
	v_cndmask_b32_e64 v76, 0, v76, s0
	v_add_nc_u32_e32 v58, v58, v76
	s_delay_alu instid0(VALU_DEP_1) | instskip(NEXT) | instid1(VALU_DEP_1)
	v_mov_b32_dpp v76, v58 row_shr:4 row_mask:0xf bank_mask:0xf
	v_cndmask_b32_e64 v76, 0, v76, s1
	s_delay_alu instid0(VALU_DEP_1) | instskip(NEXT) | instid1(VALU_DEP_1)
	v_add_nc_u32_e32 v58, v58, v76
	v_mov_b32_dpp v76, v58 row_shr:8 row_mask:0xf bank_mask:0xf
	s_delay_alu instid0(VALU_DEP_1) | instskip(SKIP_1) | instid1(VALU_DEP_2)
	v_cndmask_b32_e64 v75, 0, v76, s2
	v_bfe_i32 v76, v36, 4, 1
	v_add_nc_u32_e32 v58, v58, v75
	ds_swizzle_b32 v75, v58 offset:swizzle(BROADCAST,32,15)
	s_wait_dscnt 0x0
	v_and_b32_e32 v75, v76, v75
	v_lshrrev_b32_e32 v76, 5, v1
	s_delay_alu instid0(VALU_DEP_2)
	v_add_nc_u32_e32 v75, v58, v75
	v_cmpx_eq_u32_e32 31, v79
; %bb.182:
	s_delay_alu instid0(VALU_DEP_3)
	v_lshlrev_b32_e32 v58, 2, v76
	ds_store_b32 v58, v75
; %bb.183:
	s_or_b32 exec_lo, exec_lo, s5
	v_cmp_lt_u32_e64 s4, 31, v1
	v_lshlrev_b32_e32 v58, 2, v1
	s_mov_b32 s10, exec_lo
	s_wait_loadcnt_dscnt 0x0
	s_barrier_signal -1
	s_barrier_wait -1
	global_inv scope:SCOPE_SE
	v_cmpx_gt_u32_e32 32, v1
	s_cbranch_execz .LBB208_185
; %bb.184:
	ds_load_b32 v78, v58
	s_wait_dscnt 0x0
	v_mov_b32_dpp v79, v78 row_shr:1 row_mask:0xf bank_mask:0xf
	s_delay_alu instid0(VALU_DEP_1) | instskip(NEXT) | instid1(VALU_DEP_1)
	v_cndmask_b32_e64 v79, v79, 0, vcc_lo
	v_add_nc_u32_e32 v78, v79, v78
	s_delay_alu instid0(VALU_DEP_1) | instskip(NEXT) | instid1(VALU_DEP_1)
	v_mov_b32_dpp v79, v78 row_shr:2 row_mask:0xf bank_mask:0xf
	v_cndmask_b32_e64 v79, 0, v79, s0
	s_delay_alu instid0(VALU_DEP_1) | instskip(NEXT) | instid1(VALU_DEP_1)
	v_add_nc_u32_e32 v78, v78, v79
	v_mov_b32_dpp v79, v78 row_shr:4 row_mask:0xf bank_mask:0xf
	s_delay_alu instid0(VALU_DEP_1) | instskip(NEXT) | instid1(VALU_DEP_1)
	v_cndmask_b32_e64 v79, 0, v79, s1
	v_add_nc_u32_e32 v78, v78, v79
	s_delay_alu instid0(VALU_DEP_1) | instskip(NEXT) | instid1(VALU_DEP_1)
	v_mov_b32_dpp v79, v78 row_shr:8 row_mask:0xf bank_mask:0xf
	v_cndmask_b32_e64 v79, 0, v79, s2
	s_delay_alu instid0(VALU_DEP_1) | instskip(SKIP_3) | instid1(VALU_DEP_1)
	v_add_nc_u32_e32 v78, v78, v79
	ds_swizzle_b32 v79, v78 offset:swizzle(BROADCAST,32,15)
	s_wait_dscnt 0x0
	v_cndmask_b32_e64 v79, v79, 0, s3
	v_add_nc_u32_e32 v78, v78, v79
	ds_store_b32 v58, v78
.LBB208_185:
	s_or_b32 exec_lo, exec_lo, s10
	v_mov_b32_e32 v78, 0
	s_wait_loadcnt_dscnt 0x0
	s_barrier_signal -1
	s_barrier_wait -1
	global_inv scope:SCOPE_SE
	s_and_saveexec_b32 s0, s4
; %bb.186:
	v_lshl_add_u32 v76, v76, 2, -4
	ds_load_b32 v78, v76
; %bb.187:
	s_wait_alu 0xfffe
	s_or_b32 exec_lo, exec_lo, s0
	v_sub_co_u32 v76, vcc_lo, v36, 1
	s_wait_dscnt 0x0
	v_add_nc_u32_e32 v75, v78, v75
	s_delay_alu instid0(VALU_DEP_2) | instskip(SKIP_1) | instid1(VALU_DEP_1)
	v_cmp_gt_i32_e64 s0, 0, v76
	s_wait_alu 0xf1ff
	v_cndmask_b32_e64 v76, v76, v36, s0
	v_cmp_lt_u32_e64 s0, 0xff, v1
	s_delay_alu instid0(VALU_DEP_2)
	v_lshlrev_b32_e32 v76, 2, v76
	ds_bpermute_b32 v75, v76, v75
	s_wait_dscnt 0x0
	s_wait_alu 0xfffd
	v_cndmask_b32_e32 v75, v75, v78, vcc_lo
	v_cmp_ne_u32_e32 vcc_lo, 0, v1
	s_wait_alu 0xfffd
	s_delay_alu instid0(VALU_DEP_2) | instskip(SKIP_1) | instid1(VALU_DEP_2)
	v_cndmask_b32_e32 v75, 0, v75, vcc_lo
	v_cmp_gt_u32_e32 vcc_lo, 0x100, v1
	v_add_nc_u32_e32 v8, v75, v8
	s_delay_alu instid0(VALU_DEP_1) | instskip(NEXT) | instid1(VALU_DEP_1)
	v_add_nc_u32_e32 v9, v8, v9
	v_add_nc_u32_e32 v6, v9, v6
	s_delay_alu instid0(VALU_DEP_1) | instskip(NEXT) | instid1(VALU_DEP_1)
	v_add_nc_u32_e32 v7, v6, v7
	v_add_nc_u32_e32 v4, v7, v4
	s_delay_alu instid0(VALU_DEP_1) | instskip(NEXT) | instid1(VALU_DEP_1)
	v_add_nc_u32_e32 v5, v4, v5
	v_add_nc_u32_e32 v2, v5, v2
	s_delay_alu instid0(VALU_DEP_1)
	v_add_nc_u32_e32 v3, v2, v3
	ds_store_2addr_b32 v29, v75, v8 offset0:32 offset1:33
	ds_store_2addr_b32 v29, v9, v6 offset0:34 offset1:35
	;; [unrolled: 1-line block ×4, first 2 shown]
	ds_store_b32 v29, v3 offset:160
	s_wait_loadcnt_dscnt 0x0
	s_barrier_signal -1
	s_barrier_wait -1
	global_inv scope:SCOPE_SE
	ds_load_b32 v8, v33 offset:128
	ds_load_b32 v9, v37 offset:128
	;; [unrolled: 1-line block ×16, first 2 shown]
                                        ; implicit-def: $vgpr37
                                        ; implicit-def: $vgpr40
	s_and_saveexec_b32 s2, vcc_lo
	s_cbranch_execz .LBB208_191
; %bb.188:
	v_mul_u32_u24_e32 v2, 0x84, v1
	v_add_nc_u32_e32 v3, 1, v1
	s_mov_b32 s3, exec_lo
	ds_load_b32 v37, v2 offset:128
	v_mov_b32_e32 v2, 0x4000
	v_cmpx_ne_u32_e32 0x100, v3
; %bb.189:
	v_mul_u32_u24_e32 v2, 0x84, v3
	ds_load_b32 v2, v2 offset:128
; %bb.190:
	s_wait_alu 0xfffe
	s_or_b32 exec_lo, exec_lo, s3
	s_wait_dscnt 0x0
	v_sub_nc_u32_e32 v40, v2, v37
.LBB208_191:
	s_wait_alu 0xfffe
	s_or_b32 exec_lo, exec_lo, s2
	v_mov_b32_e32 v3, 0
	s_wait_loadcnt_dscnt 0x0
	s_barrier_signal -1
	s_barrier_wait -1
	global_inv scope:SCOPE_SE
	s_and_saveexec_b32 s1, vcc_lo
	s_cbranch_execz .LBB208_201
; %bb.192:
	v_lshl_add_u32 v2, ttmp9, 8, v1
	v_mov_b32_e32 v65, 0
	s_mov_b32 s2, ttmp9
	s_mov_b32 s3, 0
                                        ; implicit-def: $sgpr4
	s_delay_alu instid0(VALU_DEP_2) | instskip(SKIP_1) | instid1(VALU_DEP_2)
	v_lshlrev_b64_e32 v[4:5], 2, v[2:3]
	v_or_b32_e32 v2, 2.0, v40
	v_add_co_u32 v4, vcc_lo, s34, v4
	s_wait_alu 0xfffd
	s_delay_alu instid0(VALU_DEP_3)
	v_add_co_ci_u32_e64 v5, null, s35, v5, vcc_lo
	global_store_b32 v[4:5], v2, off scope:SCOPE_DEV
	s_branch .LBB208_195
.LBB208_193:                            ;   in Loop: Header=BB208_195 Depth=1
	s_or_b32 exec_lo, exec_lo, s5
.LBB208_194:                            ;   in Loop: Header=BB208_195 Depth=1
	s_delay_alu instid0(SALU_CYCLE_1) | instskip(SKIP_2) | instid1(VALU_DEP_2)
	s_or_b32 exec_lo, exec_lo, s4
	v_and_b32_e32 v6, 0x3fffffff, v2
	v_cmp_gt_i32_e64 s4, -2.0, v2
	v_add_nc_u32_e32 v65, v6, v65
	s_and_b32 s5, exec_lo, s4
	s_delay_alu instid0(SALU_CYCLE_1)
	s_or_b32 s3, s5, s3
	s_wait_alu 0xfffe
	s_and_not1_b32 exec_lo, exec_lo, s3
	s_cbranch_execz .LBB208_200
.LBB208_195:                            ; =>This Loop Header: Depth=1
                                        ;     Child Loop BB208_198 Depth 2
	s_or_b32 s4, s4, exec_lo
	s_wait_alu 0xfffe
	s_cmp_eq_u32 s2, 0
	s_cbranch_scc1 .LBB208_199
; %bb.196:                              ;   in Loop: Header=BB208_195 Depth=1
	s_add_co_i32 s2, s2, -1
	s_mov_b32 s4, exec_lo
	s_wait_alu 0xfffe
	v_lshl_or_b32 v2, s2, 8, v1
	s_delay_alu instid0(VALU_DEP_1) | instskip(NEXT) | instid1(VALU_DEP_1)
	v_lshlrev_b64_e32 v[6:7], 2, v[2:3]
	v_add_co_u32 v6, vcc_lo, s34, v6
	s_wait_alu 0xfffd
	s_delay_alu instid0(VALU_DEP_2)
	v_add_co_ci_u32_e64 v7, null, s35, v7, vcc_lo
	global_load_b32 v2, v[6:7], off scope:SCOPE_DEV
	s_wait_loadcnt 0x0
	v_cmpx_gt_u32_e32 2.0, v2
	s_cbranch_execz .LBB208_194
; %bb.197:                              ;   in Loop: Header=BB208_195 Depth=1
	s_mov_b32 s5, 0
.LBB208_198:                            ;   Parent Loop BB208_195 Depth=1
                                        ; =>  This Inner Loop Header: Depth=2
	global_load_b32 v2, v[6:7], off scope:SCOPE_DEV
	s_wait_loadcnt 0x0
	v_cmp_lt_u32_e32 vcc_lo, 0x3fffffff, v2
	s_or_b32 s5, vcc_lo, s5
	s_delay_alu instid0(SALU_CYCLE_1)
	s_and_not1_b32 exec_lo, exec_lo, s5
	s_cbranch_execnz .LBB208_198
	s_branch .LBB208_193
.LBB208_199:                            ;   in Loop: Header=BB208_195 Depth=1
                                        ; implicit-def: $sgpr2
	s_and_b32 s5, exec_lo, s4
	s_delay_alu instid0(SALU_CYCLE_1)
	s_or_b32 s3, s5, s3
	s_wait_alu 0xfffe
	s_and_not1_b32 exec_lo, exec_lo, s3
	s_cbranch_execnz .LBB208_195
.LBB208_200:
	s_or_b32 exec_lo, exec_lo, s3
	v_add_nc_u32_e32 v2, v65, v40
	v_sub_nc_u32_e32 v3, v65, v37
	s_delay_alu instid0(VALU_DEP_2)
	v_or_b32_e32 v2, 0x80000000, v2
	global_store_b32 v[4:5], v2, off scope:SCOPE_DEV
	global_load_b32 v2, v58, s[36:37]
	s_wait_loadcnt 0x0
	v_add_nc_u32_e32 v2, v3, v2
	ds_store_b32 v58, v2
.LBB208_201:
	s_wait_alu 0xfffe
	s_or_b32 exec_lo, exec_lo, s1
	v_dual_mov_b32 v3, 0 :: v_dual_add_nc_u32 v0, v43, v0
	v_or_b32_e32 v4, 0x1c00, v1
	v_add3_u32 v43, v73, v62, v72
	v_add3_u32 v46, v70, v46, v69
	;; [unrolled: 1-line block ×15, first 2 shown]
	s_mov_b32 s2, 32
	s_mov_b32 s3, 0
	s_mov_b32 s5, -1
	s_mov_b32 s4, 0
.LBB208_202:                            ; =>This Inner Loop Header: Depth=1
	s_delay_alu instid0(SALU_CYCLE_1)
	v_add_nc_u32_e32 v2, s4, v0
	v_add_nc_u32_e32 v5, s4, v45
	;; [unrolled: 1-line block ×16, first 2 shown]
	v_min_u32_e32 v2, 0x2000, v2
	v_min_u32_e32 v5, 0x2000, v5
	v_min_u32_e32 v6, 0x2000, v6
	v_min_u32_e32 v7, 0x2000, v7
	v_min_u32_e32 v8, 0x2000, v8
	v_min_u32_e32 v31, 0x2000, v31
	v_min_u32_e32 v32, 0x2000, v32
	v_min_u32_e32 v33, 0x2000, v33
	v_min_u32_e32 v34, 0x2000, v34
	v_min_u32_e32 v9, 0x2000, v9
	v_min_u32_e32 v27, 0x2000, v27
	v_min_u32_e32 v28, 0x2000, v28
	v_min_u32_e32 v29, 0x2000, v29
	v_min_u32_e32 v30, 0x2000, v30
	v_min_u32_e32 v35, 0x2000, v35
	v_min_u32_e32 v48, 0x2000, v48
	v_lshlrev_b32_e32 v2, 2, v2
	v_lshlrev_b32_e32 v5, 2, v5
	;; [unrolled: 1-line block ×16, first 2 shown]
	ds_store_b32 v2, v11 offset:1024
	ds_store_b32 v5, v12 offset:1024
	;; [unrolled: 1-line block ×16, first 2 shown]
	s_wait_storecnt 0x0
	s_wait_loadcnt_dscnt 0x0
	s_barrier_signal -1
	s_barrier_wait -1
	global_inv scope:SCOPE_SE
	ds_load_2addr_stride64_b32 v[31:32], v58 offset0:4 offset1:20
	ds_load_2addr_stride64_b32 v[33:34], v58 offset0:36 offset1:52
	;; [unrolled: 1-line block ×4, first 2 shown]
	s_addk_co_i32 s4, 0xe000
	s_and_b32 vcc_lo, exec_lo, s5
	s_mov_b32 s5, 0
	s_wait_dscnt 0x3
	v_lshrrev_b32_e32 v2, s40, v31
	v_lshrrev_b32_e32 v6, s40, v32
	s_wait_dscnt 0x2
	v_lshrrev_b32_e32 v7, s40, v33
	v_lshrrev_b32_e32 v8, s40, v34
	;; [unrolled: 3-line block ×4, first 2 shown]
	v_and_b32_e32 v5, s9, v2
	v_and_b32_e32 v6, s9, v6
	v_and_b32_e32 v7, s9, v7
	v_and_b32_e32 v8, s9, v8
	v_and_b32_e32 v27, s9, v9
	v_and_b32_e32 v28, s9, v28
	v_and_b32_e32 v29, s9, v29
	v_and_b32_e32 v30, s9, v30
	v_lshlrev_b32_e32 v2, 2, v5
	v_lshlrev_b32_e32 v9, 2, v6
	;; [unrolled: 1-line block ×5, first 2 shown]
	s_clause 0x1
	scratch_store_b128 off, v[5:8], s3
	scratch_store_b128 off, v[27:30], s3 offset:16
	v_lshlrev_b32_e32 v54, 2, v28
	v_lshlrev_b32_e32 v57, 2, v29
	;; [unrolled: 1-line block ×3, first 2 shown]
	ds_load_b32 v2, v2
	ds_load_b32 v7, v9
	;; [unrolled: 1-line block ×8, first 2 shown]
	s_wait_alu 0xfffe
	s_mov_b32 s3, s2
	s_wait_dscnt 0x7
	v_add3_u32 v2, v4, v2, 0xffffe400
	s_delay_alu instid0(VALU_DEP_1) | instskip(SKIP_2) | instid1(VALU_DEP_1)
	v_lshlrev_b64_e32 v[5:6], 2, v[2:3]
	s_wait_dscnt 0x6
	v_add3_u32 v2, v4, v7, 0xffffe800
	v_lshlrev_b64_e32 v[7:8], 2, v[2:3]
	s_wait_dscnt 0x5
	v_add3_u32 v2, v4, v9, 0xffffec00
	v_add_co_u32 v5, s1, s26, v5
	s_wait_alu 0xf1ff
	v_add_co_ci_u32_e64 v6, null, s27, v6, s1
	s_delay_alu instid0(VALU_DEP_3)
	v_lshlrev_b64_e32 v[27:28], 2, v[2:3]
	s_wait_dscnt 0x4
	v_add3_u32 v2, v4, v29, 0xfffff000
	v_add_co_u32 v7, s1, s26, v7
	s_wait_alu 0xf1ff
	v_add_co_ci_u32_e64 v8, null, s27, v8, s1
	global_store_b32 v[5:6], v31, off
	v_lshlrev_b64_e32 v[5:6], 2, v[2:3]
	s_wait_dscnt 0x3
	v_add3_u32 v2, v4, v30, 0xfffff400
	global_store_b32 v[7:8], v32, off
	v_add_co_u32 v7, s1, s26, v27
	s_wait_alu 0xf1ff
	v_add_co_ci_u32_e64 v8, null, s27, v28, s1
	v_lshlrev_b64_e32 v[27:28], 2, v[2:3]
	s_wait_dscnt 0x2
	v_add3_u32 v2, v4, v35, 0xfffff800
	v_add_co_u32 v5, s1, s26, v5
	s_wait_alu 0xf1ff
	v_add_co_ci_u32_e64 v6, null, s27, v6, s1
	global_store_b32 v[7:8], v33, off
	v_lshlrev_b64_e32 v[7:8], 2, v[2:3]
	s_wait_dscnt 0x1
	v_add3_u32 v2, v4, v48, 0xfffffc00
	global_store_b32 v[5:6], v34, off
	v_add_co_u32 v5, s1, s26, v27
	s_wait_alu 0xf1ff
	v_add_co_ci_u32_e64 v6, null, s27, v28, s1
	v_lshlrev_b64_e32 v[27:28], 2, v[2:3]
	s_wait_dscnt 0x0
	v_add_nc_u32_e32 v2, v4, v51
	v_add_co_u32 v7, s1, s26, v7
	s_wait_alu 0xf1ff
	v_add_co_ci_u32_e64 v8, null, s27, v8, s1
	global_store_b32 v[5:6], v59, off
	v_lshlrev_b64_e32 v[5:6], 2, v[2:3]
	v_add_nc_u32_e32 v4, 0x2000, v4
	global_store_b32 v[7:8], v60, off
	v_add_co_u32 v7, s1, s26, v27
	s_wait_alu 0xf1ff
	v_add_co_ci_u32_e64 v8, null, s27, v28, s1
	v_add_co_u32 v5, s1, s26, v5
	s_wait_alu 0xf1ff
	v_add_co_ci_u32_e64 v6, null, s27, v6, s1
	s_clause 0x1
	global_store_b32 v[7:8], v61, off
	global_store_b32 v[5:6], v62, off
	s_wait_loadcnt 0x0
	s_wait_storecnt 0x0
	s_barrier_signal -1
	s_barrier_wait -1
	global_inv scope:SCOPE_SE
	s_cbranch_vccnz .LBB208_202
; %bb.203:
	v_dual_mov_b32 v35, 0 :: v_dual_lshlrev_b32 v2, 3, v36
	s_lshl_b64 s[2:3], s[6:7], 3
	v_lshlrev_b32_e32 v3, 3, v10
	s_wait_alu 0xfffe
	s_add_nc_u64 s[2:3], s[28:29], s[2:3]
	v_lshlrev_b32_e32 v36, 3, v1
	s_wait_alu 0xfffe
	v_add_co_u32 v2, s1, s2, v2
	s_wait_alu 0xf1ff
	v_add_co_ci_u32_e64 v4, null, s3, 0, s1
	v_or_b32_e32 v1, 0xc00, v1
	s_delay_alu instid0(VALU_DEP_3) | instskip(SKIP_1) | instid1(VALU_DEP_3)
	v_add_co_u32 v32, vcc_lo, v2, v3
	s_wait_alu 0xfffd
	v_add_co_ci_u32_e64 v33, null, 0, v4, vcc_lo
	s_or_b32 s1, 0, 8
	s_mov_b32 s2, 0
	s_clause 0xf
	global_load_b64 v[2:3], v[32:33], off
	global_load_b64 v[4:5], v[32:33], off offset:256
	global_load_b64 v[6:7], v[32:33], off offset:512
	;; [unrolled: 1-line block ×15, first 2 shown]
.LBB208_204:                            ; =>This Inner Loop Header: Depth=1
	s_wait_alu 0xfffe
	v_add_nc_u32_e32 v34, s2, v0
	v_add_nc_u32_e32 v48, s2, v45
	;; [unrolled: 1-line block ×16, first 2 shown]
	v_min_u32_e32 v34, 0x1000, v34
	v_min_u32_e32 v48, 0x1000, v48
	;; [unrolled: 1-line block ×16, first 2 shown]
	v_lshlrev_b32_e32 v34, 3, v34
	v_lshlrev_b32_e32 v48, 3, v48
	;; [unrolled: 1-line block ×16, first 2 shown]
	s_wait_loadcnt 0xf
	ds_store_b64 v34, v[2:3] offset:1024
	s_wait_loadcnt 0xe
	ds_store_b64 v48, v[4:5] offset:1024
	;; [unrolled: 2-line block ×16, first 2 shown]
	s_wait_dscnt 0x0
	s_barrier_signal -1
	s_barrier_wait -1
	global_inv scope:SCOPE_SE
	scratch_load_b128 v[59:62], off, s1 offset:-8
	ds_load_2addr_stride64_b64 v[63:66], v36 offset0:2 offset1:18
	ds_load_2addr_stride64_b64 v[67:70], v36 offset0:34 offset1:50
	s_addk_co_i32 s2, 0xf000
	s_add_co_i32 s1, s1, 16
	s_wait_alu 0xfffe
	s_cmp_lg_u32 s2, 0xffffc000
	s_wait_loadcnt 0x0
	v_lshlrev_b32_e32 v34, 2, v59
	v_lshlrev_b32_e32 v48, 2, v60
	;; [unrolled: 1-line block ×4, first 2 shown]
	ds_load_b32 v34, v34
	ds_load_b32 v48, v48
	;; [unrolled: 1-line block ×4, first 2 shown]
	s_wait_dscnt 0x3
	v_add3_u32 v34, v1, v34, 0xfffff400
	s_delay_alu instid0(VALU_DEP_1) | instskip(SKIP_2) | instid1(VALU_DEP_1)
	v_lshlrev_b64_e32 v[59:60], 3, v[34:35]
	s_wait_dscnt 0x2
	v_add3_u32 v34, v1, v48, 0xfffff800
	v_lshlrev_b64_e32 v[61:62], 3, v[34:35]
	s_wait_dscnt 0x1
	v_add3_u32 v34, v1, v51, 0xfffffc00
	v_add_co_u32 v59, vcc_lo, s30, v59
	s_wait_alu 0xfffd
	v_add_co_ci_u32_e64 v60, null, s31, v60, vcc_lo
	s_delay_alu instid0(VALU_DEP_3)
	v_lshlrev_b64_e32 v[71:72], 3, v[34:35]
	s_wait_dscnt 0x0
	v_add_nc_u32_e32 v34, v1, v54
	v_add_co_u32 v61, vcc_lo, s30, v61
	s_wait_alu 0xfffd
	v_add_co_ci_u32_e64 v62, null, s31, v62, vcc_lo
	global_store_b64 v[59:60], v[63:64], off
	v_lshlrev_b64_e32 v[59:60], 3, v[34:35]
	v_add_nc_u32_e32 v1, 0x1000, v1
	global_store_b64 v[61:62], v[65:66], off
	v_add_co_u32 v61, vcc_lo, s30, v71
	s_wait_alu 0xfffd
	v_add_co_ci_u32_e64 v62, null, s31, v72, vcc_lo
	v_add_co_u32 v59, vcc_lo, s30, v59
	s_wait_alu 0xfffd
	v_add_co_ci_u32_e64 v60, null, s31, v60, vcc_lo
	s_clause 0x1
	global_store_b64 v[61:62], v[67:68], off
	global_store_b64 v[59:60], v[69:70], off
	s_wait_storecnt 0x0
	s_barrier_signal -1
	s_barrier_wait -1
	global_inv scope:SCOPE_SE
	s_cbranch_scc1 .LBB208_204
; %bb.205:
	s_add_co_i32 s8, s8, -1
	s_wait_alu 0xfffe
	s_cmp_eq_u32 ttmp9, s8
	s_cselect_b32 s1, -1, 0
	s_xor_b32 s0, s0, -1
	s_wait_alu 0xfffe
	s_and_b32 s0, s0, s1
	s_wait_alu 0xfffe
	s_and_saveexec_b32 s1, s0
	s_cbranch_execz .LBB208_207
; %bb.206:
	ds_load_b32 v0, v58
	s_wait_dscnt 0x0
	v_add3_u32 v0, v37, v40, v0
	global_store_b32 v58, v0, s[38:39]
.LBB208_207:
	s_endpgm
	.section	.rodata,"a",@progbits
	.p2align	6, 0x0
	.amdhsa_kernel _ZN7rocprim17ROCPRIM_400000_NS6detail17trampoline_kernelINS0_14default_configENS1_35radix_sort_onesweep_config_selectorIjN6thrust23THRUST_200600_302600_NS5tupleIffNS6_9null_typeES8_S8_S8_S8_S8_S8_S8_EEEEZZNS1_29radix_sort_onesweep_iterationIS3_Lb0ENS6_6detail15normal_iteratorINS6_10device_ptrIjEEEESG_NSD_INSE_IS9_EEEESI_jNS0_19identity_decomposerENS1_16block_id_wrapperIjLb0EEEEE10hipError_tT1_PNSt15iterator_traitsISN_E10value_typeET2_T3_PNSO_IST_E10value_typeET4_T5_PSY_SZ_PNS1_23onesweep_lookback_stateEbbT6_jjT7_P12ihipStream_tbENKUlT_T0_SN_SS_E_clISG_SG_SI_SI_EEDaS16_S17_SN_SS_EUlS16_E_NS1_11comp_targetILNS1_3genE10ELNS1_11target_archE1201ELNS1_3gpuE5ELNS1_3repE0EEENS1_47radix_sort_onesweep_sort_config_static_selectorELNS0_4arch9wavefront6targetE0EEEvSN_
		.amdhsa_group_segment_fixed_size 37000
		.amdhsa_private_segment_fixed_size 80
		.amdhsa_kernarg_size 344
		.amdhsa_user_sgpr_count 2
		.amdhsa_user_sgpr_dispatch_ptr 0
		.amdhsa_user_sgpr_queue_ptr 0
		.amdhsa_user_sgpr_kernarg_segment_ptr 1
		.amdhsa_user_sgpr_dispatch_id 0
		.amdhsa_user_sgpr_private_segment_size 0
		.amdhsa_wavefront_size32 1
		.amdhsa_uses_dynamic_stack 0
		.amdhsa_enable_private_segment 1
		.amdhsa_system_sgpr_workgroup_id_x 1
		.amdhsa_system_sgpr_workgroup_id_y 0
		.amdhsa_system_sgpr_workgroup_id_z 0
		.amdhsa_system_sgpr_workgroup_info 0
		.amdhsa_system_vgpr_workitem_id 2
		.amdhsa_next_free_vgpr 81
		.amdhsa_next_free_sgpr 49
		.amdhsa_reserve_vcc 1
		.amdhsa_float_round_mode_32 0
		.amdhsa_float_round_mode_16_64 0
		.amdhsa_float_denorm_mode_32 3
		.amdhsa_float_denorm_mode_16_64 3
		.amdhsa_fp16_overflow 0
		.amdhsa_workgroup_processor_mode 1
		.amdhsa_memory_ordered 1
		.amdhsa_forward_progress 1
		.amdhsa_inst_pref_size 172
		.amdhsa_round_robin_scheduling 0
		.amdhsa_exception_fp_ieee_invalid_op 0
		.amdhsa_exception_fp_denorm_src 0
		.amdhsa_exception_fp_ieee_div_zero 0
		.amdhsa_exception_fp_ieee_overflow 0
		.amdhsa_exception_fp_ieee_underflow 0
		.amdhsa_exception_fp_ieee_inexact 0
		.amdhsa_exception_int_div_zero 0
	.end_amdhsa_kernel
	.section	.text._ZN7rocprim17ROCPRIM_400000_NS6detail17trampoline_kernelINS0_14default_configENS1_35radix_sort_onesweep_config_selectorIjN6thrust23THRUST_200600_302600_NS5tupleIffNS6_9null_typeES8_S8_S8_S8_S8_S8_S8_EEEEZZNS1_29radix_sort_onesweep_iterationIS3_Lb0ENS6_6detail15normal_iteratorINS6_10device_ptrIjEEEESG_NSD_INSE_IS9_EEEESI_jNS0_19identity_decomposerENS1_16block_id_wrapperIjLb0EEEEE10hipError_tT1_PNSt15iterator_traitsISN_E10value_typeET2_T3_PNSO_IST_E10value_typeET4_T5_PSY_SZ_PNS1_23onesweep_lookback_stateEbbT6_jjT7_P12ihipStream_tbENKUlT_T0_SN_SS_E_clISG_SG_SI_SI_EEDaS16_S17_SN_SS_EUlS16_E_NS1_11comp_targetILNS1_3genE10ELNS1_11target_archE1201ELNS1_3gpuE5ELNS1_3repE0EEENS1_47radix_sort_onesweep_sort_config_static_selectorELNS0_4arch9wavefront6targetE0EEEvSN_,"axG",@progbits,_ZN7rocprim17ROCPRIM_400000_NS6detail17trampoline_kernelINS0_14default_configENS1_35radix_sort_onesweep_config_selectorIjN6thrust23THRUST_200600_302600_NS5tupleIffNS6_9null_typeES8_S8_S8_S8_S8_S8_S8_EEEEZZNS1_29radix_sort_onesweep_iterationIS3_Lb0ENS6_6detail15normal_iteratorINS6_10device_ptrIjEEEESG_NSD_INSE_IS9_EEEESI_jNS0_19identity_decomposerENS1_16block_id_wrapperIjLb0EEEEE10hipError_tT1_PNSt15iterator_traitsISN_E10value_typeET2_T3_PNSO_IST_E10value_typeET4_T5_PSY_SZ_PNS1_23onesweep_lookback_stateEbbT6_jjT7_P12ihipStream_tbENKUlT_T0_SN_SS_E_clISG_SG_SI_SI_EEDaS16_S17_SN_SS_EUlS16_E_NS1_11comp_targetILNS1_3genE10ELNS1_11target_archE1201ELNS1_3gpuE5ELNS1_3repE0EEENS1_47radix_sort_onesweep_sort_config_static_selectorELNS0_4arch9wavefront6targetE0EEEvSN_,comdat
.Lfunc_end208:
	.size	_ZN7rocprim17ROCPRIM_400000_NS6detail17trampoline_kernelINS0_14default_configENS1_35radix_sort_onesweep_config_selectorIjN6thrust23THRUST_200600_302600_NS5tupleIffNS6_9null_typeES8_S8_S8_S8_S8_S8_S8_EEEEZZNS1_29radix_sort_onesweep_iterationIS3_Lb0ENS6_6detail15normal_iteratorINS6_10device_ptrIjEEEESG_NSD_INSE_IS9_EEEESI_jNS0_19identity_decomposerENS1_16block_id_wrapperIjLb0EEEEE10hipError_tT1_PNSt15iterator_traitsISN_E10value_typeET2_T3_PNSO_IST_E10value_typeET4_T5_PSY_SZ_PNS1_23onesweep_lookback_stateEbbT6_jjT7_P12ihipStream_tbENKUlT_T0_SN_SS_E_clISG_SG_SI_SI_EEDaS16_S17_SN_SS_EUlS16_E_NS1_11comp_targetILNS1_3genE10ELNS1_11target_archE1201ELNS1_3gpuE5ELNS1_3repE0EEENS1_47radix_sort_onesweep_sort_config_static_selectorELNS0_4arch9wavefront6targetE0EEEvSN_, .Lfunc_end208-_ZN7rocprim17ROCPRIM_400000_NS6detail17trampoline_kernelINS0_14default_configENS1_35radix_sort_onesweep_config_selectorIjN6thrust23THRUST_200600_302600_NS5tupleIffNS6_9null_typeES8_S8_S8_S8_S8_S8_S8_EEEEZZNS1_29radix_sort_onesweep_iterationIS3_Lb0ENS6_6detail15normal_iteratorINS6_10device_ptrIjEEEESG_NSD_INSE_IS9_EEEESI_jNS0_19identity_decomposerENS1_16block_id_wrapperIjLb0EEEEE10hipError_tT1_PNSt15iterator_traitsISN_E10value_typeET2_T3_PNSO_IST_E10value_typeET4_T5_PSY_SZ_PNS1_23onesweep_lookback_stateEbbT6_jjT7_P12ihipStream_tbENKUlT_T0_SN_SS_E_clISG_SG_SI_SI_EEDaS16_S17_SN_SS_EUlS16_E_NS1_11comp_targetILNS1_3genE10ELNS1_11target_archE1201ELNS1_3gpuE5ELNS1_3repE0EEENS1_47radix_sort_onesweep_sort_config_static_selectorELNS0_4arch9wavefront6targetE0EEEvSN_
                                        ; -- End function
	.set _ZN7rocprim17ROCPRIM_400000_NS6detail17trampoline_kernelINS0_14default_configENS1_35radix_sort_onesweep_config_selectorIjN6thrust23THRUST_200600_302600_NS5tupleIffNS6_9null_typeES8_S8_S8_S8_S8_S8_S8_EEEEZZNS1_29radix_sort_onesweep_iterationIS3_Lb0ENS6_6detail15normal_iteratorINS6_10device_ptrIjEEEESG_NSD_INSE_IS9_EEEESI_jNS0_19identity_decomposerENS1_16block_id_wrapperIjLb0EEEEE10hipError_tT1_PNSt15iterator_traitsISN_E10value_typeET2_T3_PNSO_IST_E10value_typeET4_T5_PSY_SZ_PNS1_23onesweep_lookback_stateEbbT6_jjT7_P12ihipStream_tbENKUlT_T0_SN_SS_E_clISG_SG_SI_SI_EEDaS16_S17_SN_SS_EUlS16_E_NS1_11comp_targetILNS1_3genE10ELNS1_11target_archE1201ELNS1_3gpuE5ELNS1_3repE0EEENS1_47radix_sort_onesweep_sort_config_static_selectorELNS0_4arch9wavefront6targetE0EEEvSN_.num_vgpr, 81
	.set _ZN7rocprim17ROCPRIM_400000_NS6detail17trampoline_kernelINS0_14default_configENS1_35radix_sort_onesweep_config_selectorIjN6thrust23THRUST_200600_302600_NS5tupleIffNS6_9null_typeES8_S8_S8_S8_S8_S8_S8_EEEEZZNS1_29radix_sort_onesweep_iterationIS3_Lb0ENS6_6detail15normal_iteratorINS6_10device_ptrIjEEEESG_NSD_INSE_IS9_EEEESI_jNS0_19identity_decomposerENS1_16block_id_wrapperIjLb0EEEEE10hipError_tT1_PNSt15iterator_traitsISN_E10value_typeET2_T3_PNSO_IST_E10value_typeET4_T5_PSY_SZ_PNS1_23onesweep_lookback_stateEbbT6_jjT7_P12ihipStream_tbENKUlT_T0_SN_SS_E_clISG_SG_SI_SI_EEDaS16_S17_SN_SS_EUlS16_E_NS1_11comp_targetILNS1_3genE10ELNS1_11target_archE1201ELNS1_3gpuE5ELNS1_3repE0EEENS1_47radix_sort_onesweep_sort_config_static_selectorELNS0_4arch9wavefront6targetE0EEEvSN_.num_agpr, 0
	.set _ZN7rocprim17ROCPRIM_400000_NS6detail17trampoline_kernelINS0_14default_configENS1_35radix_sort_onesweep_config_selectorIjN6thrust23THRUST_200600_302600_NS5tupleIffNS6_9null_typeES8_S8_S8_S8_S8_S8_S8_EEEEZZNS1_29radix_sort_onesweep_iterationIS3_Lb0ENS6_6detail15normal_iteratorINS6_10device_ptrIjEEEESG_NSD_INSE_IS9_EEEESI_jNS0_19identity_decomposerENS1_16block_id_wrapperIjLb0EEEEE10hipError_tT1_PNSt15iterator_traitsISN_E10value_typeET2_T3_PNSO_IST_E10value_typeET4_T5_PSY_SZ_PNS1_23onesweep_lookback_stateEbbT6_jjT7_P12ihipStream_tbENKUlT_T0_SN_SS_E_clISG_SG_SI_SI_EEDaS16_S17_SN_SS_EUlS16_E_NS1_11comp_targetILNS1_3genE10ELNS1_11target_archE1201ELNS1_3gpuE5ELNS1_3repE0EEENS1_47radix_sort_onesweep_sort_config_static_selectorELNS0_4arch9wavefront6targetE0EEEvSN_.numbered_sgpr, 49
	.set _ZN7rocprim17ROCPRIM_400000_NS6detail17trampoline_kernelINS0_14default_configENS1_35radix_sort_onesweep_config_selectorIjN6thrust23THRUST_200600_302600_NS5tupleIffNS6_9null_typeES8_S8_S8_S8_S8_S8_S8_EEEEZZNS1_29radix_sort_onesweep_iterationIS3_Lb0ENS6_6detail15normal_iteratorINS6_10device_ptrIjEEEESG_NSD_INSE_IS9_EEEESI_jNS0_19identity_decomposerENS1_16block_id_wrapperIjLb0EEEEE10hipError_tT1_PNSt15iterator_traitsISN_E10value_typeET2_T3_PNSO_IST_E10value_typeET4_T5_PSY_SZ_PNS1_23onesweep_lookback_stateEbbT6_jjT7_P12ihipStream_tbENKUlT_T0_SN_SS_E_clISG_SG_SI_SI_EEDaS16_S17_SN_SS_EUlS16_E_NS1_11comp_targetILNS1_3genE10ELNS1_11target_archE1201ELNS1_3gpuE5ELNS1_3repE0EEENS1_47radix_sort_onesweep_sort_config_static_selectorELNS0_4arch9wavefront6targetE0EEEvSN_.num_named_barrier, 0
	.set _ZN7rocprim17ROCPRIM_400000_NS6detail17trampoline_kernelINS0_14default_configENS1_35radix_sort_onesweep_config_selectorIjN6thrust23THRUST_200600_302600_NS5tupleIffNS6_9null_typeES8_S8_S8_S8_S8_S8_S8_EEEEZZNS1_29radix_sort_onesweep_iterationIS3_Lb0ENS6_6detail15normal_iteratorINS6_10device_ptrIjEEEESG_NSD_INSE_IS9_EEEESI_jNS0_19identity_decomposerENS1_16block_id_wrapperIjLb0EEEEE10hipError_tT1_PNSt15iterator_traitsISN_E10value_typeET2_T3_PNSO_IST_E10value_typeET4_T5_PSY_SZ_PNS1_23onesweep_lookback_stateEbbT6_jjT7_P12ihipStream_tbENKUlT_T0_SN_SS_E_clISG_SG_SI_SI_EEDaS16_S17_SN_SS_EUlS16_E_NS1_11comp_targetILNS1_3genE10ELNS1_11target_archE1201ELNS1_3gpuE5ELNS1_3repE0EEENS1_47radix_sort_onesweep_sort_config_static_selectorELNS0_4arch9wavefront6targetE0EEEvSN_.private_seg_size, 80
	.set _ZN7rocprim17ROCPRIM_400000_NS6detail17trampoline_kernelINS0_14default_configENS1_35radix_sort_onesweep_config_selectorIjN6thrust23THRUST_200600_302600_NS5tupleIffNS6_9null_typeES8_S8_S8_S8_S8_S8_S8_EEEEZZNS1_29radix_sort_onesweep_iterationIS3_Lb0ENS6_6detail15normal_iteratorINS6_10device_ptrIjEEEESG_NSD_INSE_IS9_EEEESI_jNS0_19identity_decomposerENS1_16block_id_wrapperIjLb0EEEEE10hipError_tT1_PNSt15iterator_traitsISN_E10value_typeET2_T3_PNSO_IST_E10value_typeET4_T5_PSY_SZ_PNS1_23onesweep_lookback_stateEbbT6_jjT7_P12ihipStream_tbENKUlT_T0_SN_SS_E_clISG_SG_SI_SI_EEDaS16_S17_SN_SS_EUlS16_E_NS1_11comp_targetILNS1_3genE10ELNS1_11target_archE1201ELNS1_3gpuE5ELNS1_3repE0EEENS1_47radix_sort_onesweep_sort_config_static_selectorELNS0_4arch9wavefront6targetE0EEEvSN_.uses_vcc, 1
	.set _ZN7rocprim17ROCPRIM_400000_NS6detail17trampoline_kernelINS0_14default_configENS1_35radix_sort_onesweep_config_selectorIjN6thrust23THRUST_200600_302600_NS5tupleIffNS6_9null_typeES8_S8_S8_S8_S8_S8_S8_EEEEZZNS1_29radix_sort_onesweep_iterationIS3_Lb0ENS6_6detail15normal_iteratorINS6_10device_ptrIjEEEESG_NSD_INSE_IS9_EEEESI_jNS0_19identity_decomposerENS1_16block_id_wrapperIjLb0EEEEE10hipError_tT1_PNSt15iterator_traitsISN_E10value_typeET2_T3_PNSO_IST_E10value_typeET4_T5_PSY_SZ_PNS1_23onesweep_lookback_stateEbbT6_jjT7_P12ihipStream_tbENKUlT_T0_SN_SS_E_clISG_SG_SI_SI_EEDaS16_S17_SN_SS_EUlS16_E_NS1_11comp_targetILNS1_3genE10ELNS1_11target_archE1201ELNS1_3gpuE5ELNS1_3repE0EEENS1_47radix_sort_onesweep_sort_config_static_selectorELNS0_4arch9wavefront6targetE0EEEvSN_.uses_flat_scratch, 1
	.set _ZN7rocprim17ROCPRIM_400000_NS6detail17trampoline_kernelINS0_14default_configENS1_35radix_sort_onesweep_config_selectorIjN6thrust23THRUST_200600_302600_NS5tupleIffNS6_9null_typeES8_S8_S8_S8_S8_S8_S8_EEEEZZNS1_29radix_sort_onesweep_iterationIS3_Lb0ENS6_6detail15normal_iteratorINS6_10device_ptrIjEEEESG_NSD_INSE_IS9_EEEESI_jNS0_19identity_decomposerENS1_16block_id_wrapperIjLb0EEEEE10hipError_tT1_PNSt15iterator_traitsISN_E10value_typeET2_T3_PNSO_IST_E10value_typeET4_T5_PSY_SZ_PNS1_23onesweep_lookback_stateEbbT6_jjT7_P12ihipStream_tbENKUlT_T0_SN_SS_E_clISG_SG_SI_SI_EEDaS16_S17_SN_SS_EUlS16_E_NS1_11comp_targetILNS1_3genE10ELNS1_11target_archE1201ELNS1_3gpuE5ELNS1_3repE0EEENS1_47radix_sort_onesweep_sort_config_static_selectorELNS0_4arch9wavefront6targetE0EEEvSN_.has_dyn_sized_stack, 0
	.set _ZN7rocprim17ROCPRIM_400000_NS6detail17trampoline_kernelINS0_14default_configENS1_35radix_sort_onesweep_config_selectorIjN6thrust23THRUST_200600_302600_NS5tupleIffNS6_9null_typeES8_S8_S8_S8_S8_S8_S8_EEEEZZNS1_29radix_sort_onesweep_iterationIS3_Lb0ENS6_6detail15normal_iteratorINS6_10device_ptrIjEEEESG_NSD_INSE_IS9_EEEESI_jNS0_19identity_decomposerENS1_16block_id_wrapperIjLb0EEEEE10hipError_tT1_PNSt15iterator_traitsISN_E10value_typeET2_T3_PNSO_IST_E10value_typeET4_T5_PSY_SZ_PNS1_23onesweep_lookback_stateEbbT6_jjT7_P12ihipStream_tbENKUlT_T0_SN_SS_E_clISG_SG_SI_SI_EEDaS16_S17_SN_SS_EUlS16_E_NS1_11comp_targetILNS1_3genE10ELNS1_11target_archE1201ELNS1_3gpuE5ELNS1_3repE0EEENS1_47radix_sort_onesweep_sort_config_static_selectorELNS0_4arch9wavefront6targetE0EEEvSN_.has_recursion, 0
	.set _ZN7rocprim17ROCPRIM_400000_NS6detail17trampoline_kernelINS0_14default_configENS1_35radix_sort_onesweep_config_selectorIjN6thrust23THRUST_200600_302600_NS5tupleIffNS6_9null_typeES8_S8_S8_S8_S8_S8_S8_EEEEZZNS1_29radix_sort_onesweep_iterationIS3_Lb0ENS6_6detail15normal_iteratorINS6_10device_ptrIjEEEESG_NSD_INSE_IS9_EEEESI_jNS0_19identity_decomposerENS1_16block_id_wrapperIjLb0EEEEE10hipError_tT1_PNSt15iterator_traitsISN_E10value_typeET2_T3_PNSO_IST_E10value_typeET4_T5_PSY_SZ_PNS1_23onesweep_lookback_stateEbbT6_jjT7_P12ihipStream_tbENKUlT_T0_SN_SS_E_clISG_SG_SI_SI_EEDaS16_S17_SN_SS_EUlS16_E_NS1_11comp_targetILNS1_3genE10ELNS1_11target_archE1201ELNS1_3gpuE5ELNS1_3repE0EEENS1_47radix_sort_onesweep_sort_config_static_selectorELNS0_4arch9wavefront6targetE0EEEvSN_.has_indirect_call, 0
	.section	.AMDGPU.csdata,"",@progbits
; Kernel info:
; codeLenInByte = 21936
; TotalNumSgprs: 51
; NumVgprs: 81
; ScratchSize: 80
; MemoryBound: 0
; FloatMode: 240
; IeeeMode: 1
; LDSByteSize: 37000 bytes/workgroup (compile time only)
; SGPRBlocks: 0
; VGPRBlocks: 10
; NumSGPRsForWavesPerEU: 51
; NumVGPRsForWavesPerEU: 81
; Occupancy: 16
; WaveLimiterHint : 1
; COMPUTE_PGM_RSRC2:SCRATCH_EN: 1
; COMPUTE_PGM_RSRC2:USER_SGPR: 2
; COMPUTE_PGM_RSRC2:TRAP_HANDLER: 0
; COMPUTE_PGM_RSRC2:TGID_X_EN: 1
; COMPUTE_PGM_RSRC2:TGID_Y_EN: 0
; COMPUTE_PGM_RSRC2:TGID_Z_EN: 0
; COMPUTE_PGM_RSRC2:TIDIG_COMP_CNT: 2
	.section	.text._ZN7rocprim17ROCPRIM_400000_NS6detail17trampoline_kernelINS0_14default_configENS1_35radix_sort_onesweep_config_selectorIjN6thrust23THRUST_200600_302600_NS5tupleIffNS6_9null_typeES8_S8_S8_S8_S8_S8_S8_EEEEZZNS1_29radix_sort_onesweep_iterationIS3_Lb0ENS6_6detail15normal_iteratorINS6_10device_ptrIjEEEESG_NSD_INSE_IS9_EEEESI_jNS0_19identity_decomposerENS1_16block_id_wrapperIjLb0EEEEE10hipError_tT1_PNSt15iterator_traitsISN_E10value_typeET2_T3_PNSO_IST_E10value_typeET4_T5_PSY_SZ_PNS1_23onesweep_lookback_stateEbbT6_jjT7_P12ihipStream_tbENKUlT_T0_SN_SS_E_clISG_SG_SI_SI_EEDaS16_S17_SN_SS_EUlS16_E_NS1_11comp_targetILNS1_3genE9ELNS1_11target_archE1100ELNS1_3gpuE3ELNS1_3repE0EEENS1_47radix_sort_onesweep_sort_config_static_selectorELNS0_4arch9wavefront6targetE0EEEvSN_,"axG",@progbits,_ZN7rocprim17ROCPRIM_400000_NS6detail17trampoline_kernelINS0_14default_configENS1_35radix_sort_onesweep_config_selectorIjN6thrust23THRUST_200600_302600_NS5tupleIffNS6_9null_typeES8_S8_S8_S8_S8_S8_S8_EEEEZZNS1_29radix_sort_onesweep_iterationIS3_Lb0ENS6_6detail15normal_iteratorINS6_10device_ptrIjEEEESG_NSD_INSE_IS9_EEEESI_jNS0_19identity_decomposerENS1_16block_id_wrapperIjLb0EEEEE10hipError_tT1_PNSt15iterator_traitsISN_E10value_typeET2_T3_PNSO_IST_E10value_typeET4_T5_PSY_SZ_PNS1_23onesweep_lookback_stateEbbT6_jjT7_P12ihipStream_tbENKUlT_T0_SN_SS_E_clISG_SG_SI_SI_EEDaS16_S17_SN_SS_EUlS16_E_NS1_11comp_targetILNS1_3genE9ELNS1_11target_archE1100ELNS1_3gpuE3ELNS1_3repE0EEENS1_47radix_sort_onesweep_sort_config_static_selectorELNS0_4arch9wavefront6targetE0EEEvSN_,comdat
	.protected	_ZN7rocprim17ROCPRIM_400000_NS6detail17trampoline_kernelINS0_14default_configENS1_35radix_sort_onesweep_config_selectorIjN6thrust23THRUST_200600_302600_NS5tupleIffNS6_9null_typeES8_S8_S8_S8_S8_S8_S8_EEEEZZNS1_29radix_sort_onesweep_iterationIS3_Lb0ENS6_6detail15normal_iteratorINS6_10device_ptrIjEEEESG_NSD_INSE_IS9_EEEESI_jNS0_19identity_decomposerENS1_16block_id_wrapperIjLb0EEEEE10hipError_tT1_PNSt15iterator_traitsISN_E10value_typeET2_T3_PNSO_IST_E10value_typeET4_T5_PSY_SZ_PNS1_23onesweep_lookback_stateEbbT6_jjT7_P12ihipStream_tbENKUlT_T0_SN_SS_E_clISG_SG_SI_SI_EEDaS16_S17_SN_SS_EUlS16_E_NS1_11comp_targetILNS1_3genE9ELNS1_11target_archE1100ELNS1_3gpuE3ELNS1_3repE0EEENS1_47radix_sort_onesweep_sort_config_static_selectorELNS0_4arch9wavefront6targetE0EEEvSN_ ; -- Begin function _ZN7rocprim17ROCPRIM_400000_NS6detail17trampoline_kernelINS0_14default_configENS1_35radix_sort_onesweep_config_selectorIjN6thrust23THRUST_200600_302600_NS5tupleIffNS6_9null_typeES8_S8_S8_S8_S8_S8_S8_EEEEZZNS1_29radix_sort_onesweep_iterationIS3_Lb0ENS6_6detail15normal_iteratorINS6_10device_ptrIjEEEESG_NSD_INSE_IS9_EEEESI_jNS0_19identity_decomposerENS1_16block_id_wrapperIjLb0EEEEE10hipError_tT1_PNSt15iterator_traitsISN_E10value_typeET2_T3_PNSO_IST_E10value_typeET4_T5_PSY_SZ_PNS1_23onesweep_lookback_stateEbbT6_jjT7_P12ihipStream_tbENKUlT_T0_SN_SS_E_clISG_SG_SI_SI_EEDaS16_S17_SN_SS_EUlS16_E_NS1_11comp_targetILNS1_3genE9ELNS1_11target_archE1100ELNS1_3gpuE3ELNS1_3repE0EEENS1_47radix_sort_onesweep_sort_config_static_selectorELNS0_4arch9wavefront6targetE0EEEvSN_
	.globl	_ZN7rocprim17ROCPRIM_400000_NS6detail17trampoline_kernelINS0_14default_configENS1_35radix_sort_onesweep_config_selectorIjN6thrust23THRUST_200600_302600_NS5tupleIffNS6_9null_typeES8_S8_S8_S8_S8_S8_S8_EEEEZZNS1_29radix_sort_onesweep_iterationIS3_Lb0ENS6_6detail15normal_iteratorINS6_10device_ptrIjEEEESG_NSD_INSE_IS9_EEEESI_jNS0_19identity_decomposerENS1_16block_id_wrapperIjLb0EEEEE10hipError_tT1_PNSt15iterator_traitsISN_E10value_typeET2_T3_PNSO_IST_E10value_typeET4_T5_PSY_SZ_PNS1_23onesweep_lookback_stateEbbT6_jjT7_P12ihipStream_tbENKUlT_T0_SN_SS_E_clISG_SG_SI_SI_EEDaS16_S17_SN_SS_EUlS16_E_NS1_11comp_targetILNS1_3genE9ELNS1_11target_archE1100ELNS1_3gpuE3ELNS1_3repE0EEENS1_47radix_sort_onesweep_sort_config_static_selectorELNS0_4arch9wavefront6targetE0EEEvSN_
	.p2align	8
	.type	_ZN7rocprim17ROCPRIM_400000_NS6detail17trampoline_kernelINS0_14default_configENS1_35radix_sort_onesweep_config_selectorIjN6thrust23THRUST_200600_302600_NS5tupleIffNS6_9null_typeES8_S8_S8_S8_S8_S8_S8_EEEEZZNS1_29radix_sort_onesweep_iterationIS3_Lb0ENS6_6detail15normal_iteratorINS6_10device_ptrIjEEEESG_NSD_INSE_IS9_EEEESI_jNS0_19identity_decomposerENS1_16block_id_wrapperIjLb0EEEEE10hipError_tT1_PNSt15iterator_traitsISN_E10value_typeET2_T3_PNSO_IST_E10value_typeET4_T5_PSY_SZ_PNS1_23onesweep_lookback_stateEbbT6_jjT7_P12ihipStream_tbENKUlT_T0_SN_SS_E_clISG_SG_SI_SI_EEDaS16_S17_SN_SS_EUlS16_E_NS1_11comp_targetILNS1_3genE9ELNS1_11target_archE1100ELNS1_3gpuE3ELNS1_3repE0EEENS1_47radix_sort_onesweep_sort_config_static_selectorELNS0_4arch9wavefront6targetE0EEEvSN_,@function
_ZN7rocprim17ROCPRIM_400000_NS6detail17trampoline_kernelINS0_14default_configENS1_35radix_sort_onesweep_config_selectorIjN6thrust23THRUST_200600_302600_NS5tupleIffNS6_9null_typeES8_S8_S8_S8_S8_S8_S8_EEEEZZNS1_29radix_sort_onesweep_iterationIS3_Lb0ENS6_6detail15normal_iteratorINS6_10device_ptrIjEEEESG_NSD_INSE_IS9_EEEESI_jNS0_19identity_decomposerENS1_16block_id_wrapperIjLb0EEEEE10hipError_tT1_PNSt15iterator_traitsISN_E10value_typeET2_T3_PNSO_IST_E10value_typeET4_T5_PSY_SZ_PNS1_23onesweep_lookback_stateEbbT6_jjT7_P12ihipStream_tbENKUlT_T0_SN_SS_E_clISG_SG_SI_SI_EEDaS16_S17_SN_SS_EUlS16_E_NS1_11comp_targetILNS1_3genE9ELNS1_11target_archE1100ELNS1_3gpuE3ELNS1_3repE0EEENS1_47radix_sort_onesweep_sort_config_static_selectorELNS0_4arch9wavefront6targetE0EEEvSN_: ; @_ZN7rocprim17ROCPRIM_400000_NS6detail17trampoline_kernelINS0_14default_configENS1_35radix_sort_onesweep_config_selectorIjN6thrust23THRUST_200600_302600_NS5tupleIffNS6_9null_typeES8_S8_S8_S8_S8_S8_S8_EEEEZZNS1_29radix_sort_onesweep_iterationIS3_Lb0ENS6_6detail15normal_iteratorINS6_10device_ptrIjEEEESG_NSD_INSE_IS9_EEEESI_jNS0_19identity_decomposerENS1_16block_id_wrapperIjLb0EEEEE10hipError_tT1_PNSt15iterator_traitsISN_E10value_typeET2_T3_PNSO_IST_E10value_typeET4_T5_PSY_SZ_PNS1_23onesweep_lookback_stateEbbT6_jjT7_P12ihipStream_tbENKUlT_T0_SN_SS_E_clISG_SG_SI_SI_EEDaS16_S17_SN_SS_EUlS16_E_NS1_11comp_targetILNS1_3genE9ELNS1_11target_archE1100ELNS1_3gpuE3ELNS1_3repE0EEENS1_47radix_sort_onesweep_sort_config_static_selectorELNS0_4arch9wavefront6targetE0EEEvSN_
; %bb.0:
	.section	.rodata,"a",@progbits
	.p2align	6, 0x0
	.amdhsa_kernel _ZN7rocprim17ROCPRIM_400000_NS6detail17trampoline_kernelINS0_14default_configENS1_35radix_sort_onesweep_config_selectorIjN6thrust23THRUST_200600_302600_NS5tupleIffNS6_9null_typeES8_S8_S8_S8_S8_S8_S8_EEEEZZNS1_29radix_sort_onesweep_iterationIS3_Lb0ENS6_6detail15normal_iteratorINS6_10device_ptrIjEEEESG_NSD_INSE_IS9_EEEESI_jNS0_19identity_decomposerENS1_16block_id_wrapperIjLb0EEEEE10hipError_tT1_PNSt15iterator_traitsISN_E10value_typeET2_T3_PNSO_IST_E10value_typeET4_T5_PSY_SZ_PNS1_23onesweep_lookback_stateEbbT6_jjT7_P12ihipStream_tbENKUlT_T0_SN_SS_E_clISG_SG_SI_SI_EEDaS16_S17_SN_SS_EUlS16_E_NS1_11comp_targetILNS1_3genE9ELNS1_11target_archE1100ELNS1_3gpuE3ELNS1_3repE0EEENS1_47radix_sort_onesweep_sort_config_static_selectorELNS0_4arch9wavefront6targetE0EEEvSN_
		.amdhsa_group_segment_fixed_size 0
		.amdhsa_private_segment_fixed_size 0
		.amdhsa_kernarg_size 88
		.amdhsa_user_sgpr_count 2
		.amdhsa_user_sgpr_dispatch_ptr 0
		.amdhsa_user_sgpr_queue_ptr 0
		.amdhsa_user_sgpr_kernarg_segment_ptr 1
		.amdhsa_user_sgpr_dispatch_id 0
		.amdhsa_user_sgpr_private_segment_size 0
		.amdhsa_wavefront_size32 1
		.amdhsa_uses_dynamic_stack 0
		.amdhsa_enable_private_segment 0
		.amdhsa_system_sgpr_workgroup_id_x 1
		.amdhsa_system_sgpr_workgroup_id_y 0
		.amdhsa_system_sgpr_workgroup_id_z 0
		.amdhsa_system_sgpr_workgroup_info 0
		.amdhsa_system_vgpr_workitem_id 0
		.amdhsa_next_free_vgpr 1
		.amdhsa_next_free_sgpr 1
		.amdhsa_reserve_vcc 0
		.amdhsa_float_round_mode_32 0
		.amdhsa_float_round_mode_16_64 0
		.amdhsa_float_denorm_mode_32 3
		.amdhsa_float_denorm_mode_16_64 3
		.amdhsa_fp16_overflow 0
		.amdhsa_workgroup_processor_mode 1
		.amdhsa_memory_ordered 1
		.amdhsa_forward_progress 1
		.amdhsa_inst_pref_size 0
		.amdhsa_round_robin_scheduling 0
		.amdhsa_exception_fp_ieee_invalid_op 0
		.amdhsa_exception_fp_denorm_src 0
		.amdhsa_exception_fp_ieee_div_zero 0
		.amdhsa_exception_fp_ieee_overflow 0
		.amdhsa_exception_fp_ieee_underflow 0
		.amdhsa_exception_fp_ieee_inexact 0
		.amdhsa_exception_int_div_zero 0
	.end_amdhsa_kernel
	.section	.text._ZN7rocprim17ROCPRIM_400000_NS6detail17trampoline_kernelINS0_14default_configENS1_35radix_sort_onesweep_config_selectorIjN6thrust23THRUST_200600_302600_NS5tupleIffNS6_9null_typeES8_S8_S8_S8_S8_S8_S8_EEEEZZNS1_29radix_sort_onesweep_iterationIS3_Lb0ENS6_6detail15normal_iteratorINS6_10device_ptrIjEEEESG_NSD_INSE_IS9_EEEESI_jNS0_19identity_decomposerENS1_16block_id_wrapperIjLb0EEEEE10hipError_tT1_PNSt15iterator_traitsISN_E10value_typeET2_T3_PNSO_IST_E10value_typeET4_T5_PSY_SZ_PNS1_23onesweep_lookback_stateEbbT6_jjT7_P12ihipStream_tbENKUlT_T0_SN_SS_E_clISG_SG_SI_SI_EEDaS16_S17_SN_SS_EUlS16_E_NS1_11comp_targetILNS1_3genE9ELNS1_11target_archE1100ELNS1_3gpuE3ELNS1_3repE0EEENS1_47radix_sort_onesweep_sort_config_static_selectorELNS0_4arch9wavefront6targetE0EEEvSN_,"axG",@progbits,_ZN7rocprim17ROCPRIM_400000_NS6detail17trampoline_kernelINS0_14default_configENS1_35radix_sort_onesweep_config_selectorIjN6thrust23THRUST_200600_302600_NS5tupleIffNS6_9null_typeES8_S8_S8_S8_S8_S8_S8_EEEEZZNS1_29radix_sort_onesweep_iterationIS3_Lb0ENS6_6detail15normal_iteratorINS6_10device_ptrIjEEEESG_NSD_INSE_IS9_EEEESI_jNS0_19identity_decomposerENS1_16block_id_wrapperIjLb0EEEEE10hipError_tT1_PNSt15iterator_traitsISN_E10value_typeET2_T3_PNSO_IST_E10value_typeET4_T5_PSY_SZ_PNS1_23onesweep_lookback_stateEbbT6_jjT7_P12ihipStream_tbENKUlT_T0_SN_SS_E_clISG_SG_SI_SI_EEDaS16_S17_SN_SS_EUlS16_E_NS1_11comp_targetILNS1_3genE9ELNS1_11target_archE1100ELNS1_3gpuE3ELNS1_3repE0EEENS1_47radix_sort_onesweep_sort_config_static_selectorELNS0_4arch9wavefront6targetE0EEEvSN_,comdat
.Lfunc_end209:
	.size	_ZN7rocprim17ROCPRIM_400000_NS6detail17trampoline_kernelINS0_14default_configENS1_35radix_sort_onesweep_config_selectorIjN6thrust23THRUST_200600_302600_NS5tupleIffNS6_9null_typeES8_S8_S8_S8_S8_S8_S8_EEEEZZNS1_29radix_sort_onesweep_iterationIS3_Lb0ENS6_6detail15normal_iteratorINS6_10device_ptrIjEEEESG_NSD_INSE_IS9_EEEESI_jNS0_19identity_decomposerENS1_16block_id_wrapperIjLb0EEEEE10hipError_tT1_PNSt15iterator_traitsISN_E10value_typeET2_T3_PNSO_IST_E10value_typeET4_T5_PSY_SZ_PNS1_23onesweep_lookback_stateEbbT6_jjT7_P12ihipStream_tbENKUlT_T0_SN_SS_E_clISG_SG_SI_SI_EEDaS16_S17_SN_SS_EUlS16_E_NS1_11comp_targetILNS1_3genE9ELNS1_11target_archE1100ELNS1_3gpuE3ELNS1_3repE0EEENS1_47radix_sort_onesweep_sort_config_static_selectorELNS0_4arch9wavefront6targetE0EEEvSN_, .Lfunc_end209-_ZN7rocprim17ROCPRIM_400000_NS6detail17trampoline_kernelINS0_14default_configENS1_35radix_sort_onesweep_config_selectorIjN6thrust23THRUST_200600_302600_NS5tupleIffNS6_9null_typeES8_S8_S8_S8_S8_S8_S8_EEEEZZNS1_29radix_sort_onesweep_iterationIS3_Lb0ENS6_6detail15normal_iteratorINS6_10device_ptrIjEEEESG_NSD_INSE_IS9_EEEESI_jNS0_19identity_decomposerENS1_16block_id_wrapperIjLb0EEEEE10hipError_tT1_PNSt15iterator_traitsISN_E10value_typeET2_T3_PNSO_IST_E10value_typeET4_T5_PSY_SZ_PNS1_23onesweep_lookback_stateEbbT6_jjT7_P12ihipStream_tbENKUlT_T0_SN_SS_E_clISG_SG_SI_SI_EEDaS16_S17_SN_SS_EUlS16_E_NS1_11comp_targetILNS1_3genE9ELNS1_11target_archE1100ELNS1_3gpuE3ELNS1_3repE0EEENS1_47radix_sort_onesweep_sort_config_static_selectorELNS0_4arch9wavefront6targetE0EEEvSN_
                                        ; -- End function
	.set _ZN7rocprim17ROCPRIM_400000_NS6detail17trampoline_kernelINS0_14default_configENS1_35radix_sort_onesweep_config_selectorIjN6thrust23THRUST_200600_302600_NS5tupleIffNS6_9null_typeES8_S8_S8_S8_S8_S8_S8_EEEEZZNS1_29radix_sort_onesweep_iterationIS3_Lb0ENS6_6detail15normal_iteratorINS6_10device_ptrIjEEEESG_NSD_INSE_IS9_EEEESI_jNS0_19identity_decomposerENS1_16block_id_wrapperIjLb0EEEEE10hipError_tT1_PNSt15iterator_traitsISN_E10value_typeET2_T3_PNSO_IST_E10value_typeET4_T5_PSY_SZ_PNS1_23onesweep_lookback_stateEbbT6_jjT7_P12ihipStream_tbENKUlT_T0_SN_SS_E_clISG_SG_SI_SI_EEDaS16_S17_SN_SS_EUlS16_E_NS1_11comp_targetILNS1_3genE9ELNS1_11target_archE1100ELNS1_3gpuE3ELNS1_3repE0EEENS1_47radix_sort_onesweep_sort_config_static_selectorELNS0_4arch9wavefront6targetE0EEEvSN_.num_vgpr, 0
	.set _ZN7rocprim17ROCPRIM_400000_NS6detail17trampoline_kernelINS0_14default_configENS1_35radix_sort_onesweep_config_selectorIjN6thrust23THRUST_200600_302600_NS5tupleIffNS6_9null_typeES8_S8_S8_S8_S8_S8_S8_EEEEZZNS1_29radix_sort_onesweep_iterationIS3_Lb0ENS6_6detail15normal_iteratorINS6_10device_ptrIjEEEESG_NSD_INSE_IS9_EEEESI_jNS0_19identity_decomposerENS1_16block_id_wrapperIjLb0EEEEE10hipError_tT1_PNSt15iterator_traitsISN_E10value_typeET2_T3_PNSO_IST_E10value_typeET4_T5_PSY_SZ_PNS1_23onesweep_lookback_stateEbbT6_jjT7_P12ihipStream_tbENKUlT_T0_SN_SS_E_clISG_SG_SI_SI_EEDaS16_S17_SN_SS_EUlS16_E_NS1_11comp_targetILNS1_3genE9ELNS1_11target_archE1100ELNS1_3gpuE3ELNS1_3repE0EEENS1_47radix_sort_onesweep_sort_config_static_selectorELNS0_4arch9wavefront6targetE0EEEvSN_.num_agpr, 0
	.set _ZN7rocprim17ROCPRIM_400000_NS6detail17trampoline_kernelINS0_14default_configENS1_35radix_sort_onesweep_config_selectorIjN6thrust23THRUST_200600_302600_NS5tupleIffNS6_9null_typeES8_S8_S8_S8_S8_S8_S8_EEEEZZNS1_29radix_sort_onesweep_iterationIS3_Lb0ENS6_6detail15normal_iteratorINS6_10device_ptrIjEEEESG_NSD_INSE_IS9_EEEESI_jNS0_19identity_decomposerENS1_16block_id_wrapperIjLb0EEEEE10hipError_tT1_PNSt15iterator_traitsISN_E10value_typeET2_T3_PNSO_IST_E10value_typeET4_T5_PSY_SZ_PNS1_23onesweep_lookback_stateEbbT6_jjT7_P12ihipStream_tbENKUlT_T0_SN_SS_E_clISG_SG_SI_SI_EEDaS16_S17_SN_SS_EUlS16_E_NS1_11comp_targetILNS1_3genE9ELNS1_11target_archE1100ELNS1_3gpuE3ELNS1_3repE0EEENS1_47radix_sort_onesweep_sort_config_static_selectorELNS0_4arch9wavefront6targetE0EEEvSN_.numbered_sgpr, 0
	.set _ZN7rocprim17ROCPRIM_400000_NS6detail17trampoline_kernelINS0_14default_configENS1_35radix_sort_onesweep_config_selectorIjN6thrust23THRUST_200600_302600_NS5tupleIffNS6_9null_typeES8_S8_S8_S8_S8_S8_S8_EEEEZZNS1_29radix_sort_onesweep_iterationIS3_Lb0ENS6_6detail15normal_iteratorINS6_10device_ptrIjEEEESG_NSD_INSE_IS9_EEEESI_jNS0_19identity_decomposerENS1_16block_id_wrapperIjLb0EEEEE10hipError_tT1_PNSt15iterator_traitsISN_E10value_typeET2_T3_PNSO_IST_E10value_typeET4_T5_PSY_SZ_PNS1_23onesweep_lookback_stateEbbT6_jjT7_P12ihipStream_tbENKUlT_T0_SN_SS_E_clISG_SG_SI_SI_EEDaS16_S17_SN_SS_EUlS16_E_NS1_11comp_targetILNS1_3genE9ELNS1_11target_archE1100ELNS1_3gpuE3ELNS1_3repE0EEENS1_47radix_sort_onesweep_sort_config_static_selectorELNS0_4arch9wavefront6targetE0EEEvSN_.num_named_barrier, 0
	.set _ZN7rocprim17ROCPRIM_400000_NS6detail17trampoline_kernelINS0_14default_configENS1_35radix_sort_onesweep_config_selectorIjN6thrust23THRUST_200600_302600_NS5tupleIffNS6_9null_typeES8_S8_S8_S8_S8_S8_S8_EEEEZZNS1_29radix_sort_onesweep_iterationIS3_Lb0ENS6_6detail15normal_iteratorINS6_10device_ptrIjEEEESG_NSD_INSE_IS9_EEEESI_jNS0_19identity_decomposerENS1_16block_id_wrapperIjLb0EEEEE10hipError_tT1_PNSt15iterator_traitsISN_E10value_typeET2_T3_PNSO_IST_E10value_typeET4_T5_PSY_SZ_PNS1_23onesweep_lookback_stateEbbT6_jjT7_P12ihipStream_tbENKUlT_T0_SN_SS_E_clISG_SG_SI_SI_EEDaS16_S17_SN_SS_EUlS16_E_NS1_11comp_targetILNS1_3genE9ELNS1_11target_archE1100ELNS1_3gpuE3ELNS1_3repE0EEENS1_47radix_sort_onesweep_sort_config_static_selectorELNS0_4arch9wavefront6targetE0EEEvSN_.private_seg_size, 0
	.set _ZN7rocprim17ROCPRIM_400000_NS6detail17trampoline_kernelINS0_14default_configENS1_35radix_sort_onesweep_config_selectorIjN6thrust23THRUST_200600_302600_NS5tupleIffNS6_9null_typeES8_S8_S8_S8_S8_S8_S8_EEEEZZNS1_29radix_sort_onesweep_iterationIS3_Lb0ENS6_6detail15normal_iteratorINS6_10device_ptrIjEEEESG_NSD_INSE_IS9_EEEESI_jNS0_19identity_decomposerENS1_16block_id_wrapperIjLb0EEEEE10hipError_tT1_PNSt15iterator_traitsISN_E10value_typeET2_T3_PNSO_IST_E10value_typeET4_T5_PSY_SZ_PNS1_23onesweep_lookback_stateEbbT6_jjT7_P12ihipStream_tbENKUlT_T0_SN_SS_E_clISG_SG_SI_SI_EEDaS16_S17_SN_SS_EUlS16_E_NS1_11comp_targetILNS1_3genE9ELNS1_11target_archE1100ELNS1_3gpuE3ELNS1_3repE0EEENS1_47radix_sort_onesweep_sort_config_static_selectorELNS0_4arch9wavefront6targetE0EEEvSN_.uses_vcc, 0
	.set _ZN7rocprim17ROCPRIM_400000_NS6detail17trampoline_kernelINS0_14default_configENS1_35radix_sort_onesweep_config_selectorIjN6thrust23THRUST_200600_302600_NS5tupleIffNS6_9null_typeES8_S8_S8_S8_S8_S8_S8_EEEEZZNS1_29radix_sort_onesweep_iterationIS3_Lb0ENS6_6detail15normal_iteratorINS6_10device_ptrIjEEEESG_NSD_INSE_IS9_EEEESI_jNS0_19identity_decomposerENS1_16block_id_wrapperIjLb0EEEEE10hipError_tT1_PNSt15iterator_traitsISN_E10value_typeET2_T3_PNSO_IST_E10value_typeET4_T5_PSY_SZ_PNS1_23onesweep_lookback_stateEbbT6_jjT7_P12ihipStream_tbENKUlT_T0_SN_SS_E_clISG_SG_SI_SI_EEDaS16_S17_SN_SS_EUlS16_E_NS1_11comp_targetILNS1_3genE9ELNS1_11target_archE1100ELNS1_3gpuE3ELNS1_3repE0EEENS1_47radix_sort_onesweep_sort_config_static_selectorELNS0_4arch9wavefront6targetE0EEEvSN_.uses_flat_scratch, 0
	.set _ZN7rocprim17ROCPRIM_400000_NS6detail17trampoline_kernelINS0_14default_configENS1_35radix_sort_onesweep_config_selectorIjN6thrust23THRUST_200600_302600_NS5tupleIffNS6_9null_typeES8_S8_S8_S8_S8_S8_S8_EEEEZZNS1_29radix_sort_onesweep_iterationIS3_Lb0ENS6_6detail15normal_iteratorINS6_10device_ptrIjEEEESG_NSD_INSE_IS9_EEEESI_jNS0_19identity_decomposerENS1_16block_id_wrapperIjLb0EEEEE10hipError_tT1_PNSt15iterator_traitsISN_E10value_typeET2_T3_PNSO_IST_E10value_typeET4_T5_PSY_SZ_PNS1_23onesweep_lookback_stateEbbT6_jjT7_P12ihipStream_tbENKUlT_T0_SN_SS_E_clISG_SG_SI_SI_EEDaS16_S17_SN_SS_EUlS16_E_NS1_11comp_targetILNS1_3genE9ELNS1_11target_archE1100ELNS1_3gpuE3ELNS1_3repE0EEENS1_47radix_sort_onesweep_sort_config_static_selectorELNS0_4arch9wavefront6targetE0EEEvSN_.has_dyn_sized_stack, 0
	.set _ZN7rocprim17ROCPRIM_400000_NS6detail17trampoline_kernelINS0_14default_configENS1_35radix_sort_onesweep_config_selectorIjN6thrust23THRUST_200600_302600_NS5tupleIffNS6_9null_typeES8_S8_S8_S8_S8_S8_S8_EEEEZZNS1_29radix_sort_onesweep_iterationIS3_Lb0ENS6_6detail15normal_iteratorINS6_10device_ptrIjEEEESG_NSD_INSE_IS9_EEEESI_jNS0_19identity_decomposerENS1_16block_id_wrapperIjLb0EEEEE10hipError_tT1_PNSt15iterator_traitsISN_E10value_typeET2_T3_PNSO_IST_E10value_typeET4_T5_PSY_SZ_PNS1_23onesweep_lookback_stateEbbT6_jjT7_P12ihipStream_tbENKUlT_T0_SN_SS_E_clISG_SG_SI_SI_EEDaS16_S17_SN_SS_EUlS16_E_NS1_11comp_targetILNS1_3genE9ELNS1_11target_archE1100ELNS1_3gpuE3ELNS1_3repE0EEENS1_47radix_sort_onesweep_sort_config_static_selectorELNS0_4arch9wavefront6targetE0EEEvSN_.has_recursion, 0
	.set _ZN7rocprim17ROCPRIM_400000_NS6detail17trampoline_kernelINS0_14default_configENS1_35radix_sort_onesweep_config_selectorIjN6thrust23THRUST_200600_302600_NS5tupleIffNS6_9null_typeES8_S8_S8_S8_S8_S8_S8_EEEEZZNS1_29radix_sort_onesweep_iterationIS3_Lb0ENS6_6detail15normal_iteratorINS6_10device_ptrIjEEEESG_NSD_INSE_IS9_EEEESI_jNS0_19identity_decomposerENS1_16block_id_wrapperIjLb0EEEEE10hipError_tT1_PNSt15iterator_traitsISN_E10value_typeET2_T3_PNSO_IST_E10value_typeET4_T5_PSY_SZ_PNS1_23onesweep_lookback_stateEbbT6_jjT7_P12ihipStream_tbENKUlT_T0_SN_SS_E_clISG_SG_SI_SI_EEDaS16_S17_SN_SS_EUlS16_E_NS1_11comp_targetILNS1_3genE9ELNS1_11target_archE1100ELNS1_3gpuE3ELNS1_3repE0EEENS1_47radix_sort_onesweep_sort_config_static_selectorELNS0_4arch9wavefront6targetE0EEEvSN_.has_indirect_call, 0
	.section	.AMDGPU.csdata,"",@progbits
; Kernel info:
; codeLenInByte = 0
; TotalNumSgprs: 0
; NumVgprs: 0
; ScratchSize: 0
; MemoryBound: 0
; FloatMode: 240
; IeeeMode: 1
; LDSByteSize: 0 bytes/workgroup (compile time only)
; SGPRBlocks: 0
; VGPRBlocks: 0
; NumSGPRsForWavesPerEU: 1
; NumVGPRsForWavesPerEU: 1
; Occupancy: 16
; WaveLimiterHint : 0
; COMPUTE_PGM_RSRC2:SCRATCH_EN: 0
; COMPUTE_PGM_RSRC2:USER_SGPR: 2
; COMPUTE_PGM_RSRC2:TRAP_HANDLER: 0
; COMPUTE_PGM_RSRC2:TGID_X_EN: 1
; COMPUTE_PGM_RSRC2:TGID_Y_EN: 0
; COMPUTE_PGM_RSRC2:TGID_Z_EN: 0
; COMPUTE_PGM_RSRC2:TIDIG_COMP_CNT: 0
	.section	.text._ZN7rocprim17ROCPRIM_400000_NS6detail17trampoline_kernelINS0_14default_configENS1_35radix_sort_onesweep_config_selectorIjN6thrust23THRUST_200600_302600_NS5tupleIffNS6_9null_typeES8_S8_S8_S8_S8_S8_S8_EEEEZZNS1_29radix_sort_onesweep_iterationIS3_Lb0ENS6_6detail15normal_iteratorINS6_10device_ptrIjEEEESG_NSD_INSE_IS9_EEEESI_jNS0_19identity_decomposerENS1_16block_id_wrapperIjLb0EEEEE10hipError_tT1_PNSt15iterator_traitsISN_E10value_typeET2_T3_PNSO_IST_E10value_typeET4_T5_PSY_SZ_PNS1_23onesweep_lookback_stateEbbT6_jjT7_P12ihipStream_tbENKUlT_T0_SN_SS_E_clISG_SG_SI_SI_EEDaS16_S17_SN_SS_EUlS16_E_NS1_11comp_targetILNS1_3genE8ELNS1_11target_archE1030ELNS1_3gpuE2ELNS1_3repE0EEENS1_47radix_sort_onesweep_sort_config_static_selectorELNS0_4arch9wavefront6targetE0EEEvSN_,"axG",@progbits,_ZN7rocprim17ROCPRIM_400000_NS6detail17trampoline_kernelINS0_14default_configENS1_35radix_sort_onesweep_config_selectorIjN6thrust23THRUST_200600_302600_NS5tupleIffNS6_9null_typeES8_S8_S8_S8_S8_S8_S8_EEEEZZNS1_29radix_sort_onesweep_iterationIS3_Lb0ENS6_6detail15normal_iteratorINS6_10device_ptrIjEEEESG_NSD_INSE_IS9_EEEESI_jNS0_19identity_decomposerENS1_16block_id_wrapperIjLb0EEEEE10hipError_tT1_PNSt15iterator_traitsISN_E10value_typeET2_T3_PNSO_IST_E10value_typeET4_T5_PSY_SZ_PNS1_23onesweep_lookback_stateEbbT6_jjT7_P12ihipStream_tbENKUlT_T0_SN_SS_E_clISG_SG_SI_SI_EEDaS16_S17_SN_SS_EUlS16_E_NS1_11comp_targetILNS1_3genE8ELNS1_11target_archE1030ELNS1_3gpuE2ELNS1_3repE0EEENS1_47radix_sort_onesweep_sort_config_static_selectorELNS0_4arch9wavefront6targetE0EEEvSN_,comdat
	.protected	_ZN7rocprim17ROCPRIM_400000_NS6detail17trampoline_kernelINS0_14default_configENS1_35radix_sort_onesweep_config_selectorIjN6thrust23THRUST_200600_302600_NS5tupleIffNS6_9null_typeES8_S8_S8_S8_S8_S8_S8_EEEEZZNS1_29radix_sort_onesweep_iterationIS3_Lb0ENS6_6detail15normal_iteratorINS6_10device_ptrIjEEEESG_NSD_INSE_IS9_EEEESI_jNS0_19identity_decomposerENS1_16block_id_wrapperIjLb0EEEEE10hipError_tT1_PNSt15iterator_traitsISN_E10value_typeET2_T3_PNSO_IST_E10value_typeET4_T5_PSY_SZ_PNS1_23onesweep_lookback_stateEbbT6_jjT7_P12ihipStream_tbENKUlT_T0_SN_SS_E_clISG_SG_SI_SI_EEDaS16_S17_SN_SS_EUlS16_E_NS1_11comp_targetILNS1_3genE8ELNS1_11target_archE1030ELNS1_3gpuE2ELNS1_3repE0EEENS1_47radix_sort_onesweep_sort_config_static_selectorELNS0_4arch9wavefront6targetE0EEEvSN_ ; -- Begin function _ZN7rocprim17ROCPRIM_400000_NS6detail17trampoline_kernelINS0_14default_configENS1_35radix_sort_onesweep_config_selectorIjN6thrust23THRUST_200600_302600_NS5tupleIffNS6_9null_typeES8_S8_S8_S8_S8_S8_S8_EEEEZZNS1_29radix_sort_onesweep_iterationIS3_Lb0ENS6_6detail15normal_iteratorINS6_10device_ptrIjEEEESG_NSD_INSE_IS9_EEEESI_jNS0_19identity_decomposerENS1_16block_id_wrapperIjLb0EEEEE10hipError_tT1_PNSt15iterator_traitsISN_E10value_typeET2_T3_PNSO_IST_E10value_typeET4_T5_PSY_SZ_PNS1_23onesweep_lookback_stateEbbT6_jjT7_P12ihipStream_tbENKUlT_T0_SN_SS_E_clISG_SG_SI_SI_EEDaS16_S17_SN_SS_EUlS16_E_NS1_11comp_targetILNS1_3genE8ELNS1_11target_archE1030ELNS1_3gpuE2ELNS1_3repE0EEENS1_47radix_sort_onesweep_sort_config_static_selectorELNS0_4arch9wavefront6targetE0EEEvSN_
	.globl	_ZN7rocprim17ROCPRIM_400000_NS6detail17trampoline_kernelINS0_14default_configENS1_35radix_sort_onesweep_config_selectorIjN6thrust23THRUST_200600_302600_NS5tupleIffNS6_9null_typeES8_S8_S8_S8_S8_S8_S8_EEEEZZNS1_29radix_sort_onesweep_iterationIS3_Lb0ENS6_6detail15normal_iteratorINS6_10device_ptrIjEEEESG_NSD_INSE_IS9_EEEESI_jNS0_19identity_decomposerENS1_16block_id_wrapperIjLb0EEEEE10hipError_tT1_PNSt15iterator_traitsISN_E10value_typeET2_T3_PNSO_IST_E10value_typeET4_T5_PSY_SZ_PNS1_23onesweep_lookback_stateEbbT6_jjT7_P12ihipStream_tbENKUlT_T0_SN_SS_E_clISG_SG_SI_SI_EEDaS16_S17_SN_SS_EUlS16_E_NS1_11comp_targetILNS1_3genE8ELNS1_11target_archE1030ELNS1_3gpuE2ELNS1_3repE0EEENS1_47radix_sort_onesweep_sort_config_static_selectorELNS0_4arch9wavefront6targetE0EEEvSN_
	.p2align	8
	.type	_ZN7rocprim17ROCPRIM_400000_NS6detail17trampoline_kernelINS0_14default_configENS1_35radix_sort_onesweep_config_selectorIjN6thrust23THRUST_200600_302600_NS5tupleIffNS6_9null_typeES8_S8_S8_S8_S8_S8_S8_EEEEZZNS1_29radix_sort_onesweep_iterationIS3_Lb0ENS6_6detail15normal_iteratorINS6_10device_ptrIjEEEESG_NSD_INSE_IS9_EEEESI_jNS0_19identity_decomposerENS1_16block_id_wrapperIjLb0EEEEE10hipError_tT1_PNSt15iterator_traitsISN_E10value_typeET2_T3_PNSO_IST_E10value_typeET4_T5_PSY_SZ_PNS1_23onesweep_lookback_stateEbbT6_jjT7_P12ihipStream_tbENKUlT_T0_SN_SS_E_clISG_SG_SI_SI_EEDaS16_S17_SN_SS_EUlS16_E_NS1_11comp_targetILNS1_3genE8ELNS1_11target_archE1030ELNS1_3gpuE2ELNS1_3repE0EEENS1_47radix_sort_onesweep_sort_config_static_selectorELNS0_4arch9wavefront6targetE0EEEvSN_,@function
_ZN7rocprim17ROCPRIM_400000_NS6detail17trampoline_kernelINS0_14default_configENS1_35radix_sort_onesweep_config_selectorIjN6thrust23THRUST_200600_302600_NS5tupleIffNS6_9null_typeES8_S8_S8_S8_S8_S8_S8_EEEEZZNS1_29radix_sort_onesweep_iterationIS3_Lb0ENS6_6detail15normal_iteratorINS6_10device_ptrIjEEEESG_NSD_INSE_IS9_EEEESI_jNS0_19identity_decomposerENS1_16block_id_wrapperIjLb0EEEEE10hipError_tT1_PNSt15iterator_traitsISN_E10value_typeET2_T3_PNSO_IST_E10value_typeET4_T5_PSY_SZ_PNS1_23onesweep_lookback_stateEbbT6_jjT7_P12ihipStream_tbENKUlT_T0_SN_SS_E_clISG_SG_SI_SI_EEDaS16_S17_SN_SS_EUlS16_E_NS1_11comp_targetILNS1_3genE8ELNS1_11target_archE1030ELNS1_3gpuE2ELNS1_3repE0EEENS1_47radix_sort_onesweep_sort_config_static_selectorELNS0_4arch9wavefront6targetE0EEEvSN_: ; @_ZN7rocprim17ROCPRIM_400000_NS6detail17trampoline_kernelINS0_14default_configENS1_35radix_sort_onesweep_config_selectorIjN6thrust23THRUST_200600_302600_NS5tupleIffNS6_9null_typeES8_S8_S8_S8_S8_S8_S8_EEEEZZNS1_29radix_sort_onesweep_iterationIS3_Lb0ENS6_6detail15normal_iteratorINS6_10device_ptrIjEEEESG_NSD_INSE_IS9_EEEESI_jNS0_19identity_decomposerENS1_16block_id_wrapperIjLb0EEEEE10hipError_tT1_PNSt15iterator_traitsISN_E10value_typeET2_T3_PNSO_IST_E10value_typeET4_T5_PSY_SZ_PNS1_23onesweep_lookback_stateEbbT6_jjT7_P12ihipStream_tbENKUlT_T0_SN_SS_E_clISG_SG_SI_SI_EEDaS16_S17_SN_SS_EUlS16_E_NS1_11comp_targetILNS1_3genE8ELNS1_11target_archE1030ELNS1_3gpuE2ELNS1_3repE0EEENS1_47radix_sort_onesweep_sort_config_static_selectorELNS0_4arch9wavefront6targetE0EEEvSN_
; %bb.0:
	.section	.rodata,"a",@progbits
	.p2align	6, 0x0
	.amdhsa_kernel _ZN7rocprim17ROCPRIM_400000_NS6detail17trampoline_kernelINS0_14default_configENS1_35radix_sort_onesweep_config_selectorIjN6thrust23THRUST_200600_302600_NS5tupleIffNS6_9null_typeES8_S8_S8_S8_S8_S8_S8_EEEEZZNS1_29radix_sort_onesweep_iterationIS3_Lb0ENS6_6detail15normal_iteratorINS6_10device_ptrIjEEEESG_NSD_INSE_IS9_EEEESI_jNS0_19identity_decomposerENS1_16block_id_wrapperIjLb0EEEEE10hipError_tT1_PNSt15iterator_traitsISN_E10value_typeET2_T3_PNSO_IST_E10value_typeET4_T5_PSY_SZ_PNS1_23onesweep_lookback_stateEbbT6_jjT7_P12ihipStream_tbENKUlT_T0_SN_SS_E_clISG_SG_SI_SI_EEDaS16_S17_SN_SS_EUlS16_E_NS1_11comp_targetILNS1_3genE8ELNS1_11target_archE1030ELNS1_3gpuE2ELNS1_3repE0EEENS1_47radix_sort_onesweep_sort_config_static_selectorELNS0_4arch9wavefront6targetE0EEEvSN_
		.amdhsa_group_segment_fixed_size 0
		.amdhsa_private_segment_fixed_size 0
		.amdhsa_kernarg_size 88
		.amdhsa_user_sgpr_count 2
		.amdhsa_user_sgpr_dispatch_ptr 0
		.amdhsa_user_sgpr_queue_ptr 0
		.amdhsa_user_sgpr_kernarg_segment_ptr 1
		.amdhsa_user_sgpr_dispatch_id 0
		.amdhsa_user_sgpr_private_segment_size 0
		.amdhsa_wavefront_size32 1
		.amdhsa_uses_dynamic_stack 0
		.amdhsa_enable_private_segment 0
		.amdhsa_system_sgpr_workgroup_id_x 1
		.amdhsa_system_sgpr_workgroup_id_y 0
		.amdhsa_system_sgpr_workgroup_id_z 0
		.amdhsa_system_sgpr_workgroup_info 0
		.amdhsa_system_vgpr_workitem_id 0
		.amdhsa_next_free_vgpr 1
		.amdhsa_next_free_sgpr 1
		.amdhsa_reserve_vcc 0
		.amdhsa_float_round_mode_32 0
		.amdhsa_float_round_mode_16_64 0
		.amdhsa_float_denorm_mode_32 3
		.amdhsa_float_denorm_mode_16_64 3
		.amdhsa_fp16_overflow 0
		.amdhsa_workgroup_processor_mode 1
		.amdhsa_memory_ordered 1
		.amdhsa_forward_progress 1
		.amdhsa_inst_pref_size 0
		.amdhsa_round_robin_scheduling 0
		.amdhsa_exception_fp_ieee_invalid_op 0
		.amdhsa_exception_fp_denorm_src 0
		.amdhsa_exception_fp_ieee_div_zero 0
		.amdhsa_exception_fp_ieee_overflow 0
		.amdhsa_exception_fp_ieee_underflow 0
		.amdhsa_exception_fp_ieee_inexact 0
		.amdhsa_exception_int_div_zero 0
	.end_amdhsa_kernel
	.section	.text._ZN7rocprim17ROCPRIM_400000_NS6detail17trampoline_kernelINS0_14default_configENS1_35radix_sort_onesweep_config_selectorIjN6thrust23THRUST_200600_302600_NS5tupleIffNS6_9null_typeES8_S8_S8_S8_S8_S8_S8_EEEEZZNS1_29radix_sort_onesweep_iterationIS3_Lb0ENS6_6detail15normal_iteratorINS6_10device_ptrIjEEEESG_NSD_INSE_IS9_EEEESI_jNS0_19identity_decomposerENS1_16block_id_wrapperIjLb0EEEEE10hipError_tT1_PNSt15iterator_traitsISN_E10value_typeET2_T3_PNSO_IST_E10value_typeET4_T5_PSY_SZ_PNS1_23onesweep_lookback_stateEbbT6_jjT7_P12ihipStream_tbENKUlT_T0_SN_SS_E_clISG_SG_SI_SI_EEDaS16_S17_SN_SS_EUlS16_E_NS1_11comp_targetILNS1_3genE8ELNS1_11target_archE1030ELNS1_3gpuE2ELNS1_3repE0EEENS1_47radix_sort_onesweep_sort_config_static_selectorELNS0_4arch9wavefront6targetE0EEEvSN_,"axG",@progbits,_ZN7rocprim17ROCPRIM_400000_NS6detail17trampoline_kernelINS0_14default_configENS1_35radix_sort_onesweep_config_selectorIjN6thrust23THRUST_200600_302600_NS5tupleIffNS6_9null_typeES8_S8_S8_S8_S8_S8_S8_EEEEZZNS1_29radix_sort_onesweep_iterationIS3_Lb0ENS6_6detail15normal_iteratorINS6_10device_ptrIjEEEESG_NSD_INSE_IS9_EEEESI_jNS0_19identity_decomposerENS1_16block_id_wrapperIjLb0EEEEE10hipError_tT1_PNSt15iterator_traitsISN_E10value_typeET2_T3_PNSO_IST_E10value_typeET4_T5_PSY_SZ_PNS1_23onesweep_lookback_stateEbbT6_jjT7_P12ihipStream_tbENKUlT_T0_SN_SS_E_clISG_SG_SI_SI_EEDaS16_S17_SN_SS_EUlS16_E_NS1_11comp_targetILNS1_3genE8ELNS1_11target_archE1030ELNS1_3gpuE2ELNS1_3repE0EEENS1_47radix_sort_onesweep_sort_config_static_selectorELNS0_4arch9wavefront6targetE0EEEvSN_,comdat
.Lfunc_end210:
	.size	_ZN7rocprim17ROCPRIM_400000_NS6detail17trampoline_kernelINS0_14default_configENS1_35radix_sort_onesweep_config_selectorIjN6thrust23THRUST_200600_302600_NS5tupleIffNS6_9null_typeES8_S8_S8_S8_S8_S8_S8_EEEEZZNS1_29radix_sort_onesweep_iterationIS3_Lb0ENS6_6detail15normal_iteratorINS6_10device_ptrIjEEEESG_NSD_INSE_IS9_EEEESI_jNS0_19identity_decomposerENS1_16block_id_wrapperIjLb0EEEEE10hipError_tT1_PNSt15iterator_traitsISN_E10value_typeET2_T3_PNSO_IST_E10value_typeET4_T5_PSY_SZ_PNS1_23onesweep_lookback_stateEbbT6_jjT7_P12ihipStream_tbENKUlT_T0_SN_SS_E_clISG_SG_SI_SI_EEDaS16_S17_SN_SS_EUlS16_E_NS1_11comp_targetILNS1_3genE8ELNS1_11target_archE1030ELNS1_3gpuE2ELNS1_3repE0EEENS1_47radix_sort_onesweep_sort_config_static_selectorELNS0_4arch9wavefront6targetE0EEEvSN_, .Lfunc_end210-_ZN7rocprim17ROCPRIM_400000_NS6detail17trampoline_kernelINS0_14default_configENS1_35radix_sort_onesweep_config_selectorIjN6thrust23THRUST_200600_302600_NS5tupleIffNS6_9null_typeES8_S8_S8_S8_S8_S8_S8_EEEEZZNS1_29radix_sort_onesweep_iterationIS3_Lb0ENS6_6detail15normal_iteratorINS6_10device_ptrIjEEEESG_NSD_INSE_IS9_EEEESI_jNS0_19identity_decomposerENS1_16block_id_wrapperIjLb0EEEEE10hipError_tT1_PNSt15iterator_traitsISN_E10value_typeET2_T3_PNSO_IST_E10value_typeET4_T5_PSY_SZ_PNS1_23onesweep_lookback_stateEbbT6_jjT7_P12ihipStream_tbENKUlT_T0_SN_SS_E_clISG_SG_SI_SI_EEDaS16_S17_SN_SS_EUlS16_E_NS1_11comp_targetILNS1_3genE8ELNS1_11target_archE1030ELNS1_3gpuE2ELNS1_3repE0EEENS1_47radix_sort_onesweep_sort_config_static_selectorELNS0_4arch9wavefront6targetE0EEEvSN_
                                        ; -- End function
	.set _ZN7rocprim17ROCPRIM_400000_NS6detail17trampoline_kernelINS0_14default_configENS1_35radix_sort_onesweep_config_selectorIjN6thrust23THRUST_200600_302600_NS5tupleIffNS6_9null_typeES8_S8_S8_S8_S8_S8_S8_EEEEZZNS1_29radix_sort_onesweep_iterationIS3_Lb0ENS6_6detail15normal_iteratorINS6_10device_ptrIjEEEESG_NSD_INSE_IS9_EEEESI_jNS0_19identity_decomposerENS1_16block_id_wrapperIjLb0EEEEE10hipError_tT1_PNSt15iterator_traitsISN_E10value_typeET2_T3_PNSO_IST_E10value_typeET4_T5_PSY_SZ_PNS1_23onesweep_lookback_stateEbbT6_jjT7_P12ihipStream_tbENKUlT_T0_SN_SS_E_clISG_SG_SI_SI_EEDaS16_S17_SN_SS_EUlS16_E_NS1_11comp_targetILNS1_3genE8ELNS1_11target_archE1030ELNS1_3gpuE2ELNS1_3repE0EEENS1_47radix_sort_onesweep_sort_config_static_selectorELNS0_4arch9wavefront6targetE0EEEvSN_.num_vgpr, 0
	.set _ZN7rocprim17ROCPRIM_400000_NS6detail17trampoline_kernelINS0_14default_configENS1_35radix_sort_onesweep_config_selectorIjN6thrust23THRUST_200600_302600_NS5tupleIffNS6_9null_typeES8_S8_S8_S8_S8_S8_S8_EEEEZZNS1_29radix_sort_onesweep_iterationIS3_Lb0ENS6_6detail15normal_iteratorINS6_10device_ptrIjEEEESG_NSD_INSE_IS9_EEEESI_jNS0_19identity_decomposerENS1_16block_id_wrapperIjLb0EEEEE10hipError_tT1_PNSt15iterator_traitsISN_E10value_typeET2_T3_PNSO_IST_E10value_typeET4_T5_PSY_SZ_PNS1_23onesweep_lookback_stateEbbT6_jjT7_P12ihipStream_tbENKUlT_T0_SN_SS_E_clISG_SG_SI_SI_EEDaS16_S17_SN_SS_EUlS16_E_NS1_11comp_targetILNS1_3genE8ELNS1_11target_archE1030ELNS1_3gpuE2ELNS1_3repE0EEENS1_47radix_sort_onesweep_sort_config_static_selectorELNS0_4arch9wavefront6targetE0EEEvSN_.num_agpr, 0
	.set _ZN7rocprim17ROCPRIM_400000_NS6detail17trampoline_kernelINS0_14default_configENS1_35radix_sort_onesweep_config_selectorIjN6thrust23THRUST_200600_302600_NS5tupleIffNS6_9null_typeES8_S8_S8_S8_S8_S8_S8_EEEEZZNS1_29radix_sort_onesweep_iterationIS3_Lb0ENS6_6detail15normal_iteratorINS6_10device_ptrIjEEEESG_NSD_INSE_IS9_EEEESI_jNS0_19identity_decomposerENS1_16block_id_wrapperIjLb0EEEEE10hipError_tT1_PNSt15iterator_traitsISN_E10value_typeET2_T3_PNSO_IST_E10value_typeET4_T5_PSY_SZ_PNS1_23onesweep_lookback_stateEbbT6_jjT7_P12ihipStream_tbENKUlT_T0_SN_SS_E_clISG_SG_SI_SI_EEDaS16_S17_SN_SS_EUlS16_E_NS1_11comp_targetILNS1_3genE8ELNS1_11target_archE1030ELNS1_3gpuE2ELNS1_3repE0EEENS1_47radix_sort_onesweep_sort_config_static_selectorELNS0_4arch9wavefront6targetE0EEEvSN_.numbered_sgpr, 0
	.set _ZN7rocprim17ROCPRIM_400000_NS6detail17trampoline_kernelINS0_14default_configENS1_35radix_sort_onesweep_config_selectorIjN6thrust23THRUST_200600_302600_NS5tupleIffNS6_9null_typeES8_S8_S8_S8_S8_S8_S8_EEEEZZNS1_29radix_sort_onesweep_iterationIS3_Lb0ENS6_6detail15normal_iteratorINS6_10device_ptrIjEEEESG_NSD_INSE_IS9_EEEESI_jNS0_19identity_decomposerENS1_16block_id_wrapperIjLb0EEEEE10hipError_tT1_PNSt15iterator_traitsISN_E10value_typeET2_T3_PNSO_IST_E10value_typeET4_T5_PSY_SZ_PNS1_23onesweep_lookback_stateEbbT6_jjT7_P12ihipStream_tbENKUlT_T0_SN_SS_E_clISG_SG_SI_SI_EEDaS16_S17_SN_SS_EUlS16_E_NS1_11comp_targetILNS1_3genE8ELNS1_11target_archE1030ELNS1_3gpuE2ELNS1_3repE0EEENS1_47radix_sort_onesweep_sort_config_static_selectorELNS0_4arch9wavefront6targetE0EEEvSN_.num_named_barrier, 0
	.set _ZN7rocprim17ROCPRIM_400000_NS6detail17trampoline_kernelINS0_14default_configENS1_35radix_sort_onesweep_config_selectorIjN6thrust23THRUST_200600_302600_NS5tupleIffNS6_9null_typeES8_S8_S8_S8_S8_S8_S8_EEEEZZNS1_29radix_sort_onesweep_iterationIS3_Lb0ENS6_6detail15normal_iteratorINS6_10device_ptrIjEEEESG_NSD_INSE_IS9_EEEESI_jNS0_19identity_decomposerENS1_16block_id_wrapperIjLb0EEEEE10hipError_tT1_PNSt15iterator_traitsISN_E10value_typeET2_T3_PNSO_IST_E10value_typeET4_T5_PSY_SZ_PNS1_23onesweep_lookback_stateEbbT6_jjT7_P12ihipStream_tbENKUlT_T0_SN_SS_E_clISG_SG_SI_SI_EEDaS16_S17_SN_SS_EUlS16_E_NS1_11comp_targetILNS1_3genE8ELNS1_11target_archE1030ELNS1_3gpuE2ELNS1_3repE0EEENS1_47radix_sort_onesweep_sort_config_static_selectorELNS0_4arch9wavefront6targetE0EEEvSN_.private_seg_size, 0
	.set _ZN7rocprim17ROCPRIM_400000_NS6detail17trampoline_kernelINS0_14default_configENS1_35radix_sort_onesweep_config_selectorIjN6thrust23THRUST_200600_302600_NS5tupleIffNS6_9null_typeES8_S8_S8_S8_S8_S8_S8_EEEEZZNS1_29radix_sort_onesweep_iterationIS3_Lb0ENS6_6detail15normal_iteratorINS6_10device_ptrIjEEEESG_NSD_INSE_IS9_EEEESI_jNS0_19identity_decomposerENS1_16block_id_wrapperIjLb0EEEEE10hipError_tT1_PNSt15iterator_traitsISN_E10value_typeET2_T3_PNSO_IST_E10value_typeET4_T5_PSY_SZ_PNS1_23onesweep_lookback_stateEbbT6_jjT7_P12ihipStream_tbENKUlT_T0_SN_SS_E_clISG_SG_SI_SI_EEDaS16_S17_SN_SS_EUlS16_E_NS1_11comp_targetILNS1_3genE8ELNS1_11target_archE1030ELNS1_3gpuE2ELNS1_3repE0EEENS1_47radix_sort_onesweep_sort_config_static_selectorELNS0_4arch9wavefront6targetE0EEEvSN_.uses_vcc, 0
	.set _ZN7rocprim17ROCPRIM_400000_NS6detail17trampoline_kernelINS0_14default_configENS1_35radix_sort_onesweep_config_selectorIjN6thrust23THRUST_200600_302600_NS5tupleIffNS6_9null_typeES8_S8_S8_S8_S8_S8_S8_EEEEZZNS1_29radix_sort_onesweep_iterationIS3_Lb0ENS6_6detail15normal_iteratorINS6_10device_ptrIjEEEESG_NSD_INSE_IS9_EEEESI_jNS0_19identity_decomposerENS1_16block_id_wrapperIjLb0EEEEE10hipError_tT1_PNSt15iterator_traitsISN_E10value_typeET2_T3_PNSO_IST_E10value_typeET4_T5_PSY_SZ_PNS1_23onesweep_lookback_stateEbbT6_jjT7_P12ihipStream_tbENKUlT_T0_SN_SS_E_clISG_SG_SI_SI_EEDaS16_S17_SN_SS_EUlS16_E_NS1_11comp_targetILNS1_3genE8ELNS1_11target_archE1030ELNS1_3gpuE2ELNS1_3repE0EEENS1_47radix_sort_onesweep_sort_config_static_selectorELNS0_4arch9wavefront6targetE0EEEvSN_.uses_flat_scratch, 0
	.set _ZN7rocprim17ROCPRIM_400000_NS6detail17trampoline_kernelINS0_14default_configENS1_35radix_sort_onesweep_config_selectorIjN6thrust23THRUST_200600_302600_NS5tupleIffNS6_9null_typeES8_S8_S8_S8_S8_S8_S8_EEEEZZNS1_29radix_sort_onesweep_iterationIS3_Lb0ENS6_6detail15normal_iteratorINS6_10device_ptrIjEEEESG_NSD_INSE_IS9_EEEESI_jNS0_19identity_decomposerENS1_16block_id_wrapperIjLb0EEEEE10hipError_tT1_PNSt15iterator_traitsISN_E10value_typeET2_T3_PNSO_IST_E10value_typeET4_T5_PSY_SZ_PNS1_23onesweep_lookback_stateEbbT6_jjT7_P12ihipStream_tbENKUlT_T0_SN_SS_E_clISG_SG_SI_SI_EEDaS16_S17_SN_SS_EUlS16_E_NS1_11comp_targetILNS1_3genE8ELNS1_11target_archE1030ELNS1_3gpuE2ELNS1_3repE0EEENS1_47radix_sort_onesweep_sort_config_static_selectorELNS0_4arch9wavefront6targetE0EEEvSN_.has_dyn_sized_stack, 0
	.set _ZN7rocprim17ROCPRIM_400000_NS6detail17trampoline_kernelINS0_14default_configENS1_35radix_sort_onesweep_config_selectorIjN6thrust23THRUST_200600_302600_NS5tupleIffNS6_9null_typeES8_S8_S8_S8_S8_S8_S8_EEEEZZNS1_29radix_sort_onesweep_iterationIS3_Lb0ENS6_6detail15normal_iteratorINS6_10device_ptrIjEEEESG_NSD_INSE_IS9_EEEESI_jNS0_19identity_decomposerENS1_16block_id_wrapperIjLb0EEEEE10hipError_tT1_PNSt15iterator_traitsISN_E10value_typeET2_T3_PNSO_IST_E10value_typeET4_T5_PSY_SZ_PNS1_23onesweep_lookback_stateEbbT6_jjT7_P12ihipStream_tbENKUlT_T0_SN_SS_E_clISG_SG_SI_SI_EEDaS16_S17_SN_SS_EUlS16_E_NS1_11comp_targetILNS1_3genE8ELNS1_11target_archE1030ELNS1_3gpuE2ELNS1_3repE0EEENS1_47radix_sort_onesweep_sort_config_static_selectorELNS0_4arch9wavefront6targetE0EEEvSN_.has_recursion, 0
	.set _ZN7rocprim17ROCPRIM_400000_NS6detail17trampoline_kernelINS0_14default_configENS1_35radix_sort_onesweep_config_selectorIjN6thrust23THRUST_200600_302600_NS5tupleIffNS6_9null_typeES8_S8_S8_S8_S8_S8_S8_EEEEZZNS1_29radix_sort_onesweep_iterationIS3_Lb0ENS6_6detail15normal_iteratorINS6_10device_ptrIjEEEESG_NSD_INSE_IS9_EEEESI_jNS0_19identity_decomposerENS1_16block_id_wrapperIjLb0EEEEE10hipError_tT1_PNSt15iterator_traitsISN_E10value_typeET2_T3_PNSO_IST_E10value_typeET4_T5_PSY_SZ_PNS1_23onesweep_lookback_stateEbbT6_jjT7_P12ihipStream_tbENKUlT_T0_SN_SS_E_clISG_SG_SI_SI_EEDaS16_S17_SN_SS_EUlS16_E_NS1_11comp_targetILNS1_3genE8ELNS1_11target_archE1030ELNS1_3gpuE2ELNS1_3repE0EEENS1_47radix_sort_onesweep_sort_config_static_selectorELNS0_4arch9wavefront6targetE0EEEvSN_.has_indirect_call, 0
	.section	.AMDGPU.csdata,"",@progbits
; Kernel info:
; codeLenInByte = 0
; TotalNumSgprs: 0
; NumVgprs: 0
; ScratchSize: 0
; MemoryBound: 0
; FloatMode: 240
; IeeeMode: 1
; LDSByteSize: 0 bytes/workgroup (compile time only)
; SGPRBlocks: 0
; VGPRBlocks: 0
; NumSGPRsForWavesPerEU: 1
; NumVGPRsForWavesPerEU: 1
; Occupancy: 16
; WaveLimiterHint : 0
; COMPUTE_PGM_RSRC2:SCRATCH_EN: 0
; COMPUTE_PGM_RSRC2:USER_SGPR: 2
; COMPUTE_PGM_RSRC2:TRAP_HANDLER: 0
; COMPUTE_PGM_RSRC2:TGID_X_EN: 1
; COMPUTE_PGM_RSRC2:TGID_Y_EN: 0
; COMPUTE_PGM_RSRC2:TGID_Z_EN: 0
; COMPUTE_PGM_RSRC2:TIDIG_COMP_CNT: 0
	.section	.text._ZN7rocprim17ROCPRIM_400000_NS6detail17trampoline_kernelINS0_14default_configENS1_35radix_sort_onesweep_config_selectorIjN6thrust23THRUST_200600_302600_NS5tupleIffNS6_9null_typeES8_S8_S8_S8_S8_S8_S8_EEEEZZNS1_29radix_sort_onesweep_iterationIS3_Lb0ENS6_6detail15normal_iteratorINS6_10device_ptrIjEEEESG_NSD_INSE_IS9_EEEESI_jNS0_19identity_decomposerENS1_16block_id_wrapperIjLb0EEEEE10hipError_tT1_PNSt15iterator_traitsISN_E10value_typeET2_T3_PNSO_IST_E10value_typeET4_T5_PSY_SZ_PNS1_23onesweep_lookback_stateEbbT6_jjT7_P12ihipStream_tbENKUlT_T0_SN_SS_E_clISG_PjSI_PS9_EEDaS16_S17_SN_SS_EUlS16_E_NS1_11comp_targetILNS1_3genE0ELNS1_11target_archE4294967295ELNS1_3gpuE0ELNS1_3repE0EEENS1_47radix_sort_onesweep_sort_config_static_selectorELNS0_4arch9wavefront6targetE0EEEvSN_,"axG",@progbits,_ZN7rocprim17ROCPRIM_400000_NS6detail17trampoline_kernelINS0_14default_configENS1_35radix_sort_onesweep_config_selectorIjN6thrust23THRUST_200600_302600_NS5tupleIffNS6_9null_typeES8_S8_S8_S8_S8_S8_S8_EEEEZZNS1_29radix_sort_onesweep_iterationIS3_Lb0ENS6_6detail15normal_iteratorINS6_10device_ptrIjEEEESG_NSD_INSE_IS9_EEEESI_jNS0_19identity_decomposerENS1_16block_id_wrapperIjLb0EEEEE10hipError_tT1_PNSt15iterator_traitsISN_E10value_typeET2_T3_PNSO_IST_E10value_typeET4_T5_PSY_SZ_PNS1_23onesweep_lookback_stateEbbT6_jjT7_P12ihipStream_tbENKUlT_T0_SN_SS_E_clISG_PjSI_PS9_EEDaS16_S17_SN_SS_EUlS16_E_NS1_11comp_targetILNS1_3genE0ELNS1_11target_archE4294967295ELNS1_3gpuE0ELNS1_3repE0EEENS1_47radix_sort_onesweep_sort_config_static_selectorELNS0_4arch9wavefront6targetE0EEEvSN_,comdat
	.protected	_ZN7rocprim17ROCPRIM_400000_NS6detail17trampoline_kernelINS0_14default_configENS1_35radix_sort_onesweep_config_selectorIjN6thrust23THRUST_200600_302600_NS5tupleIffNS6_9null_typeES8_S8_S8_S8_S8_S8_S8_EEEEZZNS1_29radix_sort_onesweep_iterationIS3_Lb0ENS6_6detail15normal_iteratorINS6_10device_ptrIjEEEESG_NSD_INSE_IS9_EEEESI_jNS0_19identity_decomposerENS1_16block_id_wrapperIjLb0EEEEE10hipError_tT1_PNSt15iterator_traitsISN_E10value_typeET2_T3_PNSO_IST_E10value_typeET4_T5_PSY_SZ_PNS1_23onesweep_lookback_stateEbbT6_jjT7_P12ihipStream_tbENKUlT_T0_SN_SS_E_clISG_PjSI_PS9_EEDaS16_S17_SN_SS_EUlS16_E_NS1_11comp_targetILNS1_3genE0ELNS1_11target_archE4294967295ELNS1_3gpuE0ELNS1_3repE0EEENS1_47radix_sort_onesweep_sort_config_static_selectorELNS0_4arch9wavefront6targetE0EEEvSN_ ; -- Begin function _ZN7rocprim17ROCPRIM_400000_NS6detail17trampoline_kernelINS0_14default_configENS1_35radix_sort_onesweep_config_selectorIjN6thrust23THRUST_200600_302600_NS5tupleIffNS6_9null_typeES8_S8_S8_S8_S8_S8_S8_EEEEZZNS1_29radix_sort_onesweep_iterationIS3_Lb0ENS6_6detail15normal_iteratorINS6_10device_ptrIjEEEESG_NSD_INSE_IS9_EEEESI_jNS0_19identity_decomposerENS1_16block_id_wrapperIjLb0EEEEE10hipError_tT1_PNSt15iterator_traitsISN_E10value_typeET2_T3_PNSO_IST_E10value_typeET4_T5_PSY_SZ_PNS1_23onesweep_lookback_stateEbbT6_jjT7_P12ihipStream_tbENKUlT_T0_SN_SS_E_clISG_PjSI_PS9_EEDaS16_S17_SN_SS_EUlS16_E_NS1_11comp_targetILNS1_3genE0ELNS1_11target_archE4294967295ELNS1_3gpuE0ELNS1_3repE0EEENS1_47radix_sort_onesweep_sort_config_static_selectorELNS0_4arch9wavefront6targetE0EEEvSN_
	.globl	_ZN7rocprim17ROCPRIM_400000_NS6detail17trampoline_kernelINS0_14default_configENS1_35radix_sort_onesweep_config_selectorIjN6thrust23THRUST_200600_302600_NS5tupleIffNS6_9null_typeES8_S8_S8_S8_S8_S8_S8_EEEEZZNS1_29radix_sort_onesweep_iterationIS3_Lb0ENS6_6detail15normal_iteratorINS6_10device_ptrIjEEEESG_NSD_INSE_IS9_EEEESI_jNS0_19identity_decomposerENS1_16block_id_wrapperIjLb0EEEEE10hipError_tT1_PNSt15iterator_traitsISN_E10value_typeET2_T3_PNSO_IST_E10value_typeET4_T5_PSY_SZ_PNS1_23onesweep_lookback_stateEbbT6_jjT7_P12ihipStream_tbENKUlT_T0_SN_SS_E_clISG_PjSI_PS9_EEDaS16_S17_SN_SS_EUlS16_E_NS1_11comp_targetILNS1_3genE0ELNS1_11target_archE4294967295ELNS1_3gpuE0ELNS1_3repE0EEENS1_47radix_sort_onesweep_sort_config_static_selectorELNS0_4arch9wavefront6targetE0EEEvSN_
	.p2align	8
	.type	_ZN7rocprim17ROCPRIM_400000_NS6detail17trampoline_kernelINS0_14default_configENS1_35radix_sort_onesweep_config_selectorIjN6thrust23THRUST_200600_302600_NS5tupleIffNS6_9null_typeES8_S8_S8_S8_S8_S8_S8_EEEEZZNS1_29radix_sort_onesweep_iterationIS3_Lb0ENS6_6detail15normal_iteratorINS6_10device_ptrIjEEEESG_NSD_INSE_IS9_EEEESI_jNS0_19identity_decomposerENS1_16block_id_wrapperIjLb0EEEEE10hipError_tT1_PNSt15iterator_traitsISN_E10value_typeET2_T3_PNSO_IST_E10value_typeET4_T5_PSY_SZ_PNS1_23onesweep_lookback_stateEbbT6_jjT7_P12ihipStream_tbENKUlT_T0_SN_SS_E_clISG_PjSI_PS9_EEDaS16_S17_SN_SS_EUlS16_E_NS1_11comp_targetILNS1_3genE0ELNS1_11target_archE4294967295ELNS1_3gpuE0ELNS1_3repE0EEENS1_47radix_sort_onesweep_sort_config_static_selectorELNS0_4arch9wavefront6targetE0EEEvSN_,@function
_ZN7rocprim17ROCPRIM_400000_NS6detail17trampoline_kernelINS0_14default_configENS1_35radix_sort_onesweep_config_selectorIjN6thrust23THRUST_200600_302600_NS5tupleIffNS6_9null_typeES8_S8_S8_S8_S8_S8_S8_EEEEZZNS1_29radix_sort_onesweep_iterationIS3_Lb0ENS6_6detail15normal_iteratorINS6_10device_ptrIjEEEESG_NSD_INSE_IS9_EEEESI_jNS0_19identity_decomposerENS1_16block_id_wrapperIjLb0EEEEE10hipError_tT1_PNSt15iterator_traitsISN_E10value_typeET2_T3_PNSO_IST_E10value_typeET4_T5_PSY_SZ_PNS1_23onesweep_lookback_stateEbbT6_jjT7_P12ihipStream_tbENKUlT_T0_SN_SS_E_clISG_PjSI_PS9_EEDaS16_S17_SN_SS_EUlS16_E_NS1_11comp_targetILNS1_3genE0ELNS1_11target_archE4294967295ELNS1_3gpuE0ELNS1_3repE0EEENS1_47radix_sort_onesweep_sort_config_static_selectorELNS0_4arch9wavefront6targetE0EEEvSN_: ; @_ZN7rocprim17ROCPRIM_400000_NS6detail17trampoline_kernelINS0_14default_configENS1_35radix_sort_onesweep_config_selectorIjN6thrust23THRUST_200600_302600_NS5tupleIffNS6_9null_typeES8_S8_S8_S8_S8_S8_S8_EEEEZZNS1_29radix_sort_onesweep_iterationIS3_Lb0ENS6_6detail15normal_iteratorINS6_10device_ptrIjEEEESG_NSD_INSE_IS9_EEEESI_jNS0_19identity_decomposerENS1_16block_id_wrapperIjLb0EEEEE10hipError_tT1_PNSt15iterator_traitsISN_E10value_typeET2_T3_PNSO_IST_E10value_typeET4_T5_PSY_SZ_PNS1_23onesweep_lookback_stateEbbT6_jjT7_P12ihipStream_tbENKUlT_T0_SN_SS_E_clISG_PjSI_PS9_EEDaS16_S17_SN_SS_EUlS16_E_NS1_11comp_targetILNS1_3genE0ELNS1_11target_archE4294967295ELNS1_3gpuE0ELNS1_3repE0EEENS1_47radix_sort_onesweep_sort_config_static_selectorELNS0_4arch9wavefront6targetE0EEEvSN_
; %bb.0:
	.section	.rodata,"a",@progbits
	.p2align	6, 0x0
	.amdhsa_kernel _ZN7rocprim17ROCPRIM_400000_NS6detail17trampoline_kernelINS0_14default_configENS1_35radix_sort_onesweep_config_selectorIjN6thrust23THRUST_200600_302600_NS5tupleIffNS6_9null_typeES8_S8_S8_S8_S8_S8_S8_EEEEZZNS1_29radix_sort_onesweep_iterationIS3_Lb0ENS6_6detail15normal_iteratorINS6_10device_ptrIjEEEESG_NSD_INSE_IS9_EEEESI_jNS0_19identity_decomposerENS1_16block_id_wrapperIjLb0EEEEE10hipError_tT1_PNSt15iterator_traitsISN_E10value_typeET2_T3_PNSO_IST_E10value_typeET4_T5_PSY_SZ_PNS1_23onesweep_lookback_stateEbbT6_jjT7_P12ihipStream_tbENKUlT_T0_SN_SS_E_clISG_PjSI_PS9_EEDaS16_S17_SN_SS_EUlS16_E_NS1_11comp_targetILNS1_3genE0ELNS1_11target_archE4294967295ELNS1_3gpuE0ELNS1_3repE0EEENS1_47radix_sort_onesweep_sort_config_static_selectorELNS0_4arch9wavefront6targetE0EEEvSN_
		.amdhsa_group_segment_fixed_size 0
		.amdhsa_private_segment_fixed_size 0
		.amdhsa_kernarg_size 88
		.amdhsa_user_sgpr_count 2
		.amdhsa_user_sgpr_dispatch_ptr 0
		.amdhsa_user_sgpr_queue_ptr 0
		.amdhsa_user_sgpr_kernarg_segment_ptr 1
		.amdhsa_user_sgpr_dispatch_id 0
		.amdhsa_user_sgpr_private_segment_size 0
		.amdhsa_wavefront_size32 1
		.amdhsa_uses_dynamic_stack 0
		.amdhsa_enable_private_segment 0
		.amdhsa_system_sgpr_workgroup_id_x 1
		.amdhsa_system_sgpr_workgroup_id_y 0
		.amdhsa_system_sgpr_workgroup_id_z 0
		.amdhsa_system_sgpr_workgroup_info 0
		.amdhsa_system_vgpr_workitem_id 0
		.amdhsa_next_free_vgpr 1
		.amdhsa_next_free_sgpr 1
		.amdhsa_reserve_vcc 0
		.amdhsa_float_round_mode_32 0
		.amdhsa_float_round_mode_16_64 0
		.amdhsa_float_denorm_mode_32 3
		.amdhsa_float_denorm_mode_16_64 3
		.amdhsa_fp16_overflow 0
		.amdhsa_workgroup_processor_mode 1
		.amdhsa_memory_ordered 1
		.amdhsa_forward_progress 1
		.amdhsa_inst_pref_size 0
		.amdhsa_round_robin_scheduling 0
		.amdhsa_exception_fp_ieee_invalid_op 0
		.amdhsa_exception_fp_denorm_src 0
		.amdhsa_exception_fp_ieee_div_zero 0
		.amdhsa_exception_fp_ieee_overflow 0
		.amdhsa_exception_fp_ieee_underflow 0
		.amdhsa_exception_fp_ieee_inexact 0
		.amdhsa_exception_int_div_zero 0
	.end_amdhsa_kernel
	.section	.text._ZN7rocprim17ROCPRIM_400000_NS6detail17trampoline_kernelINS0_14default_configENS1_35radix_sort_onesweep_config_selectorIjN6thrust23THRUST_200600_302600_NS5tupleIffNS6_9null_typeES8_S8_S8_S8_S8_S8_S8_EEEEZZNS1_29radix_sort_onesweep_iterationIS3_Lb0ENS6_6detail15normal_iteratorINS6_10device_ptrIjEEEESG_NSD_INSE_IS9_EEEESI_jNS0_19identity_decomposerENS1_16block_id_wrapperIjLb0EEEEE10hipError_tT1_PNSt15iterator_traitsISN_E10value_typeET2_T3_PNSO_IST_E10value_typeET4_T5_PSY_SZ_PNS1_23onesweep_lookback_stateEbbT6_jjT7_P12ihipStream_tbENKUlT_T0_SN_SS_E_clISG_PjSI_PS9_EEDaS16_S17_SN_SS_EUlS16_E_NS1_11comp_targetILNS1_3genE0ELNS1_11target_archE4294967295ELNS1_3gpuE0ELNS1_3repE0EEENS1_47radix_sort_onesweep_sort_config_static_selectorELNS0_4arch9wavefront6targetE0EEEvSN_,"axG",@progbits,_ZN7rocprim17ROCPRIM_400000_NS6detail17trampoline_kernelINS0_14default_configENS1_35radix_sort_onesweep_config_selectorIjN6thrust23THRUST_200600_302600_NS5tupleIffNS6_9null_typeES8_S8_S8_S8_S8_S8_S8_EEEEZZNS1_29radix_sort_onesweep_iterationIS3_Lb0ENS6_6detail15normal_iteratorINS6_10device_ptrIjEEEESG_NSD_INSE_IS9_EEEESI_jNS0_19identity_decomposerENS1_16block_id_wrapperIjLb0EEEEE10hipError_tT1_PNSt15iterator_traitsISN_E10value_typeET2_T3_PNSO_IST_E10value_typeET4_T5_PSY_SZ_PNS1_23onesweep_lookback_stateEbbT6_jjT7_P12ihipStream_tbENKUlT_T0_SN_SS_E_clISG_PjSI_PS9_EEDaS16_S17_SN_SS_EUlS16_E_NS1_11comp_targetILNS1_3genE0ELNS1_11target_archE4294967295ELNS1_3gpuE0ELNS1_3repE0EEENS1_47radix_sort_onesweep_sort_config_static_selectorELNS0_4arch9wavefront6targetE0EEEvSN_,comdat
.Lfunc_end211:
	.size	_ZN7rocprim17ROCPRIM_400000_NS6detail17trampoline_kernelINS0_14default_configENS1_35radix_sort_onesweep_config_selectorIjN6thrust23THRUST_200600_302600_NS5tupleIffNS6_9null_typeES8_S8_S8_S8_S8_S8_S8_EEEEZZNS1_29radix_sort_onesweep_iterationIS3_Lb0ENS6_6detail15normal_iteratorINS6_10device_ptrIjEEEESG_NSD_INSE_IS9_EEEESI_jNS0_19identity_decomposerENS1_16block_id_wrapperIjLb0EEEEE10hipError_tT1_PNSt15iterator_traitsISN_E10value_typeET2_T3_PNSO_IST_E10value_typeET4_T5_PSY_SZ_PNS1_23onesweep_lookback_stateEbbT6_jjT7_P12ihipStream_tbENKUlT_T0_SN_SS_E_clISG_PjSI_PS9_EEDaS16_S17_SN_SS_EUlS16_E_NS1_11comp_targetILNS1_3genE0ELNS1_11target_archE4294967295ELNS1_3gpuE0ELNS1_3repE0EEENS1_47radix_sort_onesweep_sort_config_static_selectorELNS0_4arch9wavefront6targetE0EEEvSN_, .Lfunc_end211-_ZN7rocprim17ROCPRIM_400000_NS6detail17trampoline_kernelINS0_14default_configENS1_35radix_sort_onesweep_config_selectorIjN6thrust23THRUST_200600_302600_NS5tupleIffNS6_9null_typeES8_S8_S8_S8_S8_S8_S8_EEEEZZNS1_29radix_sort_onesweep_iterationIS3_Lb0ENS6_6detail15normal_iteratorINS6_10device_ptrIjEEEESG_NSD_INSE_IS9_EEEESI_jNS0_19identity_decomposerENS1_16block_id_wrapperIjLb0EEEEE10hipError_tT1_PNSt15iterator_traitsISN_E10value_typeET2_T3_PNSO_IST_E10value_typeET4_T5_PSY_SZ_PNS1_23onesweep_lookback_stateEbbT6_jjT7_P12ihipStream_tbENKUlT_T0_SN_SS_E_clISG_PjSI_PS9_EEDaS16_S17_SN_SS_EUlS16_E_NS1_11comp_targetILNS1_3genE0ELNS1_11target_archE4294967295ELNS1_3gpuE0ELNS1_3repE0EEENS1_47radix_sort_onesweep_sort_config_static_selectorELNS0_4arch9wavefront6targetE0EEEvSN_
                                        ; -- End function
	.set _ZN7rocprim17ROCPRIM_400000_NS6detail17trampoline_kernelINS0_14default_configENS1_35radix_sort_onesweep_config_selectorIjN6thrust23THRUST_200600_302600_NS5tupleIffNS6_9null_typeES8_S8_S8_S8_S8_S8_S8_EEEEZZNS1_29radix_sort_onesweep_iterationIS3_Lb0ENS6_6detail15normal_iteratorINS6_10device_ptrIjEEEESG_NSD_INSE_IS9_EEEESI_jNS0_19identity_decomposerENS1_16block_id_wrapperIjLb0EEEEE10hipError_tT1_PNSt15iterator_traitsISN_E10value_typeET2_T3_PNSO_IST_E10value_typeET4_T5_PSY_SZ_PNS1_23onesweep_lookback_stateEbbT6_jjT7_P12ihipStream_tbENKUlT_T0_SN_SS_E_clISG_PjSI_PS9_EEDaS16_S17_SN_SS_EUlS16_E_NS1_11comp_targetILNS1_3genE0ELNS1_11target_archE4294967295ELNS1_3gpuE0ELNS1_3repE0EEENS1_47radix_sort_onesweep_sort_config_static_selectorELNS0_4arch9wavefront6targetE0EEEvSN_.num_vgpr, 0
	.set _ZN7rocprim17ROCPRIM_400000_NS6detail17trampoline_kernelINS0_14default_configENS1_35radix_sort_onesweep_config_selectorIjN6thrust23THRUST_200600_302600_NS5tupleIffNS6_9null_typeES8_S8_S8_S8_S8_S8_S8_EEEEZZNS1_29radix_sort_onesweep_iterationIS3_Lb0ENS6_6detail15normal_iteratorINS6_10device_ptrIjEEEESG_NSD_INSE_IS9_EEEESI_jNS0_19identity_decomposerENS1_16block_id_wrapperIjLb0EEEEE10hipError_tT1_PNSt15iterator_traitsISN_E10value_typeET2_T3_PNSO_IST_E10value_typeET4_T5_PSY_SZ_PNS1_23onesweep_lookback_stateEbbT6_jjT7_P12ihipStream_tbENKUlT_T0_SN_SS_E_clISG_PjSI_PS9_EEDaS16_S17_SN_SS_EUlS16_E_NS1_11comp_targetILNS1_3genE0ELNS1_11target_archE4294967295ELNS1_3gpuE0ELNS1_3repE0EEENS1_47radix_sort_onesweep_sort_config_static_selectorELNS0_4arch9wavefront6targetE0EEEvSN_.num_agpr, 0
	.set _ZN7rocprim17ROCPRIM_400000_NS6detail17trampoline_kernelINS0_14default_configENS1_35radix_sort_onesweep_config_selectorIjN6thrust23THRUST_200600_302600_NS5tupleIffNS6_9null_typeES8_S8_S8_S8_S8_S8_S8_EEEEZZNS1_29radix_sort_onesweep_iterationIS3_Lb0ENS6_6detail15normal_iteratorINS6_10device_ptrIjEEEESG_NSD_INSE_IS9_EEEESI_jNS0_19identity_decomposerENS1_16block_id_wrapperIjLb0EEEEE10hipError_tT1_PNSt15iterator_traitsISN_E10value_typeET2_T3_PNSO_IST_E10value_typeET4_T5_PSY_SZ_PNS1_23onesweep_lookback_stateEbbT6_jjT7_P12ihipStream_tbENKUlT_T0_SN_SS_E_clISG_PjSI_PS9_EEDaS16_S17_SN_SS_EUlS16_E_NS1_11comp_targetILNS1_3genE0ELNS1_11target_archE4294967295ELNS1_3gpuE0ELNS1_3repE0EEENS1_47radix_sort_onesweep_sort_config_static_selectorELNS0_4arch9wavefront6targetE0EEEvSN_.numbered_sgpr, 0
	.set _ZN7rocprim17ROCPRIM_400000_NS6detail17trampoline_kernelINS0_14default_configENS1_35radix_sort_onesweep_config_selectorIjN6thrust23THRUST_200600_302600_NS5tupleIffNS6_9null_typeES8_S8_S8_S8_S8_S8_S8_EEEEZZNS1_29radix_sort_onesweep_iterationIS3_Lb0ENS6_6detail15normal_iteratorINS6_10device_ptrIjEEEESG_NSD_INSE_IS9_EEEESI_jNS0_19identity_decomposerENS1_16block_id_wrapperIjLb0EEEEE10hipError_tT1_PNSt15iterator_traitsISN_E10value_typeET2_T3_PNSO_IST_E10value_typeET4_T5_PSY_SZ_PNS1_23onesweep_lookback_stateEbbT6_jjT7_P12ihipStream_tbENKUlT_T0_SN_SS_E_clISG_PjSI_PS9_EEDaS16_S17_SN_SS_EUlS16_E_NS1_11comp_targetILNS1_3genE0ELNS1_11target_archE4294967295ELNS1_3gpuE0ELNS1_3repE0EEENS1_47radix_sort_onesweep_sort_config_static_selectorELNS0_4arch9wavefront6targetE0EEEvSN_.num_named_barrier, 0
	.set _ZN7rocprim17ROCPRIM_400000_NS6detail17trampoline_kernelINS0_14default_configENS1_35radix_sort_onesweep_config_selectorIjN6thrust23THRUST_200600_302600_NS5tupleIffNS6_9null_typeES8_S8_S8_S8_S8_S8_S8_EEEEZZNS1_29radix_sort_onesweep_iterationIS3_Lb0ENS6_6detail15normal_iteratorINS6_10device_ptrIjEEEESG_NSD_INSE_IS9_EEEESI_jNS0_19identity_decomposerENS1_16block_id_wrapperIjLb0EEEEE10hipError_tT1_PNSt15iterator_traitsISN_E10value_typeET2_T3_PNSO_IST_E10value_typeET4_T5_PSY_SZ_PNS1_23onesweep_lookback_stateEbbT6_jjT7_P12ihipStream_tbENKUlT_T0_SN_SS_E_clISG_PjSI_PS9_EEDaS16_S17_SN_SS_EUlS16_E_NS1_11comp_targetILNS1_3genE0ELNS1_11target_archE4294967295ELNS1_3gpuE0ELNS1_3repE0EEENS1_47radix_sort_onesweep_sort_config_static_selectorELNS0_4arch9wavefront6targetE0EEEvSN_.private_seg_size, 0
	.set _ZN7rocprim17ROCPRIM_400000_NS6detail17trampoline_kernelINS0_14default_configENS1_35radix_sort_onesweep_config_selectorIjN6thrust23THRUST_200600_302600_NS5tupleIffNS6_9null_typeES8_S8_S8_S8_S8_S8_S8_EEEEZZNS1_29radix_sort_onesweep_iterationIS3_Lb0ENS6_6detail15normal_iteratorINS6_10device_ptrIjEEEESG_NSD_INSE_IS9_EEEESI_jNS0_19identity_decomposerENS1_16block_id_wrapperIjLb0EEEEE10hipError_tT1_PNSt15iterator_traitsISN_E10value_typeET2_T3_PNSO_IST_E10value_typeET4_T5_PSY_SZ_PNS1_23onesweep_lookback_stateEbbT6_jjT7_P12ihipStream_tbENKUlT_T0_SN_SS_E_clISG_PjSI_PS9_EEDaS16_S17_SN_SS_EUlS16_E_NS1_11comp_targetILNS1_3genE0ELNS1_11target_archE4294967295ELNS1_3gpuE0ELNS1_3repE0EEENS1_47radix_sort_onesweep_sort_config_static_selectorELNS0_4arch9wavefront6targetE0EEEvSN_.uses_vcc, 0
	.set _ZN7rocprim17ROCPRIM_400000_NS6detail17trampoline_kernelINS0_14default_configENS1_35radix_sort_onesweep_config_selectorIjN6thrust23THRUST_200600_302600_NS5tupleIffNS6_9null_typeES8_S8_S8_S8_S8_S8_S8_EEEEZZNS1_29radix_sort_onesweep_iterationIS3_Lb0ENS6_6detail15normal_iteratorINS6_10device_ptrIjEEEESG_NSD_INSE_IS9_EEEESI_jNS0_19identity_decomposerENS1_16block_id_wrapperIjLb0EEEEE10hipError_tT1_PNSt15iterator_traitsISN_E10value_typeET2_T3_PNSO_IST_E10value_typeET4_T5_PSY_SZ_PNS1_23onesweep_lookback_stateEbbT6_jjT7_P12ihipStream_tbENKUlT_T0_SN_SS_E_clISG_PjSI_PS9_EEDaS16_S17_SN_SS_EUlS16_E_NS1_11comp_targetILNS1_3genE0ELNS1_11target_archE4294967295ELNS1_3gpuE0ELNS1_3repE0EEENS1_47radix_sort_onesweep_sort_config_static_selectorELNS0_4arch9wavefront6targetE0EEEvSN_.uses_flat_scratch, 0
	.set _ZN7rocprim17ROCPRIM_400000_NS6detail17trampoline_kernelINS0_14default_configENS1_35radix_sort_onesweep_config_selectorIjN6thrust23THRUST_200600_302600_NS5tupleIffNS6_9null_typeES8_S8_S8_S8_S8_S8_S8_EEEEZZNS1_29radix_sort_onesweep_iterationIS3_Lb0ENS6_6detail15normal_iteratorINS6_10device_ptrIjEEEESG_NSD_INSE_IS9_EEEESI_jNS0_19identity_decomposerENS1_16block_id_wrapperIjLb0EEEEE10hipError_tT1_PNSt15iterator_traitsISN_E10value_typeET2_T3_PNSO_IST_E10value_typeET4_T5_PSY_SZ_PNS1_23onesweep_lookback_stateEbbT6_jjT7_P12ihipStream_tbENKUlT_T0_SN_SS_E_clISG_PjSI_PS9_EEDaS16_S17_SN_SS_EUlS16_E_NS1_11comp_targetILNS1_3genE0ELNS1_11target_archE4294967295ELNS1_3gpuE0ELNS1_3repE0EEENS1_47radix_sort_onesweep_sort_config_static_selectorELNS0_4arch9wavefront6targetE0EEEvSN_.has_dyn_sized_stack, 0
	.set _ZN7rocprim17ROCPRIM_400000_NS6detail17trampoline_kernelINS0_14default_configENS1_35radix_sort_onesweep_config_selectorIjN6thrust23THRUST_200600_302600_NS5tupleIffNS6_9null_typeES8_S8_S8_S8_S8_S8_S8_EEEEZZNS1_29radix_sort_onesweep_iterationIS3_Lb0ENS6_6detail15normal_iteratorINS6_10device_ptrIjEEEESG_NSD_INSE_IS9_EEEESI_jNS0_19identity_decomposerENS1_16block_id_wrapperIjLb0EEEEE10hipError_tT1_PNSt15iterator_traitsISN_E10value_typeET2_T3_PNSO_IST_E10value_typeET4_T5_PSY_SZ_PNS1_23onesweep_lookback_stateEbbT6_jjT7_P12ihipStream_tbENKUlT_T0_SN_SS_E_clISG_PjSI_PS9_EEDaS16_S17_SN_SS_EUlS16_E_NS1_11comp_targetILNS1_3genE0ELNS1_11target_archE4294967295ELNS1_3gpuE0ELNS1_3repE0EEENS1_47radix_sort_onesweep_sort_config_static_selectorELNS0_4arch9wavefront6targetE0EEEvSN_.has_recursion, 0
	.set _ZN7rocprim17ROCPRIM_400000_NS6detail17trampoline_kernelINS0_14default_configENS1_35radix_sort_onesweep_config_selectorIjN6thrust23THRUST_200600_302600_NS5tupleIffNS6_9null_typeES8_S8_S8_S8_S8_S8_S8_EEEEZZNS1_29radix_sort_onesweep_iterationIS3_Lb0ENS6_6detail15normal_iteratorINS6_10device_ptrIjEEEESG_NSD_INSE_IS9_EEEESI_jNS0_19identity_decomposerENS1_16block_id_wrapperIjLb0EEEEE10hipError_tT1_PNSt15iterator_traitsISN_E10value_typeET2_T3_PNSO_IST_E10value_typeET4_T5_PSY_SZ_PNS1_23onesweep_lookback_stateEbbT6_jjT7_P12ihipStream_tbENKUlT_T0_SN_SS_E_clISG_PjSI_PS9_EEDaS16_S17_SN_SS_EUlS16_E_NS1_11comp_targetILNS1_3genE0ELNS1_11target_archE4294967295ELNS1_3gpuE0ELNS1_3repE0EEENS1_47radix_sort_onesweep_sort_config_static_selectorELNS0_4arch9wavefront6targetE0EEEvSN_.has_indirect_call, 0
	.section	.AMDGPU.csdata,"",@progbits
; Kernel info:
; codeLenInByte = 0
; TotalNumSgprs: 0
; NumVgprs: 0
; ScratchSize: 0
; MemoryBound: 0
; FloatMode: 240
; IeeeMode: 1
; LDSByteSize: 0 bytes/workgroup (compile time only)
; SGPRBlocks: 0
; VGPRBlocks: 0
; NumSGPRsForWavesPerEU: 1
; NumVGPRsForWavesPerEU: 1
; Occupancy: 16
; WaveLimiterHint : 0
; COMPUTE_PGM_RSRC2:SCRATCH_EN: 0
; COMPUTE_PGM_RSRC2:USER_SGPR: 2
; COMPUTE_PGM_RSRC2:TRAP_HANDLER: 0
; COMPUTE_PGM_RSRC2:TGID_X_EN: 1
; COMPUTE_PGM_RSRC2:TGID_Y_EN: 0
; COMPUTE_PGM_RSRC2:TGID_Z_EN: 0
; COMPUTE_PGM_RSRC2:TIDIG_COMP_CNT: 0
	.section	.text._ZN7rocprim17ROCPRIM_400000_NS6detail17trampoline_kernelINS0_14default_configENS1_35radix_sort_onesweep_config_selectorIjN6thrust23THRUST_200600_302600_NS5tupleIffNS6_9null_typeES8_S8_S8_S8_S8_S8_S8_EEEEZZNS1_29radix_sort_onesweep_iterationIS3_Lb0ENS6_6detail15normal_iteratorINS6_10device_ptrIjEEEESG_NSD_INSE_IS9_EEEESI_jNS0_19identity_decomposerENS1_16block_id_wrapperIjLb0EEEEE10hipError_tT1_PNSt15iterator_traitsISN_E10value_typeET2_T3_PNSO_IST_E10value_typeET4_T5_PSY_SZ_PNS1_23onesweep_lookback_stateEbbT6_jjT7_P12ihipStream_tbENKUlT_T0_SN_SS_E_clISG_PjSI_PS9_EEDaS16_S17_SN_SS_EUlS16_E_NS1_11comp_targetILNS1_3genE6ELNS1_11target_archE950ELNS1_3gpuE13ELNS1_3repE0EEENS1_47radix_sort_onesweep_sort_config_static_selectorELNS0_4arch9wavefront6targetE0EEEvSN_,"axG",@progbits,_ZN7rocprim17ROCPRIM_400000_NS6detail17trampoline_kernelINS0_14default_configENS1_35radix_sort_onesweep_config_selectorIjN6thrust23THRUST_200600_302600_NS5tupleIffNS6_9null_typeES8_S8_S8_S8_S8_S8_S8_EEEEZZNS1_29radix_sort_onesweep_iterationIS3_Lb0ENS6_6detail15normal_iteratorINS6_10device_ptrIjEEEESG_NSD_INSE_IS9_EEEESI_jNS0_19identity_decomposerENS1_16block_id_wrapperIjLb0EEEEE10hipError_tT1_PNSt15iterator_traitsISN_E10value_typeET2_T3_PNSO_IST_E10value_typeET4_T5_PSY_SZ_PNS1_23onesweep_lookback_stateEbbT6_jjT7_P12ihipStream_tbENKUlT_T0_SN_SS_E_clISG_PjSI_PS9_EEDaS16_S17_SN_SS_EUlS16_E_NS1_11comp_targetILNS1_3genE6ELNS1_11target_archE950ELNS1_3gpuE13ELNS1_3repE0EEENS1_47radix_sort_onesweep_sort_config_static_selectorELNS0_4arch9wavefront6targetE0EEEvSN_,comdat
	.protected	_ZN7rocprim17ROCPRIM_400000_NS6detail17trampoline_kernelINS0_14default_configENS1_35radix_sort_onesweep_config_selectorIjN6thrust23THRUST_200600_302600_NS5tupleIffNS6_9null_typeES8_S8_S8_S8_S8_S8_S8_EEEEZZNS1_29radix_sort_onesweep_iterationIS3_Lb0ENS6_6detail15normal_iteratorINS6_10device_ptrIjEEEESG_NSD_INSE_IS9_EEEESI_jNS0_19identity_decomposerENS1_16block_id_wrapperIjLb0EEEEE10hipError_tT1_PNSt15iterator_traitsISN_E10value_typeET2_T3_PNSO_IST_E10value_typeET4_T5_PSY_SZ_PNS1_23onesweep_lookback_stateEbbT6_jjT7_P12ihipStream_tbENKUlT_T0_SN_SS_E_clISG_PjSI_PS9_EEDaS16_S17_SN_SS_EUlS16_E_NS1_11comp_targetILNS1_3genE6ELNS1_11target_archE950ELNS1_3gpuE13ELNS1_3repE0EEENS1_47radix_sort_onesweep_sort_config_static_selectorELNS0_4arch9wavefront6targetE0EEEvSN_ ; -- Begin function _ZN7rocprim17ROCPRIM_400000_NS6detail17trampoline_kernelINS0_14default_configENS1_35radix_sort_onesweep_config_selectorIjN6thrust23THRUST_200600_302600_NS5tupleIffNS6_9null_typeES8_S8_S8_S8_S8_S8_S8_EEEEZZNS1_29radix_sort_onesweep_iterationIS3_Lb0ENS6_6detail15normal_iteratorINS6_10device_ptrIjEEEESG_NSD_INSE_IS9_EEEESI_jNS0_19identity_decomposerENS1_16block_id_wrapperIjLb0EEEEE10hipError_tT1_PNSt15iterator_traitsISN_E10value_typeET2_T3_PNSO_IST_E10value_typeET4_T5_PSY_SZ_PNS1_23onesweep_lookback_stateEbbT6_jjT7_P12ihipStream_tbENKUlT_T0_SN_SS_E_clISG_PjSI_PS9_EEDaS16_S17_SN_SS_EUlS16_E_NS1_11comp_targetILNS1_3genE6ELNS1_11target_archE950ELNS1_3gpuE13ELNS1_3repE0EEENS1_47radix_sort_onesweep_sort_config_static_selectorELNS0_4arch9wavefront6targetE0EEEvSN_
	.globl	_ZN7rocprim17ROCPRIM_400000_NS6detail17trampoline_kernelINS0_14default_configENS1_35radix_sort_onesweep_config_selectorIjN6thrust23THRUST_200600_302600_NS5tupleIffNS6_9null_typeES8_S8_S8_S8_S8_S8_S8_EEEEZZNS1_29radix_sort_onesweep_iterationIS3_Lb0ENS6_6detail15normal_iteratorINS6_10device_ptrIjEEEESG_NSD_INSE_IS9_EEEESI_jNS0_19identity_decomposerENS1_16block_id_wrapperIjLb0EEEEE10hipError_tT1_PNSt15iterator_traitsISN_E10value_typeET2_T3_PNSO_IST_E10value_typeET4_T5_PSY_SZ_PNS1_23onesweep_lookback_stateEbbT6_jjT7_P12ihipStream_tbENKUlT_T0_SN_SS_E_clISG_PjSI_PS9_EEDaS16_S17_SN_SS_EUlS16_E_NS1_11comp_targetILNS1_3genE6ELNS1_11target_archE950ELNS1_3gpuE13ELNS1_3repE0EEENS1_47radix_sort_onesweep_sort_config_static_selectorELNS0_4arch9wavefront6targetE0EEEvSN_
	.p2align	8
	.type	_ZN7rocprim17ROCPRIM_400000_NS6detail17trampoline_kernelINS0_14default_configENS1_35radix_sort_onesweep_config_selectorIjN6thrust23THRUST_200600_302600_NS5tupleIffNS6_9null_typeES8_S8_S8_S8_S8_S8_S8_EEEEZZNS1_29radix_sort_onesweep_iterationIS3_Lb0ENS6_6detail15normal_iteratorINS6_10device_ptrIjEEEESG_NSD_INSE_IS9_EEEESI_jNS0_19identity_decomposerENS1_16block_id_wrapperIjLb0EEEEE10hipError_tT1_PNSt15iterator_traitsISN_E10value_typeET2_T3_PNSO_IST_E10value_typeET4_T5_PSY_SZ_PNS1_23onesweep_lookback_stateEbbT6_jjT7_P12ihipStream_tbENKUlT_T0_SN_SS_E_clISG_PjSI_PS9_EEDaS16_S17_SN_SS_EUlS16_E_NS1_11comp_targetILNS1_3genE6ELNS1_11target_archE950ELNS1_3gpuE13ELNS1_3repE0EEENS1_47radix_sort_onesweep_sort_config_static_selectorELNS0_4arch9wavefront6targetE0EEEvSN_,@function
_ZN7rocprim17ROCPRIM_400000_NS6detail17trampoline_kernelINS0_14default_configENS1_35radix_sort_onesweep_config_selectorIjN6thrust23THRUST_200600_302600_NS5tupleIffNS6_9null_typeES8_S8_S8_S8_S8_S8_S8_EEEEZZNS1_29radix_sort_onesweep_iterationIS3_Lb0ENS6_6detail15normal_iteratorINS6_10device_ptrIjEEEESG_NSD_INSE_IS9_EEEESI_jNS0_19identity_decomposerENS1_16block_id_wrapperIjLb0EEEEE10hipError_tT1_PNSt15iterator_traitsISN_E10value_typeET2_T3_PNSO_IST_E10value_typeET4_T5_PSY_SZ_PNS1_23onesweep_lookback_stateEbbT6_jjT7_P12ihipStream_tbENKUlT_T0_SN_SS_E_clISG_PjSI_PS9_EEDaS16_S17_SN_SS_EUlS16_E_NS1_11comp_targetILNS1_3genE6ELNS1_11target_archE950ELNS1_3gpuE13ELNS1_3repE0EEENS1_47radix_sort_onesweep_sort_config_static_selectorELNS0_4arch9wavefront6targetE0EEEvSN_: ; @_ZN7rocprim17ROCPRIM_400000_NS6detail17trampoline_kernelINS0_14default_configENS1_35radix_sort_onesweep_config_selectorIjN6thrust23THRUST_200600_302600_NS5tupleIffNS6_9null_typeES8_S8_S8_S8_S8_S8_S8_EEEEZZNS1_29radix_sort_onesweep_iterationIS3_Lb0ENS6_6detail15normal_iteratorINS6_10device_ptrIjEEEESG_NSD_INSE_IS9_EEEESI_jNS0_19identity_decomposerENS1_16block_id_wrapperIjLb0EEEEE10hipError_tT1_PNSt15iterator_traitsISN_E10value_typeET2_T3_PNSO_IST_E10value_typeET4_T5_PSY_SZ_PNS1_23onesweep_lookback_stateEbbT6_jjT7_P12ihipStream_tbENKUlT_T0_SN_SS_E_clISG_PjSI_PS9_EEDaS16_S17_SN_SS_EUlS16_E_NS1_11comp_targetILNS1_3genE6ELNS1_11target_archE950ELNS1_3gpuE13ELNS1_3repE0EEENS1_47radix_sort_onesweep_sort_config_static_selectorELNS0_4arch9wavefront6targetE0EEEvSN_
; %bb.0:
	.section	.rodata,"a",@progbits
	.p2align	6, 0x0
	.amdhsa_kernel _ZN7rocprim17ROCPRIM_400000_NS6detail17trampoline_kernelINS0_14default_configENS1_35radix_sort_onesweep_config_selectorIjN6thrust23THRUST_200600_302600_NS5tupleIffNS6_9null_typeES8_S8_S8_S8_S8_S8_S8_EEEEZZNS1_29radix_sort_onesweep_iterationIS3_Lb0ENS6_6detail15normal_iteratorINS6_10device_ptrIjEEEESG_NSD_INSE_IS9_EEEESI_jNS0_19identity_decomposerENS1_16block_id_wrapperIjLb0EEEEE10hipError_tT1_PNSt15iterator_traitsISN_E10value_typeET2_T3_PNSO_IST_E10value_typeET4_T5_PSY_SZ_PNS1_23onesweep_lookback_stateEbbT6_jjT7_P12ihipStream_tbENKUlT_T0_SN_SS_E_clISG_PjSI_PS9_EEDaS16_S17_SN_SS_EUlS16_E_NS1_11comp_targetILNS1_3genE6ELNS1_11target_archE950ELNS1_3gpuE13ELNS1_3repE0EEENS1_47radix_sort_onesweep_sort_config_static_selectorELNS0_4arch9wavefront6targetE0EEEvSN_
		.amdhsa_group_segment_fixed_size 0
		.amdhsa_private_segment_fixed_size 0
		.amdhsa_kernarg_size 88
		.amdhsa_user_sgpr_count 2
		.amdhsa_user_sgpr_dispatch_ptr 0
		.amdhsa_user_sgpr_queue_ptr 0
		.amdhsa_user_sgpr_kernarg_segment_ptr 1
		.amdhsa_user_sgpr_dispatch_id 0
		.amdhsa_user_sgpr_private_segment_size 0
		.amdhsa_wavefront_size32 1
		.amdhsa_uses_dynamic_stack 0
		.amdhsa_enable_private_segment 0
		.amdhsa_system_sgpr_workgroup_id_x 1
		.amdhsa_system_sgpr_workgroup_id_y 0
		.amdhsa_system_sgpr_workgroup_id_z 0
		.amdhsa_system_sgpr_workgroup_info 0
		.amdhsa_system_vgpr_workitem_id 0
		.amdhsa_next_free_vgpr 1
		.amdhsa_next_free_sgpr 1
		.amdhsa_reserve_vcc 0
		.amdhsa_float_round_mode_32 0
		.amdhsa_float_round_mode_16_64 0
		.amdhsa_float_denorm_mode_32 3
		.amdhsa_float_denorm_mode_16_64 3
		.amdhsa_fp16_overflow 0
		.amdhsa_workgroup_processor_mode 1
		.amdhsa_memory_ordered 1
		.amdhsa_forward_progress 1
		.amdhsa_inst_pref_size 0
		.amdhsa_round_robin_scheduling 0
		.amdhsa_exception_fp_ieee_invalid_op 0
		.amdhsa_exception_fp_denorm_src 0
		.amdhsa_exception_fp_ieee_div_zero 0
		.amdhsa_exception_fp_ieee_overflow 0
		.amdhsa_exception_fp_ieee_underflow 0
		.amdhsa_exception_fp_ieee_inexact 0
		.amdhsa_exception_int_div_zero 0
	.end_amdhsa_kernel
	.section	.text._ZN7rocprim17ROCPRIM_400000_NS6detail17trampoline_kernelINS0_14default_configENS1_35radix_sort_onesweep_config_selectorIjN6thrust23THRUST_200600_302600_NS5tupleIffNS6_9null_typeES8_S8_S8_S8_S8_S8_S8_EEEEZZNS1_29radix_sort_onesweep_iterationIS3_Lb0ENS6_6detail15normal_iteratorINS6_10device_ptrIjEEEESG_NSD_INSE_IS9_EEEESI_jNS0_19identity_decomposerENS1_16block_id_wrapperIjLb0EEEEE10hipError_tT1_PNSt15iterator_traitsISN_E10value_typeET2_T3_PNSO_IST_E10value_typeET4_T5_PSY_SZ_PNS1_23onesweep_lookback_stateEbbT6_jjT7_P12ihipStream_tbENKUlT_T0_SN_SS_E_clISG_PjSI_PS9_EEDaS16_S17_SN_SS_EUlS16_E_NS1_11comp_targetILNS1_3genE6ELNS1_11target_archE950ELNS1_3gpuE13ELNS1_3repE0EEENS1_47radix_sort_onesweep_sort_config_static_selectorELNS0_4arch9wavefront6targetE0EEEvSN_,"axG",@progbits,_ZN7rocprim17ROCPRIM_400000_NS6detail17trampoline_kernelINS0_14default_configENS1_35radix_sort_onesweep_config_selectorIjN6thrust23THRUST_200600_302600_NS5tupleIffNS6_9null_typeES8_S8_S8_S8_S8_S8_S8_EEEEZZNS1_29radix_sort_onesweep_iterationIS3_Lb0ENS6_6detail15normal_iteratorINS6_10device_ptrIjEEEESG_NSD_INSE_IS9_EEEESI_jNS0_19identity_decomposerENS1_16block_id_wrapperIjLb0EEEEE10hipError_tT1_PNSt15iterator_traitsISN_E10value_typeET2_T3_PNSO_IST_E10value_typeET4_T5_PSY_SZ_PNS1_23onesweep_lookback_stateEbbT6_jjT7_P12ihipStream_tbENKUlT_T0_SN_SS_E_clISG_PjSI_PS9_EEDaS16_S17_SN_SS_EUlS16_E_NS1_11comp_targetILNS1_3genE6ELNS1_11target_archE950ELNS1_3gpuE13ELNS1_3repE0EEENS1_47radix_sort_onesweep_sort_config_static_selectorELNS0_4arch9wavefront6targetE0EEEvSN_,comdat
.Lfunc_end212:
	.size	_ZN7rocprim17ROCPRIM_400000_NS6detail17trampoline_kernelINS0_14default_configENS1_35radix_sort_onesweep_config_selectorIjN6thrust23THRUST_200600_302600_NS5tupleIffNS6_9null_typeES8_S8_S8_S8_S8_S8_S8_EEEEZZNS1_29radix_sort_onesweep_iterationIS3_Lb0ENS6_6detail15normal_iteratorINS6_10device_ptrIjEEEESG_NSD_INSE_IS9_EEEESI_jNS0_19identity_decomposerENS1_16block_id_wrapperIjLb0EEEEE10hipError_tT1_PNSt15iterator_traitsISN_E10value_typeET2_T3_PNSO_IST_E10value_typeET4_T5_PSY_SZ_PNS1_23onesweep_lookback_stateEbbT6_jjT7_P12ihipStream_tbENKUlT_T0_SN_SS_E_clISG_PjSI_PS9_EEDaS16_S17_SN_SS_EUlS16_E_NS1_11comp_targetILNS1_3genE6ELNS1_11target_archE950ELNS1_3gpuE13ELNS1_3repE0EEENS1_47radix_sort_onesweep_sort_config_static_selectorELNS0_4arch9wavefront6targetE0EEEvSN_, .Lfunc_end212-_ZN7rocprim17ROCPRIM_400000_NS6detail17trampoline_kernelINS0_14default_configENS1_35radix_sort_onesweep_config_selectorIjN6thrust23THRUST_200600_302600_NS5tupleIffNS6_9null_typeES8_S8_S8_S8_S8_S8_S8_EEEEZZNS1_29radix_sort_onesweep_iterationIS3_Lb0ENS6_6detail15normal_iteratorINS6_10device_ptrIjEEEESG_NSD_INSE_IS9_EEEESI_jNS0_19identity_decomposerENS1_16block_id_wrapperIjLb0EEEEE10hipError_tT1_PNSt15iterator_traitsISN_E10value_typeET2_T3_PNSO_IST_E10value_typeET4_T5_PSY_SZ_PNS1_23onesweep_lookback_stateEbbT6_jjT7_P12ihipStream_tbENKUlT_T0_SN_SS_E_clISG_PjSI_PS9_EEDaS16_S17_SN_SS_EUlS16_E_NS1_11comp_targetILNS1_3genE6ELNS1_11target_archE950ELNS1_3gpuE13ELNS1_3repE0EEENS1_47radix_sort_onesweep_sort_config_static_selectorELNS0_4arch9wavefront6targetE0EEEvSN_
                                        ; -- End function
	.set _ZN7rocprim17ROCPRIM_400000_NS6detail17trampoline_kernelINS0_14default_configENS1_35radix_sort_onesweep_config_selectorIjN6thrust23THRUST_200600_302600_NS5tupleIffNS6_9null_typeES8_S8_S8_S8_S8_S8_S8_EEEEZZNS1_29radix_sort_onesweep_iterationIS3_Lb0ENS6_6detail15normal_iteratorINS6_10device_ptrIjEEEESG_NSD_INSE_IS9_EEEESI_jNS0_19identity_decomposerENS1_16block_id_wrapperIjLb0EEEEE10hipError_tT1_PNSt15iterator_traitsISN_E10value_typeET2_T3_PNSO_IST_E10value_typeET4_T5_PSY_SZ_PNS1_23onesweep_lookback_stateEbbT6_jjT7_P12ihipStream_tbENKUlT_T0_SN_SS_E_clISG_PjSI_PS9_EEDaS16_S17_SN_SS_EUlS16_E_NS1_11comp_targetILNS1_3genE6ELNS1_11target_archE950ELNS1_3gpuE13ELNS1_3repE0EEENS1_47radix_sort_onesweep_sort_config_static_selectorELNS0_4arch9wavefront6targetE0EEEvSN_.num_vgpr, 0
	.set _ZN7rocprim17ROCPRIM_400000_NS6detail17trampoline_kernelINS0_14default_configENS1_35radix_sort_onesweep_config_selectorIjN6thrust23THRUST_200600_302600_NS5tupleIffNS6_9null_typeES8_S8_S8_S8_S8_S8_S8_EEEEZZNS1_29radix_sort_onesweep_iterationIS3_Lb0ENS6_6detail15normal_iteratorINS6_10device_ptrIjEEEESG_NSD_INSE_IS9_EEEESI_jNS0_19identity_decomposerENS1_16block_id_wrapperIjLb0EEEEE10hipError_tT1_PNSt15iterator_traitsISN_E10value_typeET2_T3_PNSO_IST_E10value_typeET4_T5_PSY_SZ_PNS1_23onesweep_lookback_stateEbbT6_jjT7_P12ihipStream_tbENKUlT_T0_SN_SS_E_clISG_PjSI_PS9_EEDaS16_S17_SN_SS_EUlS16_E_NS1_11comp_targetILNS1_3genE6ELNS1_11target_archE950ELNS1_3gpuE13ELNS1_3repE0EEENS1_47radix_sort_onesweep_sort_config_static_selectorELNS0_4arch9wavefront6targetE0EEEvSN_.num_agpr, 0
	.set _ZN7rocprim17ROCPRIM_400000_NS6detail17trampoline_kernelINS0_14default_configENS1_35radix_sort_onesweep_config_selectorIjN6thrust23THRUST_200600_302600_NS5tupleIffNS6_9null_typeES8_S8_S8_S8_S8_S8_S8_EEEEZZNS1_29radix_sort_onesweep_iterationIS3_Lb0ENS6_6detail15normal_iteratorINS6_10device_ptrIjEEEESG_NSD_INSE_IS9_EEEESI_jNS0_19identity_decomposerENS1_16block_id_wrapperIjLb0EEEEE10hipError_tT1_PNSt15iterator_traitsISN_E10value_typeET2_T3_PNSO_IST_E10value_typeET4_T5_PSY_SZ_PNS1_23onesweep_lookback_stateEbbT6_jjT7_P12ihipStream_tbENKUlT_T0_SN_SS_E_clISG_PjSI_PS9_EEDaS16_S17_SN_SS_EUlS16_E_NS1_11comp_targetILNS1_3genE6ELNS1_11target_archE950ELNS1_3gpuE13ELNS1_3repE0EEENS1_47radix_sort_onesweep_sort_config_static_selectorELNS0_4arch9wavefront6targetE0EEEvSN_.numbered_sgpr, 0
	.set _ZN7rocprim17ROCPRIM_400000_NS6detail17trampoline_kernelINS0_14default_configENS1_35radix_sort_onesweep_config_selectorIjN6thrust23THRUST_200600_302600_NS5tupleIffNS6_9null_typeES8_S8_S8_S8_S8_S8_S8_EEEEZZNS1_29radix_sort_onesweep_iterationIS3_Lb0ENS6_6detail15normal_iteratorINS6_10device_ptrIjEEEESG_NSD_INSE_IS9_EEEESI_jNS0_19identity_decomposerENS1_16block_id_wrapperIjLb0EEEEE10hipError_tT1_PNSt15iterator_traitsISN_E10value_typeET2_T3_PNSO_IST_E10value_typeET4_T5_PSY_SZ_PNS1_23onesweep_lookback_stateEbbT6_jjT7_P12ihipStream_tbENKUlT_T0_SN_SS_E_clISG_PjSI_PS9_EEDaS16_S17_SN_SS_EUlS16_E_NS1_11comp_targetILNS1_3genE6ELNS1_11target_archE950ELNS1_3gpuE13ELNS1_3repE0EEENS1_47radix_sort_onesweep_sort_config_static_selectorELNS0_4arch9wavefront6targetE0EEEvSN_.num_named_barrier, 0
	.set _ZN7rocprim17ROCPRIM_400000_NS6detail17trampoline_kernelINS0_14default_configENS1_35radix_sort_onesweep_config_selectorIjN6thrust23THRUST_200600_302600_NS5tupleIffNS6_9null_typeES8_S8_S8_S8_S8_S8_S8_EEEEZZNS1_29radix_sort_onesweep_iterationIS3_Lb0ENS6_6detail15normal_iteratorINS6_10device_ptrIjEEEESG_NSD_INSE_IS9_EEEESI_jNS0_19identity_decomposerENS1_16block_id_wrapperIjLb0EEEEE10hipError_tT1_PNSt15iterator_traitsISN_E10value_typeET2_T3_PNSO_IST_E10value_typeET4_T5_PSY_SZ_PNS1_23onesweep_lookback_stateEbbT6_jjT7_P12ihipStream_tbENKUlT_T0_SN_SS_E_clISG_PjSI_PS9_EEDaS16_S17_SN_SS_EUlS16_E_NS1_11comp_targetILNS1_3genE6ELNS1_11target_archE950ELNS1_3gpuE13ELNS1_3repE0EEENS1_47radix_sort_onesweep_sort_config_static_selectorELNS0_4arch9wavefront6targetE0EEEvSN_.private_seg_size, 0
	.set _ZN7rocprim17ROCPRIM_400000_NS6detail17trampoline_kernelINS0_14default_configENS1_35radix_sort_onesweep_config_selectorIjN6thrust23THRUST_200600_302600_NS5tupleIffNS6_9null_typeES8_S8_S8_S8_S8_S8_S8_EEEEZZNS1_29radix_sort_onesweep_iterationIS3_Lb0ENS6_6detail15normal_iteratorINS6_10device_ptrIjEEEESG_NSD_INSE_IS9_EEEESI_jNS0_19identity_decomposerENS1_16block_id_wrapperIjLb0EEEEE10hipError_tT1_PNSt15iterator_traitsISN_E10value_typeET2_T3_PNSO_IST_E10value_typeET4_T5_PSY_SZ_PNS1_23onesweep_lookback_stateEbbT6_jjT7_P12ihipStream_tbENKUlT_T0_SN_SS_E_clISG_PjSI_PS9_EEDaS16_S17_SN_SS_EUlS16_E_NS1_11comp_targetILNS1_3genE6ELNS1_11target_archE950ELNS1_3gpuE13ELNS1_3repE0EEENS1_47radix_sort_onesweep_sort_config_static_selectorELNS0_4arch9wavefront6targetE0EEEvSN_.uses_vcc, 0
	.set _ZN7rocprim17ROCPRIM_400000_NS6detail17trampoline_kernelINS0_14default_configENS1_35radix_sort_onesweep_config_selectorIjN6thrust23THRUST_200600_302600_NS5tupleIffNS6_9null_typeES8_S8_S8_S8_S8_S8_S8_EEEEZZNS1_29radix_sort_onesweep_iterationIS3_Lb0ENS6_6detail15normal_iteratorINS6_10device_ptrIjEEEESG_NSD_INSE_IS9_EEEESI_jNS0_19identity_decomposerENS1_16block_id_wrapperIjLb0EEEEE10hipError_tT1_PNSt15iterator_traitsISN_E10value_typeET2_T3_PNSO_IST_E10value_typeET4_T5_PSY_SZ_PNS1_23onesweep_lookback_stateEbbT6_jjT7_P12ihipStream_tbENKUlT_T0_SN_SS_E_clISG_PjSI_PS9_EEDaS16_S17_SN_SS_EUlS16_E_NS1_11comp_targetILNS1_3genE6ELNS1_11target_archE950ELNS1_3gpuE13ELNS1_3repE0EEENS1_47radix_sort_onesweep_sort_config_static_selectorELNS0_4arch9wavefront6targetE0EEEvSN_.uses_flat_scratch, 0
	.set _ZN7rocprim17ROCPRIM_400000_NS6detail17trampoline_kernelINS0_14default_configENS1_35radix_sort_onesweep_config_selectorIjN6thrust23THRUST_200600_302600_NS5tupleIffNS6_9null_typeES8_S8_S8_S8_S8_S8_S8_EEEEZZNS1_29radix_sort_onesweep_iterationIS3_Lb0ENS6_6detail15normal_iteratorINS6_10device_ptrIjEEEESG_NSD_INSE_IS9_EEEESI_jNS0_19identity_decomposerENS1_16block_id_wrapperIjLb0EEEEE10hipError_tT1_PNSt15iterator_traitsISN_E10value_typeET2_T3_PNSO_IST_E10value_typeET4_T5_PSY_SZ_PNS1_23onesweep_lookback_stateEbbT6_jjT7_P12ihipStream_tbENKUlT_T0_SN_SS_E_clISG_PjSI_PS9_EEDaS16_S17_SN_SS_EUlS16_E_NS1_11comp_targetILNS1_3genE6ELNS1_11target_archE950ELNS1_3gpuE13ELNS1_3repE0EEENS1_47radix_sort_onesweep_sort_config_static_selectorELNS0_4arch9wavefront6targetE0EEEvSN_.has_dyn_sized_stack, 0
	.set _ZN7rocprim17ROCPRIM_400000_NS6detail17trampoline_kernelINS0_14default_configENS1_35radix_sort_onesweep_config_selectorIjN6thrust23THRUST_200600_302600_NS5tupleIffNS6_9null_typeES8_S8_S8_S8_S8_S8_S8_EEEEZZNS1_29radix_sort_onesweep_iterationIS3_Lb0ENS6_6detail15normal_iteratorINS6_10device_ptrIjEEEESG_NSD_INSE_IS9_EEEESI_jNS0_19identity_decomposerENS1_16block_id_wrapperIjLb0EEEEE10hipError_tT1_PNSt15iterator_traitsISN_E10value_typeET2_T3_PNSO_IST_E10value_typeET4_T5_PSY_SZ_PNS1_23onesweep_lookback_stateEbbT6_jjT7_P12ihipStream_tbENKUlT_T0_SN_SS_E_clISG_PjSI_PS9_EEDaS16_S17_SN_SS_EUlS16_E_NS1_11comp_targetILNS1_3genE6ELNS1_11target_archE950ELNS1_3gpuE13ELNS1_3repE0EEENS1_47radix_sort_onesweep_sort_config_static_selectorELNS0_4arch9wavefront6targetE0EEEvSN_.has_recursion, 0
	.set _ZN7rocprim17ROCPRIM_400000_NS6detail17trampoline_kernelINS0_14default_configENS1_35radix_sort_onesweep_config_selectorIjN6thrust23THRUST_200600_302600_NS5tupleIffNS6_9null_typeES8_S8_S8_S8_S8_S8_S8_EEEEZZNS1_29radix_sort_onesweep_iterationIS3_Lb0ENS6_6detail15normal_iteratorINS6_10device_ptrIjEEEESG_NSD_INSE_IS9_EEEESI_jNS0_19identity_decomposerENS1_16block_id_wrapperIjLb0EEEEE10hipError_tT1_PNSt15iterator_traitsISN_E10value_typeET2_T3_PNSO_IST_E10value_typeET4_T5_PSY_SZ_PNS1_23onesweep_lookback_stateEbbT6_jjT7_P12ihipStream_tbENKUlT_T0_SN_SS_E_clISG_PjSI_PS9_EEDaS16_S17_SN_SS_EUlS16_E_NS1_11comp_targetILNS1_3genE6ELNS1_11target_archE950ELNS1_3gpuE13ELNS1_3repE0EEENS1_47radix_sort_onesweep_sort_config_static_selectorELNS0_4arch9wavefront6targetE0EEEvSN_.has_indirect_call, 0
	.section	.AMDGPU.csdata,"",@progbits
; Kernel info:
; codeLenInByte = 0
; TotalNumSgprs: 0
; NumVgprs: 0
; ScratchSize: 0
; MemoryBound: 0
; FloatMode: 240
; IeeeMode: 1
; LDSByteSize: 0 bytes/workgroup (compile time only)
; SGPRBlocks: 0
; VGPRBlocks: 0
; NumSGPRsForWavesPerEU: 1
; NumVGPRsForWavesPerEU: 1
; Occupancy: 16
; WaveLimiterHint : 0
; COMPUTE_PGM_RSRC2:SCRATCH_EN: 0
; COMPUTE_PGM_RSRC2:USER_SGPR: 2
; COMPUTE_PGM_RSRC2:TRAP_HANDLER: 0
; COMPUTE_PGM_RSRC2:TGID_X_EN: 1
; COMPUTE_PGM_RSRC2:TGID_Y_EN: 0
; COMPUTE_PGM_RSRC2:TGID_Z_EN: 0
; COMPUTE_PGM_RSRC2:TIDIG_COMP_CNT: 0
	.section	.text._ZN7rocprim17ROCPRIM_400000_NS6detail17trampoline_kernelINS0_14default_configENS1_35radix_sort_onesweep_config_selectorIjN6thrust23THRUST_200600_302600_NS5tupleIffNS6_9null_typeES8_S8_S8_S8_S8_S8_S8_EEEEZZNS1_29radix_sort_onesweep_iterationIS3_Lb0ENS6_6detail15normal_iteratorINS6_10device_ptrIjEEEESG_NSD_INSE_IS9_EEEESI_jNS0_19identity_decomposerENS1_16block_id_wrapperIjLb0EEEEE10hipError_tT1_PNSt15iterator_traitsISN_E10value_typeET2_T3_PNSO_IST_E10value_typeET4_T5_PSY_SZ_PNS1_23onesweep_lookback_stateEbbT6_jjT7_P12ihipStream_tbENKUlT_T0_SN_SS_E_clISG_PjSI_PS9_EEDaS16_S17_SN_SS_EUlS16_E_NS1_11comp_targetILNS1_3genE5ELNS1_11target_archE942ELNS1_3gpuE9ELNS1_3repE0EEENS1_47radix_sort_onesweep_sort_config_static_selectorELNS0_4arch9wavefront6targetE0EEEvSN_,"axG",@progbits,_ZN7rocprim17ROCPRIM_400000_NS6detail17trampoline_kernelINS0_14default_configENS1_35radix_sort_onesweep_config_selectorIjN6thrust23THRUST_200600_302600_NS5tupleIffNS6_9null_typeES8_S8_S8_S8_S8_S8_S8_EEEEZZNS1_29radix_sort_onesweep_iterationIS3_Lb0ENS6_6detail15normal_iteratorINS6_10device_ptrIjEEEESG_NSD_INSE_IS9_EEEESI_jNS0_19identity_decomposerENS1_16block_id_wrapperIjLb0EEEEE10hipError_tT1_PNSt15iterator_traitsISN_E10value_typeET2_T3_PNSO_IST_E10value_typeET4_T5_PSY_SZ_PNS1_23onesweep_lookback_stateEbbT6_jjT7_P12ihipStream_tbENKUlT_T0_SN_SS_E_clISG_PjSI_PS9_EEDaS16_S17_SN_SS_EUlS16_E_NS1_11comp_targetILNS1_3genE5ELNS1_11target_archE942ELNS1_3gpuE9ELNS1_3repE0EEENS1_47radix_sort_onesweep_sort_config_static_selectorELNS0_4arch9wavefront6targetE0EEEvSN_,comdat
	.protected	_ZN7rocprim17ROCPRIM_400000_NS6detail17trampoline_kernelINS0_14default_configENS1_35radix_sort_onesweep_config_selectorIjN6thrust23THRUST_200600_302600_NS5tupleIffNS6_9null_typeES8_S8_S8_S8_S8_S8_S8_EEEEZZNS1_29radix_sort_onesweep_iterationIS3_Lb0ENS6_6detail15normal_iteratorINS6_10device_ptrIjEEEESG_NSD_INSE_IS9_EEEESI_jNS0_19identity_decomposerENS1_16block_id_wrapperIjLb0EEEEE10hipError_tT1_PNSt15iterator_traitsISN_E10value_typeET2_T3_PNSO_IST_E10value_typeET4_T5_PSY_SZ_PNS1_23onesweep_lookback_stateEbbT6_jjT7_P12ihipStream_tbENKUlT_T0_SN_SS_E_clISG_PjSI_PS9_EEDaS16_S17_SN_SS_EUlS16_E_NS1_11comp_targetILNS1_3genE5ELNS1_11target_archE942ELNS1_3gpuE9ELNS1_3repE0EEENS1_47radix_sort_onesweep_sort_config_static_selectorELNS0_4arch9wavefront6targetE0EEEvSN_ ; -- Begin function _ZN7rocprim17ROCPRIM_400000_NS6detail17trampoline_kernelINS0_14default_configENS1_35radix_sort_onesweep_config_selectorIjN6thrust23THRUST_200600_302600_NS5tupleIffNS6_9null_typeES8_S8_S8_S8_S8_S8_S8_EEEEZZNS1_29radix_sort_onesweep_iterationIS3_Lb0ENS6_6detail15normal_iteratorINS6_10device_ptrIjEEEESG_NSD_INSE_IS9_EEEESI_jNS0_19identity_decomposerENS1_16block_id_wrapperIjLb0EEEEE10hipError_tT1_PNSt15iterator_traitsISN_E10value_typeET2_T3_PNSO_IST_E10value_typeET4_T5_PSY_SZ_PNS1_23onesweep_lookback_stateEbbT6_jjT7_P12ihipStream_tbENKUlT_T0_SN_SS_E_clISG_PjSI_PS9_EEDaS16_S17_SN_SS_EUlS16_E_NS1_11comp_targetILNS1_3genE5ELNS1_11target_archE942ELNS1_3gpuE9ELNS1_3repE0EEENS1_47radix_sort_onesweep_sort_config_static_selectorELNS0_4arch9wavefront6targetE0EEEvSN_
	.globl	_ZN7rocprim17ROCPRIM_400000_NS6detail17trampoline_kernelINS0_14default_configENS1_35radix_sort_onesweep_config_selectorIjN6thrust23THRUST_200600_302600_NS5tupleIffNS6_9null_typeES8_S8_S8_S8_S8_S8_S8_EEEEZZNS1_29radix_sort_onesweep_iterationIS3_Lb0ENS6_6detail15normal_iteratorINS6_10device_ptrIjEEEESG_NSD_INSE_IS9_EEEESI_jNS0_19identity_decomposerENS1_16block_id_wrapperIjLb0EEEEE10hipError_tT1_PNSt15iterator_traitsISN_E10value_typeET2_T3_PNSO_IST_E10value_typeET4_T5_PSY_SZ_PNS1_23onesweep_lookback_stateEbbT6_jjT7_P12ihipStream_tbENKUlT_T0_SN_SS_E_clISG_PjSI_PS9_EEDaS16_S17_SN_SS_EUlS16_E_NS1_11comp_targetILNS1_3genE5ELNS1_11target_archE942ELNS1_3gpuE9ELNS1_3repE0EEENS1_47radix_sort_onesweep_sort_config_static_selectorELNS0_4arch9wavefront6targetE0EEEvSN_
	.p2align	8
	.type	_ZN7rocprim17ROCPRIM_400000_NS6detail17trampoline_kernelINS0_14default_configENS1_35radix_sort_onesweep_config_selectorIjN6thrust23THRUST_200600_302600_NS5tupleIffNS6_9null_typeES8_S8_S8_S8_S8_S8_S8_EEEEZZNS1_29radix_sort_onesweep_iterationIS3_Lb0ENS6_6detail15normal_iteratorINS6_10device_ptrIjEEEESG_NSD_INSE_IS9_EEEESI_jNS0_19identity_decomposerENS1_16block_id_wrapperIjLb0EEEEE10hipError_tT1_PNSt15iterator_traitsISN_E10value_typeET2_T3_PNSO_IST_E10value_typeET4_T5_PSY_SZ_PNS1_23onesweep_lookback_stateEbbT6_jjT7_P12ihipStream_tbENKUlT_T0_SN_SS_E_clISG_PjSI_PS9_EEDaS16_S17_SN_SS_EUlS16_E_NS1_11comp_targetILNS1_3genE5ELNS1_11target_archE942ELNS1_3gpuE9ELNS1_3repE0EEENS1_47radix_sort_onesweep_sort_config_static_selectorELNS0_4arch9wavefront6targetE0EEEvSN_,@function
_ZN7rocprim17ROCPRIM_400000_NS6detail17trampoline_kernelINS0_14default_configENS1_35radix_sort_onesweep_config_selectorIjN6thrust23THRUST_200600_302600_NS5tupleIffNS6_9null_typeES8_S8_S8_S8_S8_S8_S8_EEEEZZNS1_29radix_sort_onesweep_iterationIS3_Lb0ENS6_6detail15normal_iteratorINS6_10device_ptrIjEEEESG_NSD_INSE_IS9_EEEESI_jNS0_19identity_decomposerENS1_16block_id_wrapperIjLb0EEEEE10hipError_tT1_PNSt15iterator_traitsISN_E10value_typeET2_T3_PNSO_IST_E10value_typeET4_T5_PSY_SZ_PNS1_23onesweep_lookback_stateEbbT6_jjT7_P12ihipStream_tbENKUlT_T0_SN_SS_E_clISG_PjSI_PS9_EEDaS16_S17_SN_SS_EUlS16_E_NS1_11comp_targetILNS1_3genE5ELNS1_11target_archE942ELNS1_3gpuE9ELNS1_3repE0EEENS1_47radix_sort_onesweep_sort_config_static_selectorELNS0_4arch9wavefront6targetE0EEEvSN_: ; @_ZN7rocprim17ROCPRIM_400000_NS6detail17trampoline_kernelINS0_14default_configENS1_35radix_sort_onesweep_config_selectorIjN6thrust23THRUST_200600_302600_NS5tupleIffNS6_9null_typeES8_S8_S8_S8_S8_S8_S8_EEEEZZNS1_29radix_sort_onesweep_iterationIS3_Lb0ENS6_6detail15normal_iteratorINS6_10device_ptrIjEEEESG_NSD_INSE_IS9_EEEESI_jNS0_19identity_decomposerENS1_16block_id_wrapperIjLb0EEEEE10hipError_tT1_PNSt15iterator_traitsISN_E10value_typeET2_T3_PNSO_IST_E10value_typeET4_T5_PSY_SZ_PNS1_23onesweep_lookback_stateEbbT6_jjT7_P12ihipStream_tbENKUlT_T0_SN_SS_E_clISG_PjSI_PS9_EEDaS16_S17_SN_SS_EUlS16_E_NS1_11comp_targetILNS1_3genE5ELNS1_11target_archE942ELNS1_3gpuE9ELNS1_3repE0EEENS1_47radix_sort_onesweep_sort_config_static_selectorELNS0_4arch9wavefront6targetE0EEEvSN_
; %bb.0:
	.section	.rodata,"a",@progbits
	.p2align	6, 0x0
	.amdhsa_kernel _ZN7rocprim17ROCPRIM_400000_NS6detail17trampoline_kernelINS0_14default_configENS1_35radix_sort_onesweep_config_selectorIjN6thrust23THRUST_200600_302600_NS5tupleIffNS6_9null_typeES8_S8_S8_S8_S8_S8_S8_EEEEZZNS1_29radix_sort_onesweep_iterationIS3_Lb0ENS6_6detail15normal_iteratorINS6_10device_ptrIjEEEESG_NSD_INSE_IS9_EEEESI_jNS0_19identity_decomposerENS1_16block_id_wrapperIjLb0EEEEE10hipError_tT1_PNSt15iterator_traitsISN_E10value_typeET2_T3_PNSO_IST_E10value_typeET4_T5_PSY_SZ_PNS1_23onesweep_lookback_stateEbbT6_jjT7_P12ihipStream_tbENKUlT_T0_SN_SS_E_clISG_PjSI_PS9_EEDaS16_S17_SN_SS_EUlS16_E_NS1_11comp_targetILNS1_3genE5ELNS1_11target_archE942ELNS1_3gpuE9ELNS1_3repE0EEENS1_47radix_sort_onesweep_sort_config_static_selectorELNS0_4arch9wavefront6targetE0EEEvSN_
		.amdhsa_group_segment_fixed_size 0
		.amdhsa_private_segment_fixed_size 0
		.amdhsa_kernarg_size 88
		.amdhsa_user_sgpr_count 2
		.amdhsa_user_sgpr_dispatch_ptr 0
		.amdhsa_user_sgpr_queue_ptr 0
		.amdhsa_user_sgpr_kernarg_segment_ptr 1
		.amdhsa_user_sgpr_dispatch_id 0
		.amdhsa_user_sgpr_private_segment_size 0
		.amdhsa_wavefront_size32 1
		.amdhsa_uses_dynamic_stack 0
		.amdhsa_enable_private_segment 0
		.amdhsa_system_sgpr_workgroup_id_x 1
		.amdhsa_system_sgpr_workgroup_id_y 0
		.amdhsa_system_sgpr_workgroup_id_z 0
		.amdhsa_system_sgpr_workgroup_info 0
		.amdhsa_system_vgpr_workitem_id 0
		.amdhsa_next_free_vgpr 1
		.amdhsa_next_free_sgpr 1
		.amdhsa_reserve_vcc 0
		.amdhsa_float_round_mode_32 0
		.amdhsa_float_round_mode_16_64 0
		.amdhsa_float_denorm_mode_32 3
		.amdhsa_float_denorm_mode_16_64 3
		.amdhsa_fp16_overflow 0
		.amdhsa_workgroup_processor_mode 1
		.amdhsa_memory_ordered 1
		.amdhsa_forward_progress 1
		.amdhsa_inst_pref_size 0
		.amdhsa_round_robin_scheduling 0
		.amdhsa_exception_fp_ieee_invalid_op 0
		.amdhsa_exception_fp_denorm_src 0
		.amdhsa_exception_fp_ieee_div_zero 0
		.amdhsa_exception_fp_ieee_overflow 0
		.amdhsa_exception_fp_ieee_underflow 0
		.amdhsa_exception_fp_ieee_inexact 0
		.amdhsa_exception_int_div_zero 0
	.end_amdhsa_kernel
	.section	.text._ZN7rocprim17ROCPRIM_400000_NS6detail17trampoline_kernelINS0_14default_configENS1_35radix_sort_onesweep_config_selectorIjN6thrust23THRUST_200600_302600_NS5tupleIffNS6_9null_typeES8_S8_S8_S8_S8_S8_S8_EEEEZZNS1_29radix_sort_onesweep_iterationIS3_Lb0ENS6_6detail15normal_iteratorINS6_10device_ptrIjEEEESG_NSD_INSE_IS9_EEEESI_jNS0_19identity_decomposerENS1_16block_id_wrapperIjLb0EEEEE10hipError_tT1_PNSt15iterator_traitsISN_E10value_typeET2_T3_PNSO_IST_E10value_typeET4_T5_PSY_SZ_PNS1_23onesweep_lookback_stateEbbT6_jjT7_P12ihipStream_tbENKUlT_T0_SN_SS_E_clISG_PjSI_PS9_EEDaS16_S17_SN_SS_EUlS16_E_NS1_11comp_targetILNS1_3genE5ELNS1_11target_archE942ELNS1_3gpuE9ELNS1_3repE0EEENS1_47radix_sort_onesweep_sort_config_static_selectorELNS0_4arch9wavefront6targetE0EEEvSN_,"axG",@progbits,_ZN7rocprim17ROCPRIM_400000_NS6detail17trampoline_kernelINS0_14default_configENS1_35radix_sort_onesweep_config_selectorIjN6thrust23THRUST_200600_302600_NS5tupleIffNS6_9null_typeES8_S8_S8_S8_S8_S8_S8_EEEEZZNS1_29radix_sort_onesweep_iterationIS3_Lb0ENS6_6detail15normal_iteratorINS6_10device_ptrIjEEEESG_NSD_INSE_IS9_EEEESI_jNS0_19identity_decomposerENS1_16block_id_wrapperIjLb0EEEEE10hipError_tT1_PNSt15iterator_traitsISN_E10value_typeET2_T3_PNSO_IST_E10value_typeET4_T5_PSY_SZ_PNS1_23onesweep_lookback_stateEbbT6_jjT7_P12ihipStream_tbENKUlT_T0_SN_SS_E_clISG_PjSI_PS9_EEDaS16_S17_SN_SS_EUlS16_E_NS1_11comp_targetILNS1_3genE5ELNS1_11target_archE942ELNS1_3gpuE9ELNS1_3repE0EEENS1_47radix_sort_onesweep_sort_config_static_selectorELNS0_4arch9wavefront6targetE0EEEvSN_,comdat
.Lfunc_end213:
	.size	_ZN7rocprim17ROCPRIM_400000_NS6detail17trampoline_kernelINS0_14default_configENS1_35radix_sort_onesweep_config_selectorIjN6thrust23THRUST_200600_302600_NS5tupleIffNS6_9null_typeES8_S8_S8_S8_S8_S8_S8_EEEEZZNS1_29radix_sort_onesweep_iterationIS3_Lb0ENS6_6detail15normal_iteratorINS6_10device_ptrIjEEEESG_NSD_INSE_IS9_EEEESI_jNS0_19identity_decomposerENS1_16block_id_wrapperIjLb0EEEEE10hipError_tT1_PNSt15iterator_traitsISN_E10value_typeET2_T3_PNSO_IST_E10value_typeET4_T5_PSY_SZ_PNS1_23onesweep_lookback_stateEbbT6_jjT7_P12ihipStream_tbENKUlT_T0_SN_SS_E_clISG_PjSI_PS9_EEDaS16_S17_SN_SS_EUlS16_E_NS1_11comp_targetILNS1_3genE5ELNS1_11target_archE942ELNS1_3gpuE9ELNS1_3repE0EEENS1_47radix_sort_onesweep_sort_config_static_selectorELNS0_4arch9wavefront6targetE0EEEvSN_, .Lfunc_end213-_ZN7rocprim17ROCPRIM_400000_NS6detail17trampoline_kernelINS0_14default_configENS1_35radix_sort_onesweep_config_selectorIjN6thrust23THRUST_200600_302600_NS5tupleIffNS6_9null_typeES8_S8_S8_S8_S8_S8_S8_EEEEZZNS1_29radix_sort_onesweep_iterationIS3_Lb0ENS6_6detail15normal_iteratorINS6_10device_ptrIjEEEESG_NSD_INSE_IS9_EEEESI_jNS0_19identity_decomposerENS1_16block_id_wrapperIjLb0EEEEE10hipError_tT1_PNSt15iterator_traitsISN_E10value_typeET2_T3_PNSO_IST_E10value_typeET4_T5_PSY_SZ_PNS1_23onesweep_lookback_stateEbbT6_jjT7_P12ihipStream_tbENKUlT_T0_SN_SS_E_clISG_PjSI_PS9_EEDaS16_S17_SN_SS_EUlS16_E_NS1_11comp_targetILNS1_3genE5ELNS1_11target_archE942ELNS1_3gpuE9ELNS1_3repE0EEENS1_47radix_sort_onesweep_sort_config_static_selectorELNS0_4arch9wavefront6targetE0EEEvSN_
                                        ; -- End function
	.set _ZN7rocprim17ROCPRIM_400000_NS6detail17trampoline_kernelINS0_14default_configENS1_35radix_sort_onesweep_config_selectorIjN6thrust23THRUST_200600_302600_NS5tupleIffNS6_9null_typeES8_S8_S8_S8_S8_S8_S8_EEEEZZNS1_29radix_sort_onesweep_iterationIS3_Lb0ENS6_6detail15normal_iteratorINS6_10device_ptrIjEEEESG_NSD_INSE_IS9_EEEESI_jNS0_19identity_decomposerENS1_16block_id_wrapperIjLb0EEEEE10hipError_tT1_PNSt15iterator_traitsISN_E10value_typeET2_T3_PNSO_IST_E10value_typeET4_T5_PSY_SZ_PNS1_23onesweep_lookback_stateEbbT6_jjT7_P12ihipStream_tbENKUlT_T0_SN_SS_E_clISG_PjSI_PS9_EEDaS16_S17_SN_SS_EUlS16_E_NS1_11comp_targetILNS1_3genE5ELNS1_11target_archE942ELNS1_3gpuE9ELNS1_3repE0EEENS1_47radix_sort_onesweep_sort_config_static_selectorELNS0_4arch9wavefront6targetE0EEEvSN_.num_vgpr, 0
	.set _ZN7rocprim17ROCPRIM_400000_NS6detail17trampoline_kernelINS0_14default_configENS1_35radix_sort_onesweep_config_selectorIjN6thrust23THRUST_200600_302600_NS5tupleIffNS6_9null_typeES8_S8_S8_S8_S8_S8_S8_EEEEZZNS1_29radix_sort_onesweep_iterationIS3_Lb0ENS6_6detail15normal_iteratorINS6_10device_ptrIjEEEESG_NSD_INSE_IS9_EEEESI_jNS0_19identity_decomposerENS1_16block_id_wrapperIjLb0EEEEE10hipError_tT1_PNSt15iterator_traitsISN_E10value_typeET2_T3_PNSO_IST_E10value_typeET4_T5_PSY_SZ_PNS1_23onesweep_lookback_stateEbbT6_jjT7_P12ihipStream_tbENKUlT_T0_SN_SS_E_clISG_PjSI_PS9_EEDaS16_S17_SN_SS_EUlS16_E_NS1_11comp_targetILNS1_3genE5ELNS1_11target_archE942ELNS1_3gpuE9ELNS1_3repE0EEENS1_47radix_sort_onesweep_sort_config_static_selectorELNS0_4arch9wavefront6targetE0EEEvSN_.num_agpr, 0
	.set _ZN7rocprim17ROCPRIM_400000_NS6detail17trampoline_kernelINS0_14default_configENS1_35radix_sort_onesweep_config_selectorIjN6thrust23THRUST_200600_302600_NS5tupleIffNS6_9null_typeES8_S8_S8_S8_S8_S8_S8_EEEEZZNS1_29radix_sort_onesweep_iterationIS3_Lb0ENS6_6detail15normal_iteratorINS6_10device_ptrIjEEEESG_NSD_INSE_IS9_EEEESI_jNS0_19identity_decomposerENS1_16block_id_wrapperIjLb0EEEEE10hipError_tT1_PNSt15iterator_traitsISN_E10value_typeET2_T3_PNSO_IST_E10value_typeET4_T5_PSY_SZ_PNS1_23onesweep_lookback_stateEbbT6_jjT7_P12ihipStream_tbENKUlT_T0_SN_SS_E_clISG_PjSI_PS9_EEDaS16_S17_SN_SS_EUlS16_E_NS1_11comp_targetILNS1_3genE5ELNS1_11target_archE942ELNS1_3gpuE9ELNS1_3repE0EEENS1_47radix_sort_onesweep_sort_config_static_selectorELNS0_4arch9wavefront6targetE0EEEvSN_.numbered_sgpr, 0
	.set _ZN7rocprim17ROCPRIM_400000_NS6detail17trampoline_kernelINS0_14default_configENS1_35radix_sort_onesweep_config_selectorIjN6thrust23THRUST_200600_302600_NS5tupleIffNS6_9null_typeES8_S8_S8_S8_S8_S8_S8_EEEEZZNS1_29radix_sort_onesweep_iterationIS3_Lb0ENS6_6detail15normal_iteratorINS6_10device_ptrIjEEEESG_NSD_INSE_IS9_EEEESI_jNS0_19identity_decomposerENS1_16block_id_wrapperIjLb0EEEEE10hipError_tT1_PNSt15iterator_traitsISN_E10value_typeET2_T3_PNSO_IST_E10value_typeET4_T5_PSY_SZ_PNS1_23onesweep_lookback_stateEbbT6_jjT7_P12ihipStream_tbENKUlT_T0_SN_SS_E_clISG_PjSI_PS9_EEDaS16_S17_SN_SS_EUlS16_E_NS1_11comp_targetILNS1_3genE5ELNS1_11target_archE942ELNS1_3gpuE9ELNS1_3repE0EEENS1_47radix_sort_onesweep_sort_config_static_selectorELNS0_4arch9wavefront6targetE0EEEvSN_.num_named_barrier, 0
	.set _ZN7rocprim17ROCPRIM_400000_NS6detail17trampoline_kernelINS0_14default_configENS1_35radix_sort_onesweep_config_selectorIjN6thrust23THRUST_200600_302600_NS5tupleIffNS6_9null_typeES8_S8_S8_S8_S8_S8_S8_EEEEZZNS1_29radix_sort_onesweep_iterationIS3_Lb0ENS6_6detail15normal_iteratorINS6_10device_ptrIjEEEESG_NSD_INSE_IS9_EEEESI_jNS0_19identity_decomposerENS1_16block_id_wrapperIjLb0EEEEE10hipError_tT1_PNSt15iterator_traitsISN_E10value_typeET2_T3_PNSO_IST_E10value_typeET4_T5_PSY_SZ_PNS1_23onesweep_lookback_stateEbbT6_jjT7_P12ihipStream_tbENKUlT_T0_SN_SS_E_clISG_PjSI_PS9_EEDaS16_S17_SN_SS_EUlS16_E_NS1_11comp_targetILNS1_3genE5ELNS1_11target_archE942ELNS1_3gpuE9ELNS1_3repE0EEENS1_47radix_sort_onesweep_sort_config_static_selectorELNS0_4arch9wavefront6targetE0EEEvSN_.private_seg_size, 0
	.set _ZN7rocprim17ROCPRIM_400000_NS6detail17trampoline_kernelINS0_14default_configENS1_35radix_sort_onesweep_config_selectorIjN6thrust23THRUST_200600_302600_NS5tupleIffNS6_9null_typeES8_S8_S8_S8_S8_S8_S8_EEEEZZNS1_29radix_sort_onesweep_iterationIS3_Lb0ENS6_6detail15normal_iteratorINS6_10device_ptrIjEEEESG_NSD_INSE_IS9_EEEESI_jNS0_19identity_decomposerENS1_16block_id_wrapperIjLb0EEEEE10hipError_tT1_PNSt15iterator_traitsISN_E10value_typeET2_T3_PNSO_IST_E10value_typeET4_T5_PSY_SZ_PNS1_23onesweep_lookback_stateEbbT6_jjT7_P12ihipStream_tbENKUlT_T0_SN_SS_E_clISG_PjSI_PS9_EEDaS16_S17_SN_SS_EUlS16_E_NS1_11comp_targetILNS1_3genE5ELNS1_11target_archE942ELNS1_3gpuE9ELNS1_3repE0EEENS1_47radix_sort_onesweep_sort_config_static_selectorELNS0_4arch9wavefront6targetE0EEEvSN_.uses_vcc, 0
	.set _ZN7rocprim17ROCPRIM_400000_NS6detail17trampoline_kernelINS0_14default_configENS1_35radix_sort_onesweep_config_selectorIjN6thrust23THRUST_200600_302600_NS5tupleIffNS6_9null_typeES8_S8_S8_S8_S8_S8_S8_EEEEZZNS1_29radix_sort_onesweep_iterationIS3_Lb0ENS6_6detail15normal_iteratorINS6_10device_ptrIjEEEESG_NSD_INSE_IS9_EEEESI_jNS0_19identity_decomposerENS1_16block_id_wrapperIjLb0EEEEE10hipError_tT1_PNSt15iterator_traitsISN_E10value_typeET2_T3_PNSO_IST_E10value_typeET4_T5_PSY_SZ_PNS1_23onesweep_lookback_stateEbbT6_jjT7_P12ihipStream_tbENKUlT_T0_SN_SS_E_clISG_PjSI_PS9_EEDaS16_S17_SN_SS_EUlS16_E_NS1_11comp_targetILNS1_3genE5ELNS1_11target_archE942ELNS1_3gpuE9ELNS1_3repE0EEENS1_47radix_sort_onesweep_sort_config_static_selectorELNS0_4arch9wavefront6targetE0EEEvSN_.uses_flat_scratch, 0
	.set _ZN7rocprim17ROCPRIM_400000_NS6detail17trampoline_kernelINS0_14default_configENS1_35radix_sort_onesweep_config_selectorIjN6thrust23THRUST_200600_302600_NS5tupleIffNS6_9null_typeES8_S8_S8_S8_S8_S8_S8_EEEEZZNS1_29radix_sort_onesweep_iterationIS3_Lb0ENS6_6detail15normal_iteratorINS6_10device_ptrIjEEEESG_NSD_INSE_IS9_EEEESI_jNS0_19identity_decomposerENS1_16block_id_wrapperIjLb0EEEEE10hipError_tT1_PNSt15iterator_traitsISN_E10value_typeET2_T3_PNSO_IST_E10value_typeET4_T5_PSY_SZ_PNS1_23onesweep_lookback_stateEbbT6_jjT7_P12ihipStream_tbENKUlT_T0_SN_SS_E_clISG_PjSI_PS9_EEDaS16_S17_SN_SS_EUlS16_E_NS1_11comp_targetILNS1_3genE5ELNS1_11target_archE942ELNS1_3gpuE9ELNS1_3repE0EEENS1_47radix_sort_onesweep_sort_config_static_selectorELNS0_4arch9wavefront6targetE0EEEvSN_.has_dyn_sized_stack, 0
	.set _ZN7rocprim17ROCPRIM_400000_NS6detail17trampoline_kernelINS0_14default_configENS1_35radix_sort_onesweep_config_selectorIjN6thrust23THRUST_200600_302600_NS5tupleIffNS6_9null_typeES8_S8_S8_S8_S8_S8_S8_EEEEZZNS1_29radix_sort_onesweep_iterationIS3_Lb0ENS6_6detail15normal_iteratorINS6_10device_ptrIjEEEESG_NSD_INSE_IS9_EEEESI_jNS0_19identity_decomposerENS1_16block_id_wrapperIjLb0EEEEE10hipError_tT1_PNSt15iterator_traitsISN_E10value_typeET2_T3_PNSO_IST_E10value_typeET4_T5_PSY_SZ_PNS1_23onesweep_lookback_stateEbbT6_jjT7_P12ihipStream_tbENKUlT_T0_SN_SS_E_clISG_PjSI_PS9_EEDaS16_S17_SN_SS_EUlS16_E_NS1_11comp_targetILNS1_3genE5ELNS1_11target_archE942ELNS1_3gpuE9ELNS1_3repE0EEENS1_47radix_sort_onesweep_sort_config_static_selectorELNS0_4arch9wavefront6targetE0EEEvSN_.has_recursion, 0
	.set _ZN7rocprim17ROCPRIM_400000_NS6detail17trampoline_kernelINS0_14default_configENS1_35radix_sort_onesweep_config_selectorIjN6thrust23THRUST_200600_302600_NS5tupleIffNS6_9null_typeES8_S8_S8_S8_S8_S8_S8_EEEEZZNS1_29radix_sort_onesweep_iterationIS3_Lb0ENS6_6detail15normal_iteratorINS6_10device_ptrIjEEEESG_NSD_INSE_IS9_EEEESI_jNS0_19identity_decomposerENS1_16block_id_wrapperIjLb0EEEEE10hipError_tT1_PNSt15iterator_traitsISN_E10value_typeET2_T3_PNSO_IST_E10value_typeET4_T5_PSY_SZ_PNS1_23onesweep_lookback_stateEbbT6_jjT7_P12ihipStream_tbENKUlT_T0_SN_SS_E_clISG_PjSI_PS9_EEDaS16_S17_SN_SS_EUlS16_E_NS1_11comp_targetILNS1_3genE5ELNS1_11target_archE942ELNS1_3gpuE9ELNS1_3repE0EEENS1_47radix_sort_onesweep_sort_config_static_selectorELNS0_4arch9wavefront6targetE0EEEvSN_.has_indirect_call, 0
	.section	.AMDGPU.csdata,"",@progbits
; Kernel info:
; codeLenInByte = 0
; TotalNumSgprs: 0
; NumVgprs: 0
; ScratchSize: 0
; MemoryBound: 0
; FloatMode: 240
; IeeeMode: 1
; LDSByteSize: 0 bytes/workgroup (compile time only)
; SGPRBlocks: 0
; VGPRBlocks: 0
; NumSGPRsForWavesPerEU: 1
; NumVGPRsForWavesPerEU: 1
; Occupancy: 16
; WaveLimiterHint : 0
; COMPUTE_PGM_RSRC2:SCRATCH_EN: 0
; COMPUTE_PGM_RSRC2:USER_SGPR: 2
; COMPUTE_PGM_RSRC2:TRAP_HANDLER: 0
; COMPUTE_PGM_RSRC2:TGID_X_EN: 1
; COMPUTE_PGM_RSRC2:TGID_Y_EN: 0
; COMPUTE_PGM_RSRC2:TGID_Z_EN: 0
; COMPUTE_PGM_RSRC2:TIDIG_COMP_CNT: 0
	.section	.text._ZN7rocprim17ROCPRIM_400000_NS6detail17trampoline_kernelINS0_14default_configENS1_35radix_sort_onesweep_config_selectorIjN6thrust23THRUST_200600_302600_NS5tupleIffNS6_9null_typeES8_S8_S8_S8_S8_S8_S8_EEEEZZNS1_29radix_sort_onesweep_iterationIS3_Lb0ENS6_6detail15normal_iteratorINS6_10device_ptrIjEEEESG_NSD_INSE_IS9_EEEESI_jNS0_19identity_decomposerENS1_16block_id_wrapperIjLb0EEEEE10hipError_tT1_PNSt15iterator_traitsISN_E10value_typeET2_T3_PNSO_IST_E10value_typeET4_T5_PSY_SZ_PNS1_23onesweep_lookback_stateEbbT6_jjT7_P12ihipStream_tbENKUlT_T0_SN_SS_E_clISG_PjSI_PS9_EEDaS16_S17_SN_SS_EUlS16_E_NS1_11comp_targetILNS1_3genE2ELNS1_11target_archE906ELNS1_3gpuE6ELNS1_3repE0EEENS1_47radix_sort_onesweep_sort_config_static_selectorELNS0_4arch9wavefront6targetE0EEEvSN_,"axG",@progbits,_ZN7rocprim17ROCPRIM_400000_NS6detail17trampoline_kernelINS0_14default_configENS1_35radix_sort_onesweep_config_selectorIjN6thrust23THRUST_200600_302600_NS5tupleIffNS6_9null_typeES8_S8_S8_S8_S8_S8_S8_EEEEZZNS1_29radix_sort_onesweep_iterationIS3_Lb0ENS6_6detail15normal_iteratorINS6_10device_ptrIjEEEESG_NSD_INSE_IS9_EEEESI_jNS0_19identity_decomposerENS1_16block_id_wrapperIjLb0EEEEE10hipError_tT1_PNSt15iterator_traitsISN_E10value_typeET2_T3_PNSO_IST_E10value_typeET4_T5_PSY_SZ_PNS1_23onesweep_lookback_stateEbbT6_jjT7_P12ihipStream_tbENKUlT_T0_SN_SS_E_clISG_PjSI_PS9_EEDaS16_S17_SN_SS_EUlS16_E_NS1_11comp_targetILNS1_3genE2ELNS1_11target_archE906ELNS1_3gpuE6ELNS1_3repE0EEENS1_47radix_sort_onesweep_sort_config_static_selectorELNS0_4arch9wavefront6targetE0EEEvSN_,comdat
	.protected	_ZN7rocprim17ROCPRIM_400000_NS6detail17trampoline_kernelINS0_14default_configENS1_35radix_sort_onesweep_config_selectorIjN6thrust23THRUST_200600_302600_NS5tupleIffNS6_9null_typeES8_S8_S8_S8_S8_S8_S8_EEEEZZNS1_29radix_sort_onesweep_iterationIS3_Lb0ENS6_6detail15normal_iteratorINS6_10device_ptrIjEEEESG_NSD_INSE_IS9_EEEESI_jNS0_19identity_decomposerENS1_16block_id_wrapperIjLb0EEEEE10hipError_tT1_PNSt15iterator_traitsISN_E10value_typeET2_T3_PNSO_IST_E10value_typeET4_T5_PSY_SZ_PNS1_23onesweep_lookback_stateEbbT6_jjT7_P12ihipStream_tbENKUlT_T0_SN_SS_E_clISG_PjSI_PS9_EEDaS16_S17_SN_SS_EUlS16_E_NS1_11comp_targetILNS1_3genE2ELNS1_11target_archE906ELNS1_3gpuE6ELNS1_3repE0EEENS1_47radix_sort_onesweep_sort_config_static_selectorELNS0_4arch9wavefront6targetE0EEEvSN_ ; -- Begin function _ZN7rocprim17ROCPRIM_400000_NS6detail17trampoline_kernelINS0_14default_configENS1_35radix_sort_onesweep_config_selectorIjN6thrust23THRUST_200600_302600_NS5tupleIffNS6_9null_typeES8_S8_S8_S8_S8_S8_S8_EEEEZZNS1_29radix_sort_onesweep_iterationIS3_Lb0ENS6_6detail15normal_iteratorINS6_10device_ptrIjEEEESG_NSD_INSE_IS9_EEEESI_jNS0_19identity_decomposerENS1_16block_id_wrapperIjLb0EEEEE10hipError_tT1_PNSt15iterator_traitsISN_E10value_typeET2_T3_PNSO_IST_E10value_typeET4_T5_PSY_SZ_PNS1_23onesweep_lookback_stateEbbT6_jjT7_P12ihipStream_tbENKUlT_T0_SN_SS_E_clISG_PjSI_PS9_EEDaS16_S17_SN_SS_EUlS16_E_NS1_11comp_targetILNS1_3genE2ELNS1_11target_archE906ELNS1_3gpuE6ELNS1_3repE0EEENS1_47radix_sort_onesweep_sort_config_static_selectorELNS0_4arch9wavefront6targetE0EEEvSN_
	.globl	_ZN7rocprim17ROCPRIM_400000_NS6detail17trampoline_kernelINS0_14default_configENS1_35radix_sort_onesweep_config_selectorIjN6thrust23THRUST_200600_302600_NS5tupleIffNS6_9null_typeES8_S8_S8_S8_S8_S8_S8_EEEEZZNS1_29radix_sort_onesweep_iterationIS3_Lb0ENS6_6detail15normal_iteratorINS6_10device_ptrIjEEEESG_NSD_INSE_IS9_EEEESI_jNS0_19identity_decomposerENS1_16block_id_wrapperIjLb0EEEEE10hipError_tT1_PNSt15iterator_traitsISN_E10value_typeET2_T3_PNSO_IST_E10value_typeET4_T5_PSY_SZ_PNS1_23onesweep_lookback_stateEbbT6_jjT7_P12ihipStream_tbENKUlT_T0_SN_SS_E_clISG_PjSI_PS9_EEDaS16_S17_SN_SS_EUlS16_E_NS1_11comp_targetILNS1_3genE2ELNS1_11target_archE906ELNS1_3gpuE6ELNS1_3repE0EEENS1_47radix_sort_onesweep_sort_config_static_selectorELNS0_4arch9wavefront6targetE0EEEvSN_
	.p2align	8
	.type	_ZN7rocprim17ROCPRIM_400000_NS6detail17trampoline_kernelINS0_14default_configENS1_35radix_sort_onesweep_config_selectorIjN6thrust23THRUST_200600_302600_NS5tupleIffNS6_9null_typeES8_S8_S8_S8_S8_S8_S8_EEEEZZNS1_29radix_sort_onesweep_iterationIS3_Lb0ENS6_6detail15normal_iteratorINS6_10device_ptrIjEEEESG_NSD_INSE_IS9_EEEESI_jNS0_19identity_decomposerENS1_16block_id_wrapperIjLb0EEEEE10hipError_tT1_PNSt15iterator_traitsISN_E10value_typeET2_T3_PNSO_IST_E10value_typeET4_T5_PSY_SZ_PNS1_23onesweep_lookback_stateEbbT6_jjT7_P12ihipStream_tbENKUlT_T0_SN_SS_E_clISG_PjSI_PS9_EEDaS16_S17_SN_SS_EUlS16_E_NS1_11comp_targetILNS1_3genE2ELNS1_11target_archE906ELNS1_3gpuE6ELNS1_3repE0EEENS1_47radix_sort_onesweep_sort_config_static_selectorELNS0_4arch9wavefront6targetE0EEEvSN_,@function
_ZN7rocprim17ROCPRIM_400000_NS6detail17trampoline_kernelINS0_14default_configENS1_35radix_sort_onesweep_config_selectorIjN6thrust23THRUST_200600_302600_NS5tupleIffNS6_9null_typeES8_S8_S8_S8_S8_S8_S8_EEEEZZNS1_29radix_sort_onesweep_iterationIS3_Lb0ENS6_6detail15normal_iteratorINS6_10device_ptrIjEEEESG_NSD_INSE_IS9_EEEESI_jNS0_19identity_decomposerENS1_16block_id_wrapperIjLb0EEEEE10hipError_tT1_PNSt15iterator_traitsISN_E10value_typeET2_T3_PNSO_IST_E10value_typeET4_T5_PSY_SZ_PNS1_23onesweep_lookback_stateEbbT6_jjT7_P12ihipStream_tbENKUlT_T0_SN_SS_E_clISG_PjSI_PS9_EEDaS16_S17_SN_SS_EUlS16_E_NS1_11comp_targetILNS1_3genE2ELNS1_11target_archE906ELNS1_3gpuE6ELNS1_3repE0EEENS1_47radix_sort_onesweep_sort_config_static_selectorELNS0_4arch9wavefront6targetE0EEEvSN_: ; @_ZN7rocprim17ROCPRIM_400000_NS6detail17trampoline_kernelINS0_14default_configENS1_35radix_sort_onesweep_config_selectorIjN6thrust23THRUST_200600_302600_NS5tupleIffNS6_9null_typeES8_S8_S8_S8_S8_S8_S8_EEEEZZNS1_29radix_sort_onesweep_iterationIS3_Lb0ENS6_6detail15normal_iteratorINS6_10device_ptrIjEEEESG_NSD_INSE_IS9_EEEESI_jNS0_19identity_decomposerENS1_16block_id_wrapperIjLb0EEEEE10hipError_tT1_PNSt15iterator_traitsISN_E10value_typeET2_T3_PNSO_IST_E10value_typeET4_T5_PSY_SZ_PNS1_23onesweep_lookback_stateEbbT6_jjT7_P12ihipStream_tbENKUlT_T0_SN_SS_E_clISG_PjSI_PS9_EEDaS16_S17_SN_SS_EUlS16_E_NS1_11comp_targetILNS1_3genE2ELNS1_11target_archE906ELNS1_3gpuE6ELNS1_3repE0EEENS1_47radix_sort_onesweep_sort_config_static_selectorELNS0_4arch9wavefront6targetE0EEEvSN_
; %bb.0:
	.section	.rodata,"a",@progbits
	.p2align	6, 0x0
	.amdhsa_kernel _ZN7rocprim17ROCPRIM_400000_NS6detail17trampoline_kernelINS0_14default_configENS1_35radix_sort_onesweep_config_selectorIjN6thrust23THRUST_200600_302600_NS5tupleIffNS6_9null_typeES8_S8_S8_S8_S8_S8_S8_EEEEZZNS1_29radix_sort_onesweep_iterationIS3_Lb0ENS6_6detail15normal_iteratorINS6_10device_ptrIjEEEESG_NSD_INSE_IS9_EEEESI_jNS0_19identity_decomposerENS1_16block_id_wrapperIjLb0EEEEE10hipError_tT1_PNSt15iterator_traitsISN_E10value_typeET2_T3_PNSO_IST_E10value_typeET4_T5_PSY_SZ_PNS1_23onesweep_lookback_stateEbbT6_jjT7_P12ihipStream_tbENKUlT_T0_SN_SS_E_clISG_PjSI_PS9_EEDaS16_S17_SN_SS_EUlS16_E_NS1_11comp_targetILNS1_3genE2ELNS1_11target_archE906ELNS1_3gpuE6ELNS1_3repE0EEENS1_47radix_sort_onesweep_sort_config_static_selectorELNS0_4arch9wavefront6targetE0EEEvSN_
		.amdhsa_group_segment_fixed_size 0
		.amdhsa_private_segment_fixed_size 0
		.amdhsa_kernarg_size 88
		.amdhsa_user_sgpr_count 2
		.amdhsa_user_sgpr_dispatch_ptr 0
		.amdhsa_user_sgpr_queue_ptr 0
		.amdhsa_user_sgpr_kernarg_segment_ptr 1
		.amdhsa_user_sgpr_dispatch_id 0
		.amdhsa_user_sgpr_private_segment_size 0
		.amdhsa_wavefront_size32 1
		.amdhsa_uses_dynamic_stack 0
		.amdhsa_enable_private_segment 0
		.amdhsa_system_sgpr_workgroup_id_x 1
		.amdhsa_system_sgpr_workgroup_id_y 0
		.amdhsa_system_sgpr_workgroup_id_z 0
		.amdhsa_system_sgpr_workgroup_info 0
		.amdhsa_system_vgpr_workitem_id 0
		.amdhsa_next_free_vgpr 1
		.amdhsa_next_free_sgpr 1
		.amdhsa_reserve_vcc 0
		.amdhsa_float_round_mode_32 0
		.amdhsa_float_round_mode_16_64 0
		.amdhsa_float_denorm_mode_32 3
		.amdhsa_float_denorm_mode_16_64 3
		.amdhsa_fp16_overflow 0
		.amdhsa_workgroup_processor_mode 1
		.amdhsa_memory_ordered 1
		.amdhsa_forward_progress 1
		.amdhsa_inst_pref_size 0
		.amdhsa_round_robin_scheduling 0
		.amdhsa_exception_fp_ieee_invalid_op 0
		.amdhsa_exception_fp_denorm_src 0
		.amdhsa_exception_fp_ieee_div_zero 0
		.amdhsa_exception_fp_ieee_overflow 0
		.amdhsa_exception_fp_ieee_underflow 0
		.amdhsa_exception_fp_ieee_inexact 0
		.amdhsa_exception_int_div_zero 0
	.end_amdhsa_kernel
	.section	.text._ZN7rocprim17ROCPRIM_400000_NS6detail17trampoline_kernelINS0_14default_configENS1_35radix_sort_onesweep_config_selectorIjN6thrust23THRUST_200600_302600_NS5tupleIffNS6_9null_typeES8_S8_S8_S8_S8_S8_S8_EEEEZZNS1_29radix_sort_onesweep_iterationIS3_Lb0ENS6_6detail15normal_iteratorINS6_10device_ptrIjEEEESG_NSD_INSE_IS9_EEEESI_jNS0_19identity_decomposerENS1_16block_id_wrapperIjLb0EEEEE10hipError_tT1_PNSt15iterator_traitsISN_E10value_typeET2_T3_PNSO_IST_E10value_typeET4_T5_PSY_SZ_PNS1_23onesweep_lookback_stateEbbT6_jjT7_P12ihipStream_tbENKUlT_T0_SN_SS_E_clISG_PjSI_PS9_EEDaS16_S17_SN_SS_EUlS16_E_NS1_11comp_targetILNS1_3genE2ELNS1_11target_archE906ELNS1_3gpuE6ELNS1_3repE0EEENS1_47radix_sort_onesweep_sort_config_static_selectorELNS0_4arch9wavefront6targetE0EEEvSN_,"axG",@progbits,_ZN7rocprim17ROCPRIM_400000_NS6detail17trampoline_kernelINS0_14default_configENS1_35radix_sort_onesweep_config_selectorIjN6thrust23THRUST_200600_302600_NS5tupleIffNS6_9null_typeES8_S8_S8_S8_S8_S8_S8_EEEEZZNS1_29radix_sort_onesweep_iterationIS3_Lb0ENS6_6detail15normal_iteratorINS6_10device_ptrIjEEEESG_NSD_INSE_IS9_EEEESI_jNS0_19identity_decomposerENS1_16block_id_wrapperIjLb0EEEEE10hipError_tT1_PNSt15iterator_traitsISN_E10value_typeET2_T3_PNSO_IST_E10value_typeET4_T5_PSY_SZ_PNS1_23onesweep_lookback_stateEbbT6_jjT7_P12ihipStream_tbENKUlT_T0_SN_SS_E_clISG_PjSI_PS9_EEDaS16_S17_SN_SS_EUlS16_E_NS1_11comp_targetILNS1_3genE2ELNS1_11target_archE906ELNS1_3gpuE6ELNS1_3repE0EEENS1_47radix_sort_onesweep_sort_config_static_selectorELNS0_4arch9wavefront6targetE0EEEvSN_,comdat
.Lfunc_end214:
	.size	_ZN7rocprim17ROCPRIM_400000_NS6detail17trampoline_kernelINS0_14default_configENS1_35radix_sort_onesweep_config_selectorIjN6thrust23THRUST_200600_302600_NS5tupleIffNS6_9null_typeES8_S8_S8_S8_S8_S8_S8_EEEEZZNS1_29radix_sort_onesweep_iterationIS3_Lb0ENS6_6detail15normal_iteratorINS6_10device_ptrIjEEEESG_NSD_INSE_IS9_EEEESI_jNS0_19identity_decomposerENS1_16block_id_wrapperIjLb0EEEEE10hipError_tT1_PNSt15iterator_traitsISN_E10value_typeET2_T3_PNSO_IST_E10value_typeET4_T5_PSY_SZ_PNS1_23onesweep_lookback_stateEbbT6_jjT7_P12ihipStream_tbENKUlT_T0_SN_SS_E_clISG_PjSI_PS9_EEDaS16_S17_SN_SS_EUlS16_E_NS1_11comp_targetILNS1_3genE2ELNS1_11target_archE906ELNS1_3gpuE6ELNS1_3repE0EEENS1_47radix_sort_onesweep_sort_config_static_selectorELNS0_4arch9wavefront6targetE0EEEvSN_, .Lfunc_end214-_ZN7rocprim17ROCPRIM_400000_NS6detail17trampoline_kernelINS0_14default_configENS1_35radix_sort_onesweep_config_selectorIjN6thrust23THRUST_200600_302600_NS5tupleIffNS6_9null_typeES8_S8_S8_S8_S8_S8_S8_EEEEZZNS1_29radix_sort_onesweep_iterationIS3_Lb0ENS6_6detail15normal_iteratorINS6_10device_ptrIjEEEESG_NSD_INSE_IS9_EEEESI_jNS0_19identity_decomposerENS1_16block_id_wrapperIjLb0EEEEE10hipError_tT1_PNSt15iterator_traitsISN_E10value_typeET2_T3_PNSO_IST_E10value_typeET4_T5_PSY_SZ_PNS1_23onesweep_lookback_stateEbbT6_jjT7_P12ihipStream_tbENKUlT_T0_SN_SS_E_clISG_PjSI_PS9_EEDaS16_S17_SN_SS_EUlS16_E_NS1_11comp_targetILNS1_3genE2ELNS1_11target_archE906ELNS1_3gpuE6ELNS1_3repE0EEENS1_47radix_sort_onesweep_sort_config_static_selectorELNS0_4arch9wavefront6targetE0EEEvSN_
                                        ; -- End function
	.set _ZN7rocprim17ROCPRIM_400000_NS6detail17trampoline_kernelINS0_14default_configENS1_35radix_sort_onesweep_config_selectorIjN6thrust23THRUST_200600_302600_NS5tupleIffNS6_9null_typeES8_S8_S8_S8_S8_S8_S8_EEEEZZNS1_29radix_sort_onesweep_iterationIS3_Lb0ENS6_6detail15normal_iteratorINS6_10device_ptrIjEEEESG_NSD_INSE_IS9_EEEESI_jNS0_19identity_decomposerENS1_16block_id_wrapperIjLb0EEEEE10hipError_tT1_PNSt15iterator_traitsISN_E10value_typeET2_T3_PNSO_IST_E10value_typeET4_T5_PSY_SZ_PNS1_23onesweep_lookback_stateEbbT6_jjT7_P12ihipStream_tbENKUlT_T0_SN_SS_E_clISG_PjSI_PS9_EEDaS16_S17_SN_SS_EUlS16_E_NS1_11comp_targetILNS1_3genE2ELNS1_11target_archE906ELNS1_3gpuE6ELNS1_3repE0EEENS1_47radix_sort_onesweep_sort_config_static_selectorELNS0_4arch9wavefront6targetE0EEEvSN_.num_vgpr, 0
	.set _ZN7rocprim17ROCPRIM_400000_NS6detail17trampoline_kernelINS0_14default_configENS1_35radix_sort_onesweep_config_selectorIjN6thrust23THRUST_200600_302600_NS5tupleIffNS6_9null_typeES8_S8_S8_S8_S8_S8_S8_EEEEZZNS1_29radix_sort_onesweep_iterationIS3_Lb0ENS6_6detail15normal_iteratorINS6_10device_ptrIjEEEESG_NSD_INSE_IS9_EEEESI_jNS0_19identity_decomposerENS1_16block_id_wrapperIjLb0EEEEE10hipError_tT1_PNSt15iterator_traitsISN_E10value_typeET2_T3_PNSO_IST_E10value_typeET4_T5_PSY_SZ_PNS1_23onesweep_lookback_stateEbbT6_jjT7_P12ihipStream_tbENKUlT_T0_SN_SS_E_clISG_PjSI_PS9_EEDaS16_S17_SN_SS_EUlS16_E_NS1_11comp_targetILNS1_3genE2ELNS1_11target_archE906ELNS1_3gpuE6ELNS1_3repE0EEENS1_47radix_sort_onesweep_sort_config_static_selectorELNS0_4arch9wavefront6targetE0EEEvSN_.num_agpr, 0
	.set _ZN7rocprim17ROCPRIM_400000_NS6detail17trampoline_kernelINS0_14default_configENS1_35radix_sort_onesweep_config_selectorIjN6thrust23THRUST_200600_302600_NS5tupleIffNS6_9null_typeES8_S8_S8_S8_S8_S8_S8_EEEEZZNS1_29radix_sort_onesweep_iterationIS3_Lb0ENS6_6detail15normal_iteratorINS6_10device_ptrIjEEEESG_NSD_INSE_IS9_EEEESI_jNS0_19identity_decomposerENS1_16block_id_wrapperIjLb0EEEEE10hipError_tT1_PNSt15iterator_traitsISN_E10value_typeET2_T3_PNSO_IST_E10value_typeET4_T5_PSY_SZ_PNS1_23onesweep_lookback_stateEbbT6_jjT7_P12ihipStream_tbENKUlT_T0_SN_SS_E_clISG_PjSI_PS9_EEDaS16_S17_SN_SS_EUlS16_E_NS1_11comp_targetILNS1_3genE2ELNS1_11target_archE906ELNS1_3gpuE6ELNS1_3repE0EEENS1_47radix_sort_onesweep_sort_config_static_selectorELNS0_4arch9wavefront6targetE0EEEvSN_.numbered_sgpr, 0
	.set _ZN7rocprim17ROCPRIM_400000_NS6detail17trampoline_kernelINS0_14default_configENS1_35radix_sort_onesweep_config_selectorIjN6thrust23THRUST_200600_302600_NS5tupleIffNS6_9null_typeES8_S8_S8_S8_S8_S8_S8_EEEEZZNS1_29radix_sort_onesweep_iterationIS3_Lb0ENS6_6detail15normal_iteratorINS6_10device_ptrIjEEEESG_NSD_INSE_IS9_EEEESI_jNS0_19identity_decomposerENS1_16block_id_wrapperIjLb0EEEEE10hipError_tT1_PNSt15iterator_traitsISN_E10value_typeET2_T3_PNSO_IST_E10value_typeET4_T5_PSY_SZ_PNS1_23onesweep_lookback_stateEbbT6_jjT7_P12ihipStream_tbENKUlT_T0_SN_SS_E_clISG_PjSI_PS9_EEDaS16_S17_SN_SS_EUlS16_E_NS1_11comp_targetILNS1_3genE2ELNS1_11target_archE906ELNS1_3gpuE6ELNS1_3repE0EEENS1_47radix_sort_onesweep_sort_config_static_selectorELNS0_4arch9wavefront6targetE0EEEvSN_.num_named_barrier, 0
	.set _ZN7rocprim17ROCPRIM_400000_NS6detail17trampoline_kernelINS0_14default_configENS1_35radix_sort_onesweep_config_selectorIjN6thrust23THRUST_200600_302600_NS5tupleIffNS6_9null_typeES8_S8_S8_S8_S8_S8_S8_EEEEZZNS1_29radix_sort_onesweep_iterationIS3_Lb0ENS6_6detail15normal_iteratorINS6_10device_ptrIjEEEESG_NSD_INSE_IS9_EEEESI_jNS0_19identity_decomposerENS1_16block_id_wrapperIjLb0EEEEE10hipError_tT1_PNSt15iterator_traitsISN_E10value_typeET2_T3_PNSO_IST_E10value_typeET4_T5_PSY_SZ_PNS1_23onesweep_lookback_stateEbbT6_jjT7_P12ihipStream_tbENKUlT_T0_SN_SS_E_clISG_PjSI_PS9_EEDaS16_S17_SN_SS_EUlS16_E_NS1_11comp_targetILNS1_3genE2ELNS1_11target_archE906ELNS1_3gpuE6ELNS1_3repE0EEENS1_47radix_sort_onesweep_sort_config_static_selectorELNS0_4arch9wavefront6targetE0EEEvSN_.private_seg_size, 0
	.set _ZN7rocprim17ROCPRIM_400000_NS6detail17trampoline_kernelINS0_14default_configENS1_35radix_sort_onesweep_config_selectorIjN6thrust23THRUST_200600_302600_NS5tupleIffNS6_9null_typeES8_S8_S8_S8_S8_S8_S8_EEEEZZNS1_29radix_sort_onesweep_iterationIS3_Lb0ENS6_6detail15normal_iteratorINS6_10device_ptrIjEEEESG_NSD_INSE_IS9_EEEESI_jNS0_19identity_decomposerENS1_16block_id_wrapperIjLb0EEEEE10hipError_tT1_PNSt15iterator_traitsISN_E10value_typeET2_T3_PNSO_IST_E10value_typeET4_T5_PSY_SZ_PNS1_23onesweep_lookback_stateEbbT6_jjT7_P12ihipStream_tbENKUlT_T0_SN_SS_E_clISG_PjSI_PS9_EEDaS16_S17_SN_SS_EUlS16_E_NS1_11comp_targetILNS1_3genE2ELNS1_11target_archE906ELNS1_3gpuE6ELNS1_3repE0EEENS1_47radix_sort_onesweep_sort_config_static_selectorELNS0_4arch9wavefront6targetE0EEEvSN_.uses_vcc, 0
	.set _ZN7rocprim17ROCPRIM_400000_NS6detail17trampoline_kernelINS0_14default_configENS1_35radix_sort_onesweep_config_selectorIjN6thrust23THRUST_200600_302600_NS5tupleIffNS6_9null_typeES8_S8_S8_S8_S8_S8_S8_EEEEZZNS1_29radix_sort_onesweep_iterationIS3_Lb0ENS6_6detail15normal_iteratorINS6_10device_ptrIjEEEESG_NSD_INSE_IS9_EEEESI_jNS0_19identity_decomposerENS1_16block_id_wrapperIjLb0EEEEE10hipError_tT1_PNSt15iterator_traitsISN_E10value_typeET2_T3_PNSO_IST_E10value_typeET4_T5_PSY_SZ_PNS1_23onesweep_lookback_stateEbbT6_jjT7_P12ihipStream_tbENKUlT_T0_SN_SS_E_clISG_PjSI_PS9_EEDaS16_S17_SN_SS_EUlS16_E_NS1_11comp_targetILNS1_3genE2ELNS1_11target_archE906ELNS1_3gpuE6ELNS1_3repE0EEENS1_47radix_sort_onesweep_sort_config_static_selectorELNS0_4arch9wavefront6targetE0EEEvSN_.uses_flat_scratch, 0
	.set _ZN7rocprim17ROCPRIM_400000_NS6detail17trampoline_kernelINS0_14default_configENS1_35radix_sort_onesweep_config_selectorIjN6thrust23THRUST_200600_302600_NS5tupleIffNS6_9null_typeES8_S8_S8_S8_S8_S8_S8_EEEEZZNS1_29radix_sort_onesweep_iterationIS3_Lb0ENS6_6detail15normal_iteratorINS6_10device_ptrIjEEEESG_NSD_INSE_IS9_EEEESI_jNS0_19identity_decomposerENS1_16block_id_wrapperIjLb0EEEEE10hipError_tT1_PNSt15iterator_traitsISN_E10value_typeET2_T3_PNSO_IST_E10value_typeET4_T5_PSY_SZ_PNS1_23onesweep_lookback_stateEbbT6_jjT7_P12ihipStream_tbENKUlT_T0_SN_SS_E_clISG_PjSI_PS9_EEDaS16_S17_SN_SS_EUlS16_E_NS1_11comp_targetILNS1_3genE2ELNS1_11target_archE906ELNS1_3gpuE6ELNS1_3repE0EEENS1_47radix_sort_onesweep_sort_config_static_selectorELNS0_4arch9wavefront6targetE0EEEvSN_.has_dyn_sized_stack, 0
	.set _ZN7rocprim17ROCPRIM_400000_NS6detail17trampoline_kernelINS0_14default_configENS1_35radix_sort_onesweep_config_selectorIjN6thrust23THRUST_200600_302600_NS5tupleIffNS6_9null_typeES8_S8_S8_S8_S8_S8_S8_EEEEZZNS1_29radix_sort_onesweep_iterationIS3_Lb0ENS6_6detail15normal_iteratorINS6_10device_ptrIjEEEESG_NSD_INSE_IS9_EEEESI_jNS0_19identity_decomposerENS1_16block_id_wrapperIjLb0EEEEE10hipError_tT1_PNSt15iterator_traitsISN_E10value_typeET2_T3_PNSO_IST_E10value_typeET4_T5_PSY_SZ_PNS1_23onesweep_lookback_stateEbbT6_jjT7_P12ihipStream_tbENKUlT_T0_SN_SS_E_clISG_PjSI_PS9_EEDaS16_S17_SN_SS_EUlS16_E_NS1_11comp_targetILNS1_3genE2ELNS1_11target_archE906ELNS1_3gpuE6ELNS1_3repE0EEENS1_47radix_sort_onesweep_sort_config_static_selectorELNS0_4arch9wavefront6targetE0EEEvSN_.has_recursion, 0
	.set _ZN7rocprim17ROCPRIM_400000_NS6detail17trampoline_kernelINS0_14default_configENS1_35radix_sort_onesweep_config_selectorIjN6thrust23THRUST_200600_302600_NS5tupleIffNS6_9null_typeES8_S8_S8_S8_S8_S8_S8_EEEEZZNS1_29radix_sort_onesweep_iterationIS3_Lb0ENS6_6detail15normal_iteratorINS6_10device_ptrIjEEEESG_NSD_INSE_IS9_EEEESI_jNS0_19identity_decomposerENS1_16block_id_wrapperIjLb0EEEEE10hipError_tT1_PNSt15iterator_traitsISN_E10value_typeET2_T3_PNSO_IST_E10value_typeET4_T5_PSY_SZ_PNS1_23onesweep_lookback_stateEbbT6_jjT7_P12ihipStream_tbENKUlT_T0_SN_SS_E_clISG_PjSI_PS9_EEDaS16_S17_SN_SS_EUlS16_E_NS1_11comp_targetILNS1_3genE2ELNS1_11target_archE906ELNS1_3gpuE6ELNS1_3repE0EEENS1_47radix_sort_onesweep_sort_config_static_selectorELNS0_4arch9wavefront6targetE0EEEvSN_.has_indirect_call, 0
	.section	.AMDGPU.csdata,"",@progbits
; Kernel info:
; codeLenInByte = 0
; TotalNumSgprs: 0
; NumVgprs: 0
; ScratchSize: 0
; MemoryBound: 0
; FloatMode: 240
; IeeeMode: 1
; LDSByteSize: 0 bytes/workgroup (compile time only)
; SGPRBlocks: 0
; VGPRBlocks: 0
; NumSGPRsForWavesPerEU: 1
; NumVGPRsForWavesPerEU: 1
; Occupancy: 16
; WaveLimiterHint : 0
; COMPUTE_PGM_RSRC2:SCRATCH_EN: 0
; COMPUTE_PGM_RSRC2:USER_SGPR: 2
; COMPUTE_PGM_RSRC2:TRAP_HANDLER: 0
; COMPUTE_PGM_RSRC2:TGID_X_EN: 1
; COMPUTE_PGM_RSRC2:TGID_Y_EN: 0
; COMPUTE_PGM_RSRC2:TGID_Z_EN: 0
; COMPUTE_PGM_RSRC2:TIDIG_COMP_CNT: 0
	.section	.text._ZN7rocprim17ROCPRIM_400000_NS6detail17trampoline_kernelINS0_14default_configENS1_35radix_sort_onesweep_config_selectorIjN6thrust23THRUST_200600_302600_NS5tupleIffNS6_9null_typeES8_S8_S8_S8_S8_S8_S8_EEEEZZNS1_29radix_sort_onesweep_iterationIS3_Lb0ENS6_6detail15normal_iteratorINS6_10device_ptrIjEEEESG_NSD_INSE_IS9_EEEESI_jNS0_19identity_decomposerENS1_16block_id_wrapperIjLb0EEEEE10hipError_tT1_PNSt15iterator_traitsISN_E10value_typeET2_T3_PNSO_IST_E10value_typeET4_T5_PSY_SZ_PNS1_23onesweep_lookback_stateEbbT6_jjT7_P12ihipStream_tbENKUlT_T0_SN_SS_E_clISG_PjSI_PS9_EEDaS16_S17_SN_SS_EUlS16_E_NS1_11comp_targetILNS1_3genE4ELNS1_11target_archE910ELNS1_3gpuE8ELNS1_3repE0EEENS1_47radix_sort_onesweep_sort_config_static_selectorELNS0_4arch9wavefront6targetE0EEEvSN_,"axG",@progbits,_ZN7rocprim17ROCPRIM_400000_NS6detail17trampoline_kernelINS0_14default_configENS1_35radix_sort_onesweep_config_selectorIjN6thrust23THRUST_200600_302600_NS5tupleIffNS6_9null_typeES8_S8_S8_S8_S8_S8_S8_EEEEZZNS1_29radix_sort_onesweep_iterationIS3_Lb0ENS6_6detail15normal_iteratorINS6_10device_ptrIjEEEESG_NSD_INSE_IS9_EEEESI_jNS0_19identity_decomposerENS1_16block_id_wrapperIjLb0EEEEE10hipError_tT1_PNSt15iterator_traitsISN_E10value_typeET2_T3_PNSO_IST_E10value_typeET4_T5_PSY_SZ_PNS1_23onesweep_lookback_stateEbbT6_jjT7_P12ihipStream_tbENKUlT_T0_SN_SS_E_clISG_PjSI_PS9_EEDaS16_S17_SN_SS_EUlS16_E_NS1_11comp_targetILNS1_3genE4ELNS1_11target_archE910ELNS1_3gpuE8ELNS1_3repE0EEENS1_47radix_sort_onesweep_sort_config_static_selectorELNS0_4arch9wavefront6targetE0EEEvSN_,comdat
	.protected	_ZN7rocprim17ROCPRIM_400000_NS6detail17trampoline_kernelINS0_14default_configENS1_35radix_sort_onesweep_config_selectorIjN6thrust23THRUST_200600_302600_NS5tupleIffNS6_9null_typeES8_S8_S8_S8_S8_S8_S8_EEEEZZNS1_29radix_sort_onesweep_iterationIS3_Lb0ENS6_6detail15normal_iteratorINS6_10device_ptrIjEEEESG_NSD_INSE_IS9_EEEESI_jNS0_19identity_decomposerENS1_16block_id_wrapperIjLb0EEEEE10hipError_tT1_PNSt15iterator_traitsISN_E10value_typeET2_T3_PNSO_IST_E10value_typeET4_T5_PSY_SZ_PNS1_23onesweep_lookback_stateEbbT6_jjT7_P12ihipStream_tbENKUlT_T0_SN_SS_E_clISG_PjSI_PS9_EEDaS16_S17_SN_SS_EUlS16_E_NS1_11comp_targetILNS1_3genE4ELNS1_11target_archE910ELNS1_3gpuE8ELNS1_3repE0EEENS1_47radix_sort_onesweep_sort_config_static_selectorELNS0_4arch9wavefront6targetE0EEEvSN_ ; -- Begin function _ZN7rocprim17ROCPRIM_400000_NS6detail17trampoline_kernelINS0_14default_configENS1_35radix_sort_onesweep_config_selectorIjN6thrust23THRUST_200600_302600_NS5tupleIffNS6_9null_typeES8_S8_S8_S8_S8_S8_S8_EEEEZZNS1_29radix_sort_onesweep_iterationIS3_Lb0ENS6_6detail15normal_iteratorINS6_10device_ptrIjEEEESG_NSD_INSE_IS9_EEEESI_jNS0_19identity_decomposerENS1_16block_id_wrapperIjLb0EEEEE10hipError_tT1_PNSt15iterator_traitsISN_E10value_typeET2_T3_PNSO_IST_E10value_typeET4_T5_PSY_SZ_PNS1_23onesweep_lookback_stateEbbT6_jjT7_P12ihipStream_tbENKUlT_T0_SN_SS_E_clISG_PjSI_PS9_EEDaS16_S17_SN_SS_EUlS16_E_NS1_11comp_targetILNS1_3genE4ELNS1_11target_archE910ELNS1_3gpuE8ELNS1_3repE0EEENS1_47radix_sort_onesweep_sort_config_static_selectorELNS0_4arch9wavefront6targetE0EEEvSN_
	.globl	_ZN7rocprim17ROCPRIM_400000_NS6detail17trampoline_kernelINS0_14default_configENS1_35radix_sort_onesweep_config_selectorIjN6thrust23THRUST_200600_302600_NS5tupleIffNS6_9null_typeES8_S8_S8_S8_S8_S8_S8_EEEEZZNS1_29radix_sort_onesweep_iterationIS3_Lb0ENS6_6detail15normal_iteratorINS6_10device_ptrIjEEEESG_NSD_INSE_IS9_EEEESI_jNS0_19identity_decomposerENS1_16block_id_wrapperIjLb0EEEEE10hipError_tT1_PNSt15iterator_traitsISN_E10value_typeET2_T3_PNSO_IST_E10value_typeET4_T5_PSY_SZ_PNS1_23onesweep_lookback_stateEbbT6_jjT7_P12ihipStream_tbENKUlT_T0_SN_SS_E_clISG_PjSI_PS9_EEDaS16_S17_SN_SS_EUlS16_E_NS1_11comp_targetILNS1_3genE4ELNS1_11target_archE910ELNS1_3gpuE8ELNS1_3repE0EEENS1_47radix_sort_onesweep_sort_config_static_selectorELNS0_4arch9wavefront6targetE0EEEvSN_
	.p2align	8
	.type	_ZN7rocprim17ROCPRIM_400000_NS6detail17trampoline_kernelINS0_14default_configENS1_35radix_sort_onesweep_config_selectorIjN6thrust23THRUST_200600_302600_NS5tupleIffNS6_9null_typeES8_S8_S8_S8_S8_S8_S8_EEEEZZNS1_29radix_sort_onesweep_iterationIS3_Lb0ENS6_6detail15normal_iteratorINS6_10device_ptrIjEEEESG_NSD_INSE_IS9_EEEESI_jNS0_19identity_decomposerENS1_16block_id_wrapperIjLb0EEEEE10hipError_tT1_PNSt15iterator_traitsISN_E10value_typeET2_T3_PNSO_IST_E10value_typeET4_T5_PSY_SZ_PNS1_23onesweep_lookback_stateEbbT6_jjT7_P12ihipStream_tbENKUlT_T0_SN_SS_E_clISG_PjSI_PS9_EEDaS16_S17_SN_SS_EUlS16_E_NS1_11comp_targetILNS1_3genE4ELNS1_11target_archE910ELNS1_3gpuE8ELNS1_3repE0EEENS1_47radix_sort_onesweep_sort_config_static_selectorELNS0_4arch9wavefront6targetE0EEEvSN_,@function
_ZN7rocprim17ROCPRIM_400000_NS6detail17trampoline_kernelINS0_14default_configENS1_35radix_sort_onesweep_config_selectorIjN6thrust23THRUST_200600_302600_NS5tupleIffNS6_9null_typeES8_S8_S8_S8_S8_S8_S8_EEEEZZNS1_29radix_sort_onesweep_iterationIS3_Lb0ENS6_6detail15normal_iteratorINS6_10device_ptrIjEEEESG_NSD_INSE_IS9_EEEESI_jNS0_19identity_decomposerENS1_16block_id_wrapperIjLb0EEEEE10hipError_tT1_PNSt15iterator_traitsISN_E10value_typeET2_T3_PNSO_IST_E10value_typeET4_T5_PSY_SZ_PNS1_23onesweep_lookback_stateEbbT6_jjT7_P12ihipStream_tbENKUlT_T0_SN_SS_E_clISG_PjSI_PS9_EEDaS16_S17_SN_SS_EUlS16_E_NS1_11comp_targetILNS1_3genE4ELNS1_11target_archE910ELNS1_3gpuE8ELNS1_3repE0EEENS1_47radix_sort_onesweep_sort_config_static_selectorELNS0_4arch9wavefront6targetE0EEEvSN_: ; @_ZN7rocprim17ROCPRIM_400000_NS6detail17trampoline_kernelINS0_14default_configENS1_35radix_sort_onesweep_config_selectorIjN6thrust23THRUST_200600_302600_NS5tupleIffNS6_9null_typeES8_S8_S8_S8_S8_S8_S8_EEEEZZNS1_29radix_sort_onesweep_iterationIS3_Lb0ENS6_6detail15normal_iteratorINS6_10device_ptrIjEEEESG_NSD_INSE_IS9_EEEESI_jNS0_19identity_decomposerENS1_16block_id_wrapperIjLb0EEEEE10hipError_tT1_PNSt15iterator_traitsISN_E10value_typeET2_T3_PNSO_IST_E10value_typeET4_T5_PSY_SZ_PNS1_23onesweep_lookback_stateEbbT6_jjT7_P12ihipStream_tbENKUlT_T0_SN_SS_E_clISG_PjSI_PS9_EEDaS16_S17_SN_SS_EUlS16_E_NS1_11comp_targetILNS1_3genE4ELNS1_11target_archE910ELNS1_3gpuE8ELNS1_3repE0EEENS1_47radix_sort_onesweep_sort_config_static_selectorELNS0_4arch9wavefront6targetE0EEEvSN_
; %bb.0:
	.section	.rodata,"a",@progbits
	.p2align	6, 0x0
	.amdhsa_kernel _ZN7rocprim17ROCPRIM_400000_NS6detail17trampoline_kernelINS0_14default_configENS1_35radix_sort_onesweep_config_selectorIjN6thrust23THRUST_200600_302600_NS5tupleIffNS6_9null_typeES8_S8_S8_S8_S8_S8_S8_EEEEZZNS1_29radix_sort_onesweep_iterationIS3_Lb0ENS6_6detail15normal_iteratorINS6_10device_ptrIjEEEESG_NSD_INSE_IS9_EEEESI_jNS0_19identity_decomposerENS1_16block_id_wrapperIjLb0EEEEE10hipError_tT1_PNSt15iterator_traitsISN_E10value_typeET2_T3_PNSO_IST_E10value_typeET4_T5_PSY_SZ_PNS1_23onesweep_lookback_stateEbbT6_jjT7_P12ihipStream_tbENKUlT_T0_SN_SS_E_clISG_PjSI_PS9_EEDaS16_S17_SN_SS_EUlS16_E_NS1_11comp_targetILNS1_3genE4ELNS1_11target_archE910ELNS1_3gpuE8ELNS1_3repE0EEENS1_47radix_sort_onesweep_sort_config_static_selectorELNS0_4arch9wavefront6targetE0EEEvSN_
		.amdhsa_group_segment_fixed_size 0
		.amdhsa_private_segment_fixed_size 0
		.amdhsa_kernarg_size 88
		.amdhsa_user_sgpr_count 2
		.amdhsa_user_sgpr_dispatch_ptr 0
		.amdhsa_user_sgpr_queue_ptr 0
		.amdhsa_user_sgpr_kernarg_segment_ptr 1
		.amdhsa_user_sgpr_dispatch_id 0
		.amdhsa_user_sgpr_private_segment_size 0
		.amdhsa_wavefront_size32 1
		.amdhsa_uses_dynamic_stack 0
		.amdhsa_enable_private_segment 0
		.amdhsa_system_sgpr_workgroup_id_x 1
		.amdhsa_system_sgpr_workgroup_id_y 0
		.amdhsa_system_sgpr_workgroup_id_z 0
		.amdhsa_system_sgpr_workgroup_info 0
		.amdhsa_system_vgpr_workitem_id 0
		.amdhsa_next_free_vgpr 1
		.amdhsa_next_free_sgpr 1
		.amdhsa_reserve_vcc 0
		.amdhsa_float_round_mode_32 0
		.amdhsa_float_round_mode_16_64 0
		.amdhsa_float_denorm_mode_32 3
		.amdhsa_float_denorm_mode_16_64 3
		.amdhsa_fp16_overflow 0
		.amdhsa_workgroup_processor_mode 1
		.amdhsa_memory_ordered 1
		.amdhsa_forward_progress 1
		.amdhsa_inst_pref_size 0
		.amdhsa_round_robin_scheduling 0
		.amdhsa_exception_fp_ieee_invalid_op 0
		.amdhsa_exception_fp_denorm_src 0
		.amdhsa_exception_fp_ieee_div_zero 0
		.amdhsa_exception_fp_ieee_overflow 0
		.amdhsa_exception_fp_ieee_underflow 0
		.amdhsa_exception_fp_ieee_inexact 0
		.amdhsa_exception_int_div_zero 0
	.end_amdhsa_kernel
	.section	.text._ZN7rocprim17ROCPRIM_400000_NS6detail17trampoline_kernelINS0_14default_configENS1_35radix_sort_onesweep_config_selectorIjN6thrust23THRUST_200600_302600_NS5tupleIffNS6_9null_typeES8_S8_S8_S8_S8_S8_S8_EEEEZZNS1_29radix_sort_onesweep_iterationIS3_Lb0ENS6_6detail15normal_iteratorINS6_10device_ptrIjEEEESG_NSD_INSE_IS9_EEEESI_jNS0_19identity_decomposerENS1_16block_id_wrapperIjLb0EEEEE10hipError_tT1_PNSt15iterator_traitsISN_E10value_typeET2_T3_PNSO_IST_E10value_typeET4_T5_PSY_SZ_PNS1_23onesweep_lookback_stateEbbT6_jjT7_P12ihipStream_tbENKUlT_T0_SN_SS_E_clISG_PjSI_PS9_EEDaS16_S17_SN_SS_EUlS16_E_NS1_11comp_targetILNS1_3genE4ELNS1_11target_archE910ELNS1_3gpuE8ELNS1_3repE0EEENS1_47radix_sort_onesweep_sort_config_static_selectorELNS0_4arch9wavefront6targetE0EEEvSN_,"axG",@progbits,_ZN7rocprim17ROCPRIM_400000_NS6detail17trampoline_kernelINS0_14default_configENS1_35radix_sort_onesweep_config_selectorIjN6thrust23THRUST_200600_302600_NS5tupleIffNS6_9null_typeES8_S8_S8_S8_S8_S8_S8_EEEEZZNS1_29radix_sort_onesweep_iterationIS3_Lb0ENS6_6detail15normal_iteratorINS6_10device_ptrIjEEEESG_NSD_INSE_IS9_EEEESI_jNS0_19identity_decomposerENS1_16block_id_wrapperIjLb0EEEEE10hipError_tT1_PNSt15iterator_traitsISN_E10value_typeET2_T3_PNSO_IST_E10value_typeET4_T5_PSY_SZ_PNS1_23onesweep_lookback_stateEbbT6_jjT7_P12ihipStream_tbENKUlT_T0_SN_SS_E_clISG_PjSI_PS9_EEDaS16_S17_SN_SS_EUlS16_E_NS1_11comp_targetILNS1_3genE4ELNS1_11target_archE910ELNS1_3gpuE8ELNS1_3repE0EEENS1_47radix_sort_onesweep_sort_config_static_selectorELNS0_4arch9wavefront6targetE0EEEvSN_,comdat
.Lfunc_end215:
	.size	_ZN7rocprim17ROCPRIM_400000_NS6detail17trampoline_kernelINS0_14default_configENS1_35radix_sort_onesweep_config_selectorIjN6thrust23THRUST_200600_302600_NS5tupleIffNS6_9null_typeES8_S8_S8_S8_S8_S8_S8_EEEEZZNS1_29radix_sort_onesweep_iterationIS3_Lb0ENS6_6detail15normal_iteratorINS6_10device_ptrIjEEEESG_NSD_INSE_IS9_EEEESI_jNS0_19identity_decomposerENS1_16block_id_wrapperIjLb0EEEEE10hipError_tT1_PNSt15iterator_traitsISN_E10value_typeET2_T3_PNSO_IST_E10value_typeET4_T5_PSY_SZ_PNS1_23onesweep_lookback_stateEbbT6_jjT7_P12ihipStream_tbENKUlT_T0_SN_SS_E_clISG_PjSI_PS9_EEDaS16_S17_SN_SS_EUlS16_E_NS1_11comp_targetILNS1_3genE4ELNS1_11target_archE910ELNS1_3gpuE8ELNS1_3repE0EEENS1_47radix_sort_onesweep_sort_config_static_selectorELNS0_4arch9wavefront6targetE0EEEvSN_, .Lfunc_end215-_ZN7rocprim17ROCPRIM_400000_NS6detail17trampoline_kernelINS0_14default_configENS1_35radix_sort_onesweep_config_selectorIjN6thrust23THRUST_200600_302600_NS5tupleIffNS6_9null_typeES8_S8_S8_S8_S8_S8_S8_EEEEZZNS1_29radix_sort_onesweep_iterationIS3_Lb0ENS6_6detail15normal_iteratorINS6_10device_ptrIjEEEESG_NSD_INSE_IS9_EEEESI_jNS0_19identity_decomposerENS1_16block_id_wrapperIjLb0EEEEE10hipError_tT1_PNSt15iterator_traitsISN_E10value_typeET2_T3_PNSO_IST_E10value_typeET4_T5_PSY_SZ_PNS1_23onesweep_lookback_stateEbbT6_jjT7_P12ihipStream_tbENKUlT_T0_SN_SS_E_clISG_PjSI_PS9_EEDaS16_S17_SN_SS_EUlS16_E_NS1_11comp_targetILNS1_3genE4ELNS1_11target_archE910ELNS1_3gpuE8ELNS1_3repE0EEENS1_47radix_sort_onesweep_sort_config_static_selectorELNS0_4arch9wavefront6targetE0EEEvSN_
                                        ; -- End function
	.set _ZN7rocprim17ROCPRIM_400000_NS6detail17trampoline_kernelINS0_14default_configENS1_35radix_sort_onesweep_config_selectorIjN6thrust23THRUST_200600_302600_NS5tupleIffNS6_9null_typeES8_S8_S8_S8_S8_S8_S8_EEEEZZNS1_29radix_sort_onesweep_iterationIS3_Lb0ENS6_6detail15normal_iteratorINS6_10device_ptrIjEEEESG_NSD_INSE_IS9_EEEESI_jNS0_19identity_decomposerENS1_16block_id_wrapperIjLb0EEEEE10hipError_tT1_PNSt15iterator_traitsISN_E10value_typeET2_T3_PNSO_IST_E10value_typeET4_T5_PSY_SZ_PNS1_23onesweep_lookback_stateEbbT6_jjT7_P12ihipStream_tbENKUlT_T0_SN_SS_E_clISG_PjSI_PS9_EEDaS16_S17_SN_SS_EUlS16_E_NS1_11comp_targetILNS1_3genE4ELNS1_11target_archE910ELNS1_3gpuE8ELNS1_3repE0EEENS1_47radix_sort_onesweep_sort_config_static_selectorELNS0_4arch9wavefront6targetE0EEEvSN_.num_vgpr, 0
	.set _ZN7rocprim17ROCPRIM_400000_NS6detail17trampoline_kernelINS0_14default_configENS1_35radix_sort_onesweep_config_selectorIjN6thrust23THRUST_200600_302600_NS5tupleIffNS6_9null_typeES8_S8_S8_S8_S8_S8_S8_EEEEZZNS1_29radix_sort_onesweep_iterationIS3_Lb0ENS6_6detail15normal_iteratorINS6_10device_ptrIjEEEESG_NSD_INSE_IS9_EEEESI_jNS0_19identity_decomposerENS1_16block_id_wrapperIjLb0EEEEE10hipError_tT1_PNSt15iterator_traitsISN_E10value_typeET2_T3_PNSO_IST_E10value_typeET4_T5_PSY_SZ_PNS1_23onesweep_lookback_stateEbbT6_jjT7_P12ihipStream_tbENKUlT_T0_SN_SS_E_clISG_PjSI_PS9_EEDaS16_S17_SN_SS_EUlS16_E_NS1_11comp_targetILNS1_3genE4ELNS1_11target_archE910ELNS1_3gpuE8ELNS1_3repE0EEENS1_47radix_sort_onesweep_sort_config_static_selectorELNS0_4arch9wavefront6targetE0EEEvSN_.num_agpr, 0
	.set _ZN7rocprim17ROCPRIM_400000_NS6detail17trampoline_kernelINS0_14default_configENS1_35radix_sort_onesweep_config_selectorIjN6thrust23THRUST_200600_302600_NS5tupleIffNS6_9null_typeES8_S8_S8_S8_S8_S8_S8_EEEEZZNS1_29radix_sort_onesweep_iterationIS3_Lb0ENS6_6detail15normal_iteratorINS6_10device_ptrIjEEEESG_NSD_INSE_IS9_EEEESI_jNS0_19identity_decomposerENS1_16block_id_wrapperIjLb0EEEEE10hipError_tT1_PNSt15iterator_traitsISN_E10value_typeET2_T3_PNSO_IST_E10value_typeET4_T5_PSY_SZ_PNS1_23onesweep_lookback_stateEbbT6_jjT7_P12ihipStream_tbENKUlT_T0_SN_SS_E_clISG_PjSI_PS9_EEDaS16_S17_SN_SS_EUlS16_E_NS1_11comp_targetILNS1_3genE4ELNS1_11target_archE910ELNS1_3gpuE8ELNS1_3repE0EEENS1_47radix_sort_onesweep_sort_config_static_selectorELNS0_4arch9wavefront6targetE0EEEvSN_.numbered_sgpr, 0
	.set _ZN7rocprim17ROCPRIM_400000_NS6detail17trampoline_kernelINS0_14default_configENS1_35radix_sort_onesweep_config_selectorIjN6thrust23THRUST_200600_302600_NS5tupleIffNS6_9null_typeES8_S8_S8_S8_S8_S8_S8_EEEEZZNS1_29radix_sort_onesweep_iterationIS3_Lb0ENS6_6detail15normal_iteratorINS6_10device_ptrIjEEEESG_NSD_INSE_IS9_EEEESI_jNS0_19identity_decomposerENS1_16block_id_wrapperIjLb0EEEEE10hipError_tT1_PNSt15iterator_traitsISN_E10value_typeET2_T3_PNSO_IST_E10value_typeET4_T5_PSY_SZ_PNS1_23onesweep_lookback_stateEbbT6_jjT7_P12ihipStream_tbENKUlT_T0_SN_SS_E_clISG_PjSI_PS9_EEDaS16_S17_SN_SS_EUlS16_E_NS1_11comp_targetILNS1_3genE4ELNS1_11target_archE910ELNS1_3gpuE8ELNS1_3repE0EEENS1_47radix_sort_onesweep_sort_config_static_selectorELNS0_4arch9wavefront6targetE0EEEvSN_.num_named_barrier, 0
	.set _ZN7rocprim17ROCPRIM_400000_NS6detail17trampoline_kernelINS0_14default_configENS1_35radix_sort_onesweep_config_selectorIjN6thrust23THRUST_200600_302600_NS5tupleIffNS6_9null_typeES8_S8_S8_S8_S8_S8_S8_EEEEZZNS1_29radix_sort_onesweep_iterationIS3_Lb0ENS6_6detail15normal_iteratorINS6_10device_ptrIjEEEESG_NSD_INSE_IS9_EEEESI_jNS0_19identity_decomposerENS1_16block_id_wrapperIjLb0EEEEE10hipError_tT1_PNSt15iterator_traitsISN_E10value_typeET2_T3_PNSO_IST_E10value_typeET4_T5_PSY_SZ_PNS1_23onesweep_lookback_stateEbbT6_jjT7_P12ihipStream_tbENKUlT_T0_SN_SS_E_clISG_PjSI_PS9_EEDaS16_S17_SN_SS_EUlS16_E_NS1_11comp_targetILNS1_3genE4ELNS1_11target_archE910ELNS1_3gpuE8ELNS1_3repE0EEENS1_47radix_sort_onesweep_sort_config_static_selectorELNS0_4arch9wavefront6targetE0EEEvSN_.private_seg_size, 0
	.set _ZN7rocprim17ROCPRIM_400000_NS6detail17trampoline_kernelINS0_14default_configENS1_35radix_sort_onesweep_config_selectorIjN6thrust23THRUST_200600_302600_NS5tupleIffNS6_9null_typeES8_S8_S8_S8_S8_S8_S8_EEEEZZNS1_29radix_sort_onesweep_iterationIS3_Lb0ENS6_6detail15normal_iteratorINS6_10device_ptrIjEEEESG_NSD_INSE_IS9_EEEESI_jNS0_19identity_decomposerENS1_16block_id_wrapperIjLb0EEEEE10hipError_tT1_PNSt15iterator_traitsISN_E10value_typeET2_T3_PNSO_IST_E10value_typeET4_T5_PSY_SZ_PNS1_23onesweep_lookback_stateEbbT6_jjT7_P12ihipStream_tbENKUlT_T0_SN_SS_E_clISG_PjSI_PS9_EEDaS16_S17_SN_SS_EUlS16_E_NS1_11comp_targetILNS1_3genE4ELNS1_11target_archE910ELNS1_3gpuE8ELNS1_3repE0EEENS1_47radix_sort_onesweep_sort_config_static_selectorELNS0_4arch9wavefront6targetE0EEEvSN_.uses_vcc, 0
	.set _ZN7rocprim17ROCPRIM_400000_NS6detail17trampoline_kernelINS0_14default_configENS1_35radix_sort_onesweep_config_selectorIjN6thrust23THRUST_200600_302600_NS5tupleIffNS6_9null_typeES8_S8_S8_S8_S8_S8_S8_EEEEZZNS1_29radix_sort_onesweep_iterationIS3_Lb0ENS6_6detail15normal_iteratorINS6_10device_ptrIjEEEESG_NSD_INSE_IS9_EEEESI_jNS0_19identity_decomposerENS1_16block_id_wrapperIjLb0EEEEE10hipError_tT1_PNSt15iterator_traitsISN_E10value_typeET2_T3_PNSO_IST_E10value_typeET4_T5_PSY_SZ_PNS1_23onesweep_lookback_stateEbbT6_jjT7_P12ihipStream_tbENKUlT_T0_SN_SS_E_clISG_PjSI_PS9_EEDaS16_S17_SN_SS_EUlS16_E_NS1_11comp_targetILNS1_3genE4ELNS1_11target_archE910ELNS1_3gpuE8ELNS1_3repE0EEENS1_47radix_sort_onesweep_sort_config_static_selectorELNS0_4arch9wavefront6targetE0EEEvSN_.uses_flat_scratch, 0
	.set _ZN7rocprim17ROCPRIM_400000_NS6detail17trampoline_kernelINS0_14default_configENS1_35radix_sort_onesweep_config_selectorIjN6thrust23THRUST_200600_302600_NS5tupleIffNS6_9null_typeES8_S8_S8_S8_S8_S8_S8_EEEEZZNS1_29radix_sort_onesweep_iterationIS3_Lb0ENS6_6detail15normal_iteratorINS6_10device_ptrIjEEEESG_NSD_INSE_IS9_EEEESI_jNS0_19identity_decomposerENS1_16block_id_wrapperIjLb0EEEEE10hipError_tT1_PNSt15iterator_traitsISN_E10value_typeET2_T3_PNSO_IST_E10value_typeET4_T5_PSY_SZ_PNS1_23onesweep_lookback_stateEbbT6_jjT7_P12ihipStream_tbENKUlT_T0_SN_SS_E_clISG_PjSI_PS9_EEDaS16_S17_SN_SS_EUlS16_E_NS1_11comp_targetILNS1_3genE4ELNS1_11target_archE910ELNS1_3gpuE8ELNS1_3repE0EEENS1_47radix_sort_onesweep_sort_config_static_selectorELNS0_4arch9wavefront6targetE0EEEvSN_.has_dyn_sized_stack, 0
	.set _ZN7rocprim17ROCPRIM_400000_NS6detail17trampoline_kernelINS0_14default_configENS1_35radix_sort_onesweep_config_selectorIjN6thrust23THRUST_200600_302600_NS5tupleIffNS6_9null_typeES8_S8_S8_S8_S8_S8_S8_EEEEZZNS1_29radix_sort_onesweep_iterationIS3_Lb0ENS6_6detail15normal_iteratorINS6_10device_ptrIjEEEESG_NSD_INSE_IS9_EEEESI_jNS0_19identity_decomposerENS1_16block_id_wrapperIjLb0EEEEE10hipError_tT1_PNSt15iterator_traitsISN_E10value_typeET2_T3_PNSO_IST_E10value_typeET4_T5_PSY_SZ_PNS1_23onesweep_lookback_stateEbbT6_jjT7_P12ihipStream_tbENKUlT_T0_SN_SS_E_clISG_PjSI_PS9_EEDaS16_S17_SN_SS_EUlS16_E_NS1_11comp_targetILNS1_3genE4ELNS1_11target_archE910ELNS1_3gpuE8ELNS1_3repE0EEENS1_47radix_sort_onesweep_sort_config_static_selectorELNS0_4arch9wavefront6targetE0EEEvSN_.has_recursion, 0
	.set _ZN7rocprim17ROCPRIM_400000_NS6detail17trampoline_kernelINS0_14default_configENS1_35radix_sort_onesweep_config_selectorIjN6thrust23THRUST_200600_302600_NS5tupleIffNS6_9null_typeES8_S8_S8_S8_S8_S8_S8_EEEEZZNS1_29radix_sort_onesweep_iterationIS3_Lb0ENS6_6detail15normal_iteratorINS6_10device_ptrIjEEEESG_NSD_INSE_IS9_EEEESI_jNS0_19identity_decomposerENS1_16block_id_wrapperIjLb0EEEEE10hipError_tT1_PNSt15iterator_traitsISN_E10value_typeET2_T3_PNSO_IST_E10value_typeET4_T5_PSY_SZ_PNS1_23onesweep_lookback_stateEbbT6_jjT7_P12ihipStream_tbENKUlT_T0_SN_SS_E_clISG_PjSI_PS9_EEDaS16_S17_SN_SS_EUlS16_E_NS1_11comp_targetILNS1_3genE4ELNS1_11target_archE910ELNS1_3gpuE8ELNS1_3repE0EEENS1_47radix_sort_onesweep_sort_config_static_selectorELNS0_4arch9wavefront6targetE0EEEvSN_.has_indirect_call, 0
	.section	.AMDGPU.csdata,"",@progbits
; Kernel info:
; codeLenInByte = 0
; TotalNumSgprs: 0
; NumVgprs: 0
; ScratchSize: 0
; MemoryBound: 0
; FloatMode: 240
; IeeeMode: 1
; LDSByteSize: 0 bytes/workgroup (compile time only)
; SGPRBlocks: 0
; VGPRBlocks: 0
; NumSGPRsForWavesPerEU: 1
; NumVGPRsForWavesPerEU: 1
; Occupancy: 16
; WaveLimiterHint : 0
; COMPUTE_PGM_RSRC2:SCRATCH_EN: 0
; COMPUTE_PGM_RSRC2:USER_SGPR: 2
; COMPUTE_PGM_RSRC2:TRAP_HANDLER: 0
; COMPUTE_PGM_RSRC2:TGID_X_EN: 1
; COMPUTE_PGM_RSRC2:TGID_Y_EN: 0
; COMPUTE_PGM_RSRC2:TGID_Z_EN: 0
; COMPUTE_PGM_RSRC2:TIDIG_COMP_CNT: 0
	.section	.text._ZN7rocprim17ROCPRIM_400000_NS6detail17trampoline_kernelINS0_14default_configENS1_35radix_sort_onesweep_config_selectorIjN6thrust23THRUST_200600_302600_NS5tupleIffNS6_9null_typeES8_S8_S8_S8_S8_S8_S8_EEEEZZNS1_29radix_sort_onesweep_iterationIS3_Lb0ENS6_6detail15normal_iteratorINS6_10device_ptrIjEEEESG_NSD_INSE_IS9_EEEESI_jNS0_19identity_decomposerENS1_16block_id_wrapperIjLb0EEEEE10hipError_tT1_PNSt15iterator_traitsISN_E10value_typeET2_T3_PNSO_IST_E10value_typeET4_T5_PSY_SZ_PNS1_23onesweep_lookback_stateEbbT6_jjT7_P12ihipStream_tbENKUlT_T0_SN_SS_E_clISG_PjSI_PS9_EEDaS16_S17_SN_SS_EUlS16_E_NS1_11comp_targetILNS1_3genE3ELNS1_11target_archE908ELNS1_3gpuE7ELNS1_3repE0EEENS1_47radix_sort_onesweep_sort_config_static_selectorELNS0_4arch9wavefront6targetE0EEEvSN_,"axG",@progbits,_ZN7rocprim17ROCPRIM_400000_NS6detail17trampoline_kernelINS0_14default_configENS1_35radix_sort_onesweep_config_selectorIjN6thrust23THRUST_200600_302600_NS5tupleIffNS6_9null_typeES8_S8_S8_S8_S8_S8_S8_EEEEZZNS1_29radix_sort_onesweep_iterationIS3_Lb0ENS6_6detail15normal_iteratorINS6_10device_ptrIjEEEESG_NSD_INSE_IS9_EEEESI_jNS0_19identity_decomposerENS1_16block_id_wrapperIjLb0EEEEE10hipError_tT1_PNSt15iterator_traitsISN_E10value_typeET2_T3_PNSO_IST_E10value_typeET4_T5_PSY_SZ_PNS1_23onesweep_lookback_stateEbbT6_jjT7_P12ihipStream_tbENKUlT_T0_SN_SS_E_clISG_PjSI_PS9_EEDaS16_S17_SN_SS_EUlS16_E_NS1_11comp_targetILNS1_3genE3ELNS1_11target_archE908ELNS1_3gpuE7ELNS1_3repE0EEENS1_47radix_sort_onesweep_sort_config_static_selectorELNS0_4arch9wavefront6targetE0EEEvSN_,comdat
	.protected	_ZN7rocprim17ROCPRIM_400000_NS6detail17trampoline_kernelINS0_14default_configENS1_35radix_sort_onesweep_config_selectorIjN6thrust23THRUST_200600_302600_NS5tupleIffNS6_9null_typeES8_S8_S8_S8_S8_S8_S8_EEEEZZNS1_29radix_sort_onesweep_iterationIS3_Lb0ENS6_6detail15normal_iteratorINS6_10device_ptrIjEEEESG_NSD_INSE_IS9_EEEESI_jNS0_19identity_decomposerENS1_16block_id_wrapperIjLb0EEEEE10hipError_tT1_PNSt15iterator_traitsISN_E10value_typeET2_T3_PNSO_IST_E10value_typeET4_T5_PSY_SZ_PNS1_23onesweep_lookback_stateEbbT6_jjT7_P12ihipStream_tbENKUlT_T0_SN_SS_E_clISG_PjSI_PS9_EEDaS16_S17_SN_SS_EUlS16_E_NS1_11comp_targetILNS1_3genE3ELNS1_11target_archE908ELNS1_3gpuE7ELNS1_3repE0EEENS1_47radix_sort_onesweep_sort_config_static_selectorELNS0_4arch9wavefront6targetE0EEEvSN_ ; -- Begin function _ZN7rocprim17ROCPRIM_400000_NS6detail17trampoline_kernelINS0_14default_configENS1_35radix_sort_onesweep_config_selectorIjN6thrust23THRUST_200600_302600_NS5tupleIffNS6_9null_typeES8_S8_S8_S8_S8_S8_S8_EEEEZZNS1_29radix_sort_onesweep_iterationIS3_Lb0ENS6_6detail15normal_iteratorINS6_10device_ptrIjEEEESG_NSD_INSE_IS9_EEEESI_jNS0_19identity_decomposerENS1_16block_id_wrapperIjLb0EEEEE10hipError_tT1_PNSt15iterator_traitsISN_E10value_typeET2_T3_PNSO_IST_E10value_typeET4_T5_PSY_SZ_PNS1_23onesweep_lookback_stateEbbT6_jjT7_P12ihipStream_tbENKUlT_T0_SN_SS_E_clISG_PjSI_PS9_EEDaS16_S17_SN_SS_EUlS16_E_NS1_11comp_targetILNS1_3genE3ELNS1_11target_archE908ELNS1_3gpuE7ELNS1_3repE0EEENS1_47radix_sort_onesweep_sort_config_static_selectorELNS0_4arch9wavefront6targetE0EEEvSN_
	.globl	_ZN7rocprim17ROCPRIM_400000_NS6detail17trampoline_kernelINS0_14default_configENS1_35radix_sort_onesweep_config_selectorIjN6thrust23THRUST_200600_302600_NS5tupleIffNS6_9null_typeES8_S8_S8_S8_S8_S8_S8_EEEEZZNS1_29radix_sort_onesweep_iterationIS3_Lb0ENS6_6detail15normal_iteratorINS6_10device_ptrIjEEEESG_NSD_INSE_IS9_EEEESI_jNS0_19identity_decomposerENS1_16block_id_wrapperIjLb0EEEEE10hipError_tT1_PNSt15iterator_traitsISN_E10value_typeET2_T3_PNSO_IST_E10value_typeET4_T5_PSY_SZ_PNS1_23onesweep_lookback_stateEbbT6_jjT7_P12ihipStream_tbENKUlT_T0_SN_SS_E_clISG_PjSI_PS9_EEDaS16_S17_SN_SS_EUlS16_E_NS1_11comp_targetILNS1_3genE3ELNS1_11target_archE908ELNS1_3gpuE7ELNS1_3repE0EEENS1_47radix_sort_onesweep_sort_config_static_selectorELNS0_4arch9wavefront6targetE0EEEvSN_
	.p2align	8
	.type	_ZN7rocprim17ROCPRIM_400000_NS6detail17trampoline_kernelINS0_14default_configENS1_35radix_sort_onesweep_config_selectorIjN6thrust23THRUST_200600_302600_NS5tupleIffNS6_9null_typeES8_S8_S8_S8_S8_S8_S8_EEEEZZNS1_29radix_sort_onesweep_iterationIS3_Lb0ENS6_6detail15normal_iteratorINS6_10device_ptrIjEEEESG_NSD_INSE_IS9_EEEESI_jNS0_19identity_decomposerENS1_16block_id_wrapperIjLb0EEEEE10hipError_tT1_PNSt15iterator_traitsISN_E10value_typeET2_T3_PNSO_IST_E10value_typeET4_T5_PSY_SZ_PNS1_23onesweep_lookback_stateEbbT6_jjT7_P12ihipStream_tbENKUlT_T0_SN_SS_E_clISG_PjSI_PS9_EEDaS16_S17_SN_SS_EUlS16_E_NS1_11comp_targetILNS1_3genE3ELNS1_11target_archE908ELNS1_3gpuE7ELNS1_3repE0EEENS1_47radix_sort_onesweep_sort_config_static_selectorELNS0_4arch9wavefront6targetE0EEEvSN_,@function
_ZN7rocprim17ROCPRIM_400000_NS6detail17trampoline_kernelINS0_14default_configENS1_35radix_sort_onesweep_config_selectorIjN6thrust23THRUST_200600_302600_NS5tupleIffNS6_9null_typeES8_S8_S8_S8_S8_S8_S8_EEEEZZNS1_29radix_sort_onesweep_iterationIS3_Lb0ENS6_6detail15normal_iteratorINS6_10device_ptrIjEEEESG_NSD_INSE_IS9_EEEESI_jNS0_19identity_decomposerENS1_16block_id_wrapperIjLb0EEEEE10hipError_tT1_PNSt15iterator_traitsISN_E10value_typeET2_T3_PNSO_IST_E10value_typeET4_T5_PSY_SZ_PNS1_23onesweep_lookback_stateEbbT6_jjT7_P12ihipStream_tbENKUlT_T0_SN_SS_E_clISG_PjSI_PS9_EEDaS16_S17_SN_SS_EUlS16_E_NS1_11comp_targetILNS1_3genE3ELNS1_11target_archE908ELNS1_3gpuE7ELNS1_3repE0EEENS1_47radix_sort_onesweep_sort_config_static_selectorELNS0_4arch9wavefront6targetE0EEEvSN_: ; @_ZN7rocprim17ROCPRIM_400000_NS6detail17trampoline_kernelINS0_14default_configENS1_35radix_sort_onesweep_config_selectorIjN6thrust23THRUST_200600_302600_NS5tupleIffNS6_9null_typeES8_S8_S8_S8_S8_S8_S8_EEEEZZNS1_29radix_sort_onesweep_iterationIS3_Lb0ENS6_6detail15normal_iteratorINS6_10device_ptrIjEEEESG_NSD_INSE_IS9_EEEESI_jNS0_19identity_decomposerENS1_16block_id_wrapperIjLb0EEEEE10hipError_tT1_PNSt15iterator_traitsISN_E10value_typeET2_T3_PNSO_IST_E10value_typeET4_T5_PSY_SZ_PNS1_23onesweep_lookback_stateEbbT6_jjT7_P12ihipStream_tbENKUlT_T0_SN_SS_E_clISG_PjSI_PS9_EEDaS16_S17_SN_SS_EUlS16_E_NS1_11comp_targetILNS1_3genE3ELNS1_11target_archE908ELNS1_3gpuE7ELNS1_3repE0EEENS1_47radix_sort_onesweep_sort_config_static_selectorELNS0_4arch9wavefront6targetE0EEEvSN_
; %bb.0:
	.section	.rodata,"a",@progbits
	.p2align	6, 0x0
	.amdhsa_kernel _ZN7rocprim17ROCPRIM_400000_NS6detail17trampoline_kernelINS0_14default_configENS1_35radix_sort_onesweep_config_selectorIjN6thrust23THRUST_200600_302600_NS5tupleIffNS6_9null_typeES8_S8_S8_S8_S8_S8_S8_EEEEZZNS1_29radix_sort_onesweep_iterationIS3_Lb0ENS6_6detail15normal_iteratorINS6_10device_ptrIjEEEESG_NSD_INSE_IS9_EEEESI_jNS0_19identity_decomposerENS1_16block_id_wrapperIjLb0EEEEE10hipError_tT1_PNSt15iterator_traitsISN_E10value_typeET2_T3_PNSO_IST_E10value_typeET4_T5_PSY_SZ_PNS1_23onesweep_lookback_stateEbbT6_jjT7_P12ihipStream_tbENKUlT_T0_SN_SS_E_clISG_PjSI_PS9_EEDaS16_S17_SN_SS_EUlS16_E_NS1_11comp_targetILNS1_3genE3ELNS1_11target_archE908ELNS1_3gpuE7ELNS1_3repE0EEENS1_47radix_sort_onesweep_sort_config_static_selectorELNS0_4arch9wavefront6targetE0EEEvSN_
		.amdhsa_group_segment_fixed_size 0
		.amdhsa_private_segment_fixed_size 0
		.amdhsa_kernarg_size 88
		.amdhsa_user_sgpr_count 2
		.amdhsa_user_sgpr_dispatch_ptr 0
		.amdhsa_user_sgpr_queue_ptr 0
		.amdhsa_user_sgpr_kernarg_segment_ptr 1
		.amdhsa_user_sgpr_dispatch_id 0
		.amdhsa_user_sgpr_private_segment_size 0
		.amdhsa_wavefront_size32 1
		.amdhsa_uses_dynamic_stack 0
		.amdhsa_enable_private_segment 0
		.amdhsa_system_sgpr_workgroup_id_x 1
		.amdhsa_system_sgpr_workgroup_id_y 0
		.amdhsa_system_sgpr_workgroup_id_z 0
		.amdhsa_system_sgpr_workgroup_info 0
		.amdhsa_system_vgpr_workitem_id 0
		.amdhsa_next_free_vgpr 1
		.amdhsa_next_free_sgpr 1
		.amdhsa_reserve_vcc 0
		.amdhsa_float_round_mode_32 0
		.amdhsa_float_round_mode_16_64 0
		.amdhsa_float_denorm_mode_32 3
		.amdhsa_float_denorm_mode_16_64 3
		.amdhsa_fp16_overflow 0
		.amdhsa_workgroup_processor_mode 1
		.amdhsa_memory_ordered 1
		.amdhsa_forward_progress 1
		.amdhsa_inst_pref_size 0
		.amdhsa_round_robin_scheduling 0
		.amdhsa_exception_fp_ieee_invalid_op 0
		.amdhsa_exception_fp_denorm_src 0
		.amdhsa_exception_fp_ieee_div_zero 0
		.amdhsa_exception_fp_ieee_overflow 0
		.amdhsa_exception_fp_ieee_underflow 0
		.amdhsa_exception_fp_ieee_inexact 0
		.amdhsa_exception_int_div_zero 0
	.end_amdhsa_kernel
	.section	.text._ZN7rocprim17ROCPRIM_400000_NS6detail17trampoline_kernelINS0_14default_configENS1_35radix_sort_onesweep_config_selectorIjN6thrust23THRUST_200600_302600_NS5tupleIffNS6_9null_typeES8_S8_S8_S8_S8_S8_S8_EEEEZZNS1_29radix_sort_onesweep_iterationIS3_Lb0ENS6_6detail15normal_iteratorINS6_10device_ptrIjEEEESG_NSD_INSE_IS9_EEEESI_jNS0_19identity_decomposerENS1_16block_id_wrapperIjLb0EEEEE10hipError_tT1_PNSt15iterator_traitsISN_E10value_typeET2_T3_PNSO_IST_E10value_typeET4_T5_PSY_SZ_PNS1_23onesweep_lookback_stateEbbT6_jjT7_P12ihipStream_tbENKUlT_T0_SN_SS_E_clISG_PjSI_PS9_EEDaS16_S17_SN_SS_EUlS16_E_NS1_11comp_targetILNS1_3genE3ELNS1_11target_archE908ELNS1_3gpuE7ELNS1_3repE0EEENS1_47radix_sort_onesweep_sort_config_static_selectorELNS0_4arch9wavefront6targetE0EEEvSN_,"axG",@progbits,_ZN7rocprim17ROCPRIM_400000_NS6detail17trampoline_kernelINS0_14default_configENS1_35radix_sort_onesweep_config_selectorIjN6thrust23THRUST_200600_302600_NS5tupleIffNS6_9null_typeES8_S8_S8_S8_S8_S8_S8_EEEEZZNS1_29radix_sort_onesweep_iterationIS3_Lb0ENS6_6detail15normal_iteratorINS6_10device_ptrIjEEEESG_NSD_INSE_IS9_EEEESI_jNS0_19identity_decomposerENS1_16block_id_wrapperIjLb0EEEEE10hipError_tT1_PNSt15iterator_traitsISN_E10value_typeET2_T3_PNSO_IST_E10value_typeET4_T5_PSY_SZ_PNS1_23onesweep_lookback_stateEbbT6_jjT7_P12ihipStream_tbENKUlT_T0_SN_SS_E_clISG_PjSI_PS9_EEDaS16_S17_SN_SS_EUlS16_E_NS1_11comp_targetILNS1_3genE3ELNS1_11target_archE908ELNS1_3gpuE7ELNS1_3repE0EEENS1_47radix_sort_onesweep_sort_config_static_selectorELNS0_4arch9wavefront6targetE0EEEvSN_,comdat
.Lfunc_end216:
	.size	_ZN7rocprim17ROCPRIM_400000_NS6detail17trampoline_kernelINS0_14default_configENS1_35radix_sort_onesweep_config_selectorIjN6thrust23THRUST_200600_302600_NS5tupleIffNS6_9null_typeES8_S8_S8_S8_S8_S8_S8_EEEEZZNS1_29radix_sort_onesweep_iterationIS3_Lb0ENS6_6detail15normal_iteratorINS6_10device_ptrIjEEEESG_NSD_INSE_IS9_EEEESI_jNS0_19identity_decomposerENS1_16block_id_wrapperIjLb0EEEEE10hipError_tT1_PNSt15iterator_traitsISN_E10value_typeET2_T3_PNSO_IST_E10value_typeET4_T5_PSY_SZ_PNS1_23onesweep_lookback_stateEbbT6_jjT7_P12ihipStream_tbENKUlT_T0_SN_SS_E_clISG_PjSI_PS9_EEDaS16_S17_SN_SS_EUlS16_E_NS1_11comp_targetILNS1_3genE3ELNS1_11target_archE908ELNS1_3gpuE7ELNS1_3repE0EEENS1_47radix_sort_onesweep_sort_config_static_selectorELNS0_4arch9wavefront6targetE0EEEvSN_, .Lfunc_end216-_ZN7rocprim17ROCPRIM_400000_NS6detail17trampoline_kernelINS0_14default_configENS1_35radix_sort_onesweep_config_selectorIjN6thrust23THRUST_200600_302600_NS5tupleIffNS6_9null_typeES8_S8_S8_S8_S8_S8_S8_EEEEZZNS1_29radix_sort_onesweep_iterationIS3_Lb0ENS6_6detail15normal_iteratorINS6_10device_ptrIjEEEESG_NSD_INSE_IS9_EEEESI_jNS0_19identity_decomposerENS1_16block_id_wrapperIjLb0EEEEE10hipError_tT1_PNSt15iterator_traitsISN_E10value_typeET2_T3_PNSO_IST_E10value_typeET4_T5_PSY_SZ_PNS1_23onesweep_lookback_stateEbbT6_jjT7_P12ihipStream_tbENKUlT_T0_SN_SS_E_clISG_PjSI_PS9_EEDaS16_S17_SN_SS_EUlS16_E_NS1_11comp_targetILNS1_3genE3ELNS1_11target_archE908ELNS1_3gpuE7ELNS1_3repE0EEENS1_47radix_sort_onesweep_sort_config_static_selectorELNS0_4arch9wavefront6targetE0EEEvSN_
                                        ; -- End function
	.set _ZN7rocprim17ROCPRIM_400000_NS6detail17trampoline_kernelINS0_14default_configENS1_35radix_sort_onesweep_config_selectorIjN6thrust23THRUST_200600_302600_NS5tupleIffNS6_9null_typeES8_S8_S8_S8_S8_S8_S8_EEEEZZNS1_29radix_sort_onesweep_iterationIS3_Lb0ENS6_6detail15normal_iteratorINS6_10device_ptrIjEEEESG_NSD_INSE_IS9_EEEESI_jNS0_19identity_decomposerENS1_16block_id_wrapperIjLb0EEEEE10hipError_tT1_PNSt15iterator_traitsISN_E10value_typeET2_T3_PNSO_IST_E10value_typeET4_T5_PSY_SZ_PNS1_23onesweep_lookback_stateEbbT6_jjT7_P12ihipStream_tbENKUlT_T0_SN_SS_E_clISG_PjSI_PS9_EEDaS16_S17_SN_SS_EUlS16_E_NS1_11comp_targetILNS1_3genE3ELNS1_11target_archE908ELNS1_3gpuE7ELNS1_3repE0EEENS1_47radix_sort_onesweep_sort_config_static_selectorELNS0_4arch9wavefront6targetE0EEEvSN_.num_vgpr, 0
	.set _ZN7rocprim17ROCPRIM_400000_NS6detail17trampoline_kernelINS0_14default_configENS1_35radix_sort_onesweep_config_selectorIjN6thrust23THRUST_200600_302600_NS5tupleIffNS6_9null_typeES8_S8_S8_S8_S8_S8_S8_EEEEZZNS1_29radix_sort_onesweep_iterationIS3_Lb0ENS6_6detail15normal_iteratorINS6_10device_ptrIjEEEESG_NSD_INSE_IS9_EEEESI_jNS0_19identity_decomposerENS1_16block_id_wrapperIjLb0EEEEE10hipError_tT1_PNSt15iterator_traitsISN_E10value_typeET2_T3_PNSO_IST_E10value_typeET4_T5_PSY_SZ_PNS1_23onesweep_lookback_stateEbbT6_jjT7_P12ihipStream_tbENKUlT_T0_SN_SS_E_clISG_PjSI_PS9_EEDaS16_S17_SN_SS_EUlS16_E_NS1_11comp_targetILNS1_3genE3ELNS1_11target_archE908ELNS1_3gpuE7ELNS1_3repE0EEENS1_47radix_sort_onesweep_sort_config_static_selectorELNS0_4arch9wavefront6targetE0EEEvSN_.num_agpr, 0
	.set _ZN7rocprim17ROCPRIM_400000_NS6detail17trampoline_kernelINS0_14default_configENS1_35radix_sort_onesweep_config_selectorIjN6thrust23THRUST_200600_302600_NS5tupleIffNS6_9null_typeES8_S8_S8_S8_S8_S8_S8_EEEEZZNS1_29radix_sort_onesweep_iterationIS3_Lb0ENS6_6detail15normal_iteratorINS6_10device_ptrIjEEEESG_NSD_INSE_IS9_EEEESI_jNS0_19identity_decomposerENS1_16block_id_wrapperIjLb0EEEEE10hipError_tT1_PNSt15iterator_traitsISN_E10value_typeET2_T3_PNSO_IST_E10value_typeET4_T5_PSY_SZ_PNS1_23onesweep_lookback_stateEbbT6_jjT7_P12ihipStream_tbENKUlT_T0_SN_SS_E_clISG_PjSI_PS9_EEDaS16_S17_SN_SS_EUlS16_E_NS1_11comp_targetILNS1_3genE3ELNS1_11target_archE908ELNS1_3gpuE7ELNS1_3repE0EEENS1_47radix_sort_onesweep_sort_config_static_selectorELNS0_4arch9wavefront6targetE0EEEvSN_.numbered_sgpr, 0
	.set _ZN7rocprim17ROCPRIM_400000_NS6detail17trampoline_kernelINS0_14default_configENS1_35radix_sort_onesweep_config_selectorIjN6thrust23THRUST_200600_302600_NS5tupleIffNS6_9null_typeES8_S8_S8_S8_S8_S8_S8_EEEEZZNS1_29radix_sort_onesweep_iterationIS3_Lb0ENS6_6detail15normal_iteratorINS6_10device_ptrIjEEEESG_NSD_INSE_IS9_EEEESI_jNS0_19identity_decomposerENS1_16block_id_wrapperIjLb0EEEEE10hipError_tT1_PNSt15iterator_traitsISN_E10value_typeET2_T3_PNSO_IST_E10value_typeET4_T5_PSY_SZ_PNS1_23onesweep_lookback_stateEbbT6_jjT7_P12ihipStream_tbENKUlT_T0_SN_SS_E_clISG_PjSI_PS9_EEDaS16_S17_SN_SS_EUlS16_E_NS1_11comp_targetILNS1_3genE3ELNS1_11target_archE908ELNS1_3gpuE7ELNS1_3repE0EEENS1_47radix_sort_onesweep_sort_config_static_selectorELNS0_4arch9wavefront6targetE0EEEvSN_.num_named_barrier, 0
	.set _ZN7rocprim17ROCPRIM_400000_NS6detail17trampoline_kernelINS0_14default_configENS1_35radix_sort_onesweep_config_selectorIjN6thrust23THRUST_200600_302600_NS5tupleIffNS6_9null_typeES8_S8_S8_S8_S8_S8_S8_EEEEZZNS1_29radix_sort_onesweep_iterationIS3_Lb0ENS6_6detail15normal_iteratorINS6_10device_ptrIjEEEESG_NSD_INSE_IS9_EEEESI_jNS0_19identity_decomposerENS1_16block_id_wrapperIjLb0EEEEE10hipError_tT1_PNSt15iterator_traitsISN_E10value_typeET2_T3_PNSO_IST_E10value_typeET4_T5_PSY_SZ_PNS1_23onesweep_lookback_stateEbbT6_jjT7_P12ihipStream_tbENKUlT_T0_SN_SS_E_clISG_PjSI_PS9_EEDaS16_S17_SN_SS_EUlS16_E_NS1_11comp_targetILNS1_3genE3ELNS1_11target_archE908ELNS1_3gpuE7ELNS1_3repE0EEENS1_47radix_sort_onesweep_sort_config_static_selectorELNS0_4arch9wavefront6targetE0EEEvSN_.private_seg_size, 0
	.set _ZN7rocprim17ROCPRIM_400000_NS6detail17trampoline_kernelINS0_14default_configENS1_35radix_sort_onesweep_config_selectorIjN6thrust23THRUST_200600_302600_NS5tupleIffNS6_9null_typeES8_S8_S8_S8_S8_S8_S8_EEEEZZNS1_29radix_sort_onesweep_iterationIS3_Lb0ENS6_6detail15normal_iteratorINS6_10device_ptrIjEEEESG_NSD_INSE_IS9_EEEESI_jNS0_19identity_decomposerENS1_16block_id_wrapperIjLb0EEEEE10hipError_tT1_PNSt15iterator_traitsISN_E10value_typeET2_T3_PNSO_IST_E10value_typeET4_T5_PSY_SZ_PNS1_23onesweep_lookback_stateEbbT6_jjT7_P12ihipStream_tbENKUlT_T0_SN_SS_E_clISG_PjSI_PS9_EEDaS16_S17_SN_SS_EUlS16_E_NS1_11comp_targetILNS1_3genE3ELNS1_11target_archE908ELNS1_3gpuE7ELNS1_3repE0EEENS1_47radix_sort_onesweep_sort_config_static_selectorELNS0_4arch9wavefront6targetE0EEEvSN_.uses_vcc, 0
	.set _ZN7rocprim17ROCPRIM_400000_NS6detail17trampoline_kernelINS0_14default_configENS1_35radix_sort_onesweep_config_selectorIjN6thrust23THRUST_200600_302600_NS5tupleIffNS6_9null_typeES8_S8_S8_S8_S8_S8_S8_EEEEZZNS1_29radix_sort_onesweep_iterationIS3_Lb0ENS6_6detail15normal_iteratorINS6_10device_ptrIjEEEESG_NSD_INSE_IS9_EEEESI_jNS0_19identity_decomposerENS1_16block_id_wrapperIjLb0EEEEE10hipError_tT1_PNSt15iterator_traitsISN_E10value_typeET2_T3_PNSO_IST_E10value_typeET4_T5_PSY_SZ_PNS1_23onesweep_lookback_stateEbbT6_jjT7_P12ihipStream_tbENKUlT_T0_SN_SS_E_clISG_PjSI_PS9_EEDaS16_S17_SN_SS_EUlS16_E_NS1_11comp_targetILNS1_3genE3ELNS1_11target_archE908ELNS1_3gpuE7ELNS1_3repE0EEENS1_47radix_sort_onesweep_sort_config_static_selectorELNS0_4arch9wavefront6targetE0EEEvSN_.uses_flat_scratch, 0
	.set _ZN7rocprim17ROCPRIM_400000_NS6detail17trampoline_kernelINS0_14default_configENS1_35radix_sort_onesweep_config_selectorIjN6thrust23THRUST_200600_302600_NS5tupleIffNS6_9null_typeES8_S8_S8_S8_S8_S8_S8_EEEEZZNS1_29radix_sort_onesweep_iterationIS3_Lb0ENS6_6detail15normal_iteratorINS6_10device_ptrIjEEEESG_NSD_INSE_IS9_EEEESI_jNS0_19identity_decomposerENS1_16block_id_wrapperIjLb0EEEEE10hipError_tT1_PNSt15iterator_traitsISN_E10value_typeET2_T3_PNSO_IST_E10value_typeET4_T5_PSY_SZ_PNS1_23onesweep_lookback_stateEbbT6_jjT7_P12ihipStream_tbENKUlT_T0_SN_SS_E_clISG_PjSI_PS9_EEDaS16_S17_SN_SS_EUlS16_E_NS1_11comp_targetILNS1_3genE3ELNS1_11target_archE908ELNS1_3gpuE7ELNS1_3repE0EEENS1_47radix_sort_onesweep_sort_config_static_selectorELNS0_4arch9wavefront6targetE0EEEvSN_.has_dyn_sized_stack, 0
	.set _ZN7rocprim17ROCPRIM_400000_NS6detail17trampoline_kernelINS0_14default_configENS1_35radix_sort_onesweep_config_selectorIjN6thrust23THRUST_200600_302600_NS5tupleIffNS6_9null_typeES8_S8_S8_S8_S8_S8_S8_EEEEZZNS1_29radix_sort_onesweep_iterationIS3_Lb0ENS6_6detail15normal_iteratorINS6_10device_ptrIjEEEESG_NSD_INSE_IS9_EEEESI_jNS0_19identity_decomposerENS1_16block_id_wrapperIjLb0EEEEE10hipError_tT1_PNSt15iterator_traitsISN_E10value_typeET2_T3_PNSO_IST_E10value_typeET4_T5_PSY_SZ_PNS1_23onesweep_lookback_stateEbbT6_jjT7_P12ihipStream_tbENKUlT_T0_SN_SS_E_clISG_PjSI_PS9_EEDaS16_S17_SN_SS_EUlS16_E_NS1_11comp_targetILNS1_3genE3ELNS1_11target_archE908ELNS1_3gpuE7ELNS1_3repE0EEENS1_47radix_sort_onesweep_sort_config_static_selectorELNS0_4arch9wavefront6targetE0EEEvSN_.has_recursion, 0
	.set _ZN7rocprim17ROCPRIM_400000_NS6detail17trampoline_kernelINS0_14default_configENS1_35radix_sort_onesweep_config_selectorIjN6thrust23THRUST_200600_302600_NS5tupleIffNS6_9null_typeES8_S8_S8_S8_S8_S8_S8_EEEEZZNS1_29radix_sort_onesweep_iterationIS3_Lb0ENS6_6detail15normal_iteratorINS6_10device_ptrIjEEEESG_NSD_INSE_IS9_EEEESI_jNS0_19identity_decomposerENS1_16block_id_wrapperIjLb0EEEEE10hipError_tT1_PNSt15iterator_traitsISN_E10value_typeET2_T3_PNSO_IST_E10value_typeET4_T5_PSY_SZ_PNS1_23onesweep_lookback_stateEbbT6_jjT7_P12ihipStream_tbENKUlT_T0_SN_SS_E_clISG_PjSI_PS9_EEDaS16_S17_SN_SS_EUlS16_E_NS1_11comp_targetILNS1_3genE3ELNS1_11target_archE908ELNS1_3gpuE7ELNS1_3repE0EEENS1_47radix_sort_onesweep_sort_config_static_selectorELNS0_4arch9wavefront6targetE0EEEvSN_.has_indirect_call, 0
	.section	.AMDGPU.csdata,"",@progbits
; Kernel info:
; codeLenInByte = 0
; TotalNumSgprs: 0
; NumVgprs: 0
; ScratchSize: 0
; MemoryBound: 0
; FloatMode: 240
; IeeeMode: 1
; LDSByteSize: 0 bytes/workgroup (compile time only)
; SGPRBlocks: 0
; VGPRBlocks: 0
; NumSGPRsForWavesPerEU: 1
; NumVGPRsForWavesPerEU: 1
; Occupancy: 16
; WaveLimiterHint : 0
; COMPUTE_PGM_RSRC2:SCRATCH_EN: 0
; COMPUTE_PGM_RSRC2:USER_SGPR: 2
; COMPUTE_PGM_RSRC2:TRAP_HANDLER: 0
; COMPUTE_PGM_RSRC2:TGID_X_EN: 1
; COMPUTE_PGM_RSRC2:TGID_Y_EN: 0
; COMPUTE_PGM_RSRC2:TGID_Z_EN: 0
; COMPUTE_PGM_RSRC2:TIDIG_COMP_CNT: 0
	.section	.text._ZN7rocprim17ROCPRIM_400000_NS6detail17trampoline_kernelINS0_14default_configENS1_35radix_sort_onesweep_config_selectorIjN6thrust23THRUST_200600_302600_NS5tupleIffNS6_9null_typeES8_S8_S8_S8_S8_S8_S8_EEEEZZNS1_29radix_sort_onesweep_iterationIS3_Lb0ENS6_6detail15normal_iteratorINS6_10device_ptrIjEEEESG_NSD_INSE_IS9_EEEESI_jNS0_19identity_decomposerENS1_16block_id_wrapperIjLb0EEEEE10hipError_tT1_PNSt15iterator_traitsISN_E10value_typeET2_T3_PNSO_IST_E10value_typeET4_T5_PSY_SZ_PNS1_23onesweep_lookback_stateEbbT6_jjT7_P12ihipStream_tbENKUlT_T0_SN_SS_E_clISG_PjSI_PS9_EEDaS16_S17_SN_SS_EUlS16_E_NS1_11comp_targetILNS1_3genE10ELNS1_11target_archE1201ELNS1_3gpuE5ELNS1_3repE0EEENS1_47radix_sort_onesweep_sort_config_static_selectorELNS0_4arch9wavefront6targetE0EEEvSN_,"axG",@progbits,_ZN7rocprim17ROCPRIM_400000_NS6detail17trampoline_kernelINS0_14default_configENS1_35radix_sort_onesweep_config_selectorIjN6thrust23THRUST_200600_302600_NS5tupleIffNS6_9null_typeES8_S8_S8_S8_S8_S8_S8_EEEEZZNS1_29radix_sort_onesweep_iterationIS3_Lb0ENS6_6detail15normal_iteratorINS6_10device_ptrIjEEEESG_NSD_INSE_IS9_EEEESI_jNS0_19identity_decomposerENS1_16block_id_wrapperIjLb0EEEEE10hipError_tT1_PNSt15iterator_traitsISN_E10value_typeET2_T3_PNSO_IST_E10value_typeET4_T5_PSY_SZ_PNS1_23onesweep_lookback_stateEbbT6_jjT7_P12ihipStream_tbENKUlT_T0_SN_SS_E_clISG_PjSI_PS9_EEDaS16_S17_SN_SS_EUlS16_E_NS1_11comp_targetILNS1_3genE10ELNS1_11target_archE1201ELNS1_3gpuE5ELNS1_3repE0EEENS1_47radix_sort_onesweep_sort_config_static_selectorELNS0_4arch9wavefront6targetE0EEEvSN_,comdat
	.protected	_ZN7rocprim17ROCPRIM_400000_NS6detail17trampoline_kernelINS0_14default_configENS1_35radix_sort_onesweep_config_selectorIjN6thrust23THRUST_200600_302600_NS5tupleIffNS6_9null_typeES8_S8_S8_S8_S8_S8_S8_EEEEZZNS1_29radix_sort_onesweep_iterationIS3_Lb0ENS6_6detail15normal_iteratorINS6_10device_ptrIjEEEESG_NSD_INSE_IS9_EEEESI_jNS0_19identity_decomposerENS1_16block_id_wrapperIjLb0EEEEE10hipError_tT1_PNSt15iterator_traitsISN_E10value_typeET2_T3_PNSO_IST_E10value_typeET4_T5_PSY_SZ_PNS1_23onesweep_lookback_stateEbbT6_jjT7_P12ihipStream_tbENKUlT_T0_SN_SS_E_clISG_PjSI_PS9_EEDaS16_S17_SN_SS_EUlS16_E_NS1_11comp_targetILNS1_3genE10ELNS1_11target_archE1201ELNS1_3gpuE5ELNS1_3repE0EEENS1_47radix_sort_onesweep_sort_config_static_selectorELNS0_4arch9wavefront6targetE0EEEvSN_ ; -- Begin function _ZN7rocprim17ROCPRIM_400000_NS6detail17trampoline_kernelINS0_14default_configENS1_35radix_sort_onesweep_config_selectorIjN6thrust23THRUST_200600_302600_NS5tupleIffNS6_9null_typeES8_S8_S8_S8_S8_S8_S8_EEEEZZNS1_29radix_sort_onesweep_iterationIS3_Lb0ENS6_6detail15normal_iteratorINS6_10device_ptrIjEEEESG_NSD_INSE_IS9_EEEESI_jNS0_19identity_decomposerENS1_16block_id_wrapperIjLb0EEEEE10hipError_tT1_PNSt15iterator_traitsISN_E10value_typeET2_T3_PNSO_IST_E10value_typeET4_T5_PSY_SZ_PNS1_23onesweep_lookback_stateEbbT6_jjT7_P12ihipStream_tbENKUlT_T0_SN_SS_E_clISG_PjSI_PS9_EEDaS16_S17_SN_SS_EUlS16_E_NS1_11comp_targetILNS1_3genE10ELNS1_11target_archE1201ELNS1_3gpuE5ELNS1_3repE0EEENS1_47radix_sort_onesweep_sort_config_static_selectorELNS0_4arch9wavefront6targetE0EEEvSN_
	.globl	_ZN7rocprim17ROCPRIM_400000_NS6detail17trampoline_kernelINS0_14default_configENS1_35radix_sort_onesweep_config_selectorIjN6thrust23THRUST_200600_302600_NS5tupleIffNS6_9null_typeES8_S8_S8_S8_S8_S8_S8_EEEEZZNS1_29radix_sort_onesweep_iterationIS3_Lb0ENS6_6detail15normal_iteratorINS6_10device_ptrIjEEEESG_NSD_INSE_IS9_EEEESI_jNS0_19identity_decomposerENS1_16block_id_wrapperIjLb0EEEEE10hipError_tT1_PNSt15iterator_traitsISN_E10value_typeET2_T3_PNSO_IST_E10value_typeET4_T5_PSY_SZ_PNS1_23onesweep_lookback_stateEbbT6_jjT7_P12ihipStream_tbENKUlT_T0_SN_SS_E_clISG_PjSI_PS9_EEDaS16_S17_SN_SS_EUlS16_E_NS1_11comp_targetILNS1_3genE10ELNS1_11target_archE1201ELNS1_3gpuE5ELNS1_3repE0EEENS1_47radix_sort_onesweep_sort_config_static_selectorELNS0_4arch9wavefront6targetE0EEEvSN_
	.p2align	8
	.type	_ZN7rocprim17ROCPRIM_400000_NS6detail17trampoline_kernelINS0_14default_configENS1_35radix_sort_onesweep_config_selectorIjN6thrust23THRUST_200600_302600_NS5tupleIffNS6_9null_typeES8_S8_S8_S8_S8_S8_S8_EEEEZZNS1_29radix_sort_onesweep_iterationIS3_Lb0ENS6_6detail15normal_iteratorINS6_10device_ptrIjEEEESG_NSD_INSE_IS9_EEEESI_jNS0_19identity_decomposerENS1_16block_id_wrapperIjLb0EEEEE10hipError_tT1_PNSt15iterator_traitsISN_E10value_typeET2_T3_PNSO_IST_E10value_typeET4_T5_PSY_SZ_PNS1_23onesweep_lookback_stateEbbT6_jjT7_P12ihipStream_tbENKUlT_T0_SN_SS_E_clISG_PjSI_PS9_EEDaS16_S17_SN_SS_EUlS16_E_NS1_11comp_targetILNS1_3genE10ELNS1_11target_archE1201ELNS1_3gpuE5ELNS1_3repE0EEENS1_47radix_sort_onesweep_sort_config_static_selectorELNS0_4arch9wavefront6targetE0EEEvSN_,@function
_ZN7rocprim17ROCPRIM_400000_NS6detail17trampoline_kernelINS0_14default_configENS1_35radix_sort_onesweep_config_selectorIjN6thrust23THRUST_200600_302600_NS5tupleIffNS6_9null_typeES8_S8_S8_S8_S8_S8_S8_EEEEZZNS1_29radix_sort_onesweep_iterationIS3_Lb0ENS6_6detail15normal_iteratorINS6_10device_ptrIjEEEESG_NSD_INSE_IS9_EEEESI_jNS0_19identity_decomposerENS1_16block_id_wrapperIjLb0EEEEE10hipError_tT1_PNSt15iterator_traitsISN_E10value_typeET2_T3_PNSO_IST_E10value_typeET4_T5_PSY_SZ_PNS1_23onesweep_lookback_stateEbbT6_jjT7_P12ihipStream_tbENKUlT_T0_SN_SS_E_clISG_PjSI_PS9_EEDaS16_S17_SN_SS_EUlS16_E_NS1_11comp_targetILNS1_3genE10ELNS1_11target_archE1201ELNS1_3gpuE5ELNS1_3repE0EEENS1_47radix_sort_onesweep_sort_config_static_selectorELNS0_4arch9wavefront6targetE0EEEvSN_: ; @_ZN7rocprim17ROCPRIM_400000_NS6detail17trampoline_kernelINS0_14default_configENS1_35radix_sort_onesweep_config_selectorIjN6thrust23THRUST_200600_302600_NS5tupleIffNS6_9null_typeES8_S8_S8_S8_S8_S8_S8_EEEEZZNS1_29radix_sort_onesweep_iterationIS3_Lb0ENS6_6detail15normal_iteratorINS6_10device_ptrIjEEEESG_NSD_INSE_IS9_EEEESI_jNS0_19identity_decomposerENS1_16block_id_wrapperIjLb0EEEEE10hipError_tT1_PNSt15iterator_traitsISN_E10value_typeET2_T3_PNSO_IST_E10value_typeET4_T5_PSY_SZ_PNS1_23onesweep_lookback_stateEbbT6_jjT7_P12ihipStream_tbENKUlT_T0_SN_SS_E_clISG_PjSI_PS9_EEDaS16_S17_SN_SS_EUlS16_E_NS1_11comp_targetILNS1_3genE10ELNS1_11target_archE1201ELNS1_3gpuE5ELNS1_3repE0EEENS1_47radix_sort_onesweep_sort_config_static_selectorELNS0_4arch9wavefront6targetE0EEEvSN_
; %bb.0:
	s_clause 0x3
	s_load_b96 s[40:42], s[0:1], 0x44
	s_load_b256 s[24:31], s[0:1], 0x0
	s_load_b128 s[36:39], s[0:1], 0x28
	s_load_b64 s[34:35], s[0:1], 0x38
	v_and_b32_e32 v1, 0x3ff, v0
	v_mbcnt_lo_u32_b32 v36, -1, 0
	s_mov_b32 s2, -1
	s_add_nc_u64 s[44:45], s[0:1], 0x58
	s_wait_kmcnt 0x0
	s_cmp_ge_u32 ttmp9, s42
	s_cbranch_scc0 .LBB217_148
; %bb.1:
	s_load_b32 s4, s[0:1], 0x20
	v_dual_mov_b32 v11, -1 :: v_dual_lshlrev_b32 v2, 4, v1
	s_lshl_b32 s5, s42, 14
	s_lshl_b32 s42, ttmp9, 14
	s_mov_b32 s43, 0
	s_delay_alu instid0(VALU_DEP_1)
	v_and_b32_e32 v10, 0x3e00, v2
	v_lshlrev_b32_e32 v2, 2, v36
	s_lshl_b64 s[2:3], s[42:43], 2
	v_mov_b32_e32 v12, -1
	s_add_nc_u64 s[2:3], s[24:25], s[2:3]
	v_lshlrev_b32_e32 v3, 2, v10
	v_add_co_u32 v2, s2, s2, v2
	s_wait_alu 0xf1ff
	v_add_co_ci_u32_e64 v5, null, s3, 0, s2
	v_or_b32_e32 v4, v36, v10
	s_delay_alu instid0(VALU_DEP_3) | instskip(NEXT) | instid1(VALU_DEP_1)
	v_add_co_u32 v2, vcc_lo, v2, v3
	v_add_co_ci_u32_e64 v3, null, 0, v5, vcc_lo
	s_wait_kmcnt 0x0
	s_sub_co_i32 s33, s4, s5
	s_delay_alu instid0(SALU_CYCLE_1)
	v_cmp_gt_u32_e64 s17, s33, v4
	s_and_saveexec_b32 s2, s17
	s_cbranch_execz .LBB217_3
; %bb.2:
	global_load_b32 v12, v[2:3], off
.LBB217_3:
	s_wait_alu 0xfffe
	s_or_b32 exec_lo, exec_lo, s2
	v_or_b32_e32 v5, 32, v4
	s_delay_alu instid0(VALU_DEP_1)
	v_cmp_gt_u32_e64 s16, s33, v5
	s_and_saveexec_b32 s2, s16
	s_cbranch_execz .LBB217_5
; %bb.4:
	global_load_b32 v11, v[2:3], off offset:128
.LBB217_5:
	s_wait_alu 0xfffe
	s_or_b32 exec_lo, exec_lo, s2
	v_or_b32_e32 v5, 64, v4
	v_dual_mov_b32 v13, -1 :: v_dual_mov_b32 v14, -1
	s_delay_alu instid0(VALU_DEP_2)
	v_cmp_gt_u32_e64 s15, s33, v5
	s_and_saveexec_b32 s2, s15
	s_cbranch_execz .LBB217_7
; %bb.6:
	global_load_b32 v14, v[2:3], off offset:256
.LBB217_7:
	s_wait_alu 0xfffe
	s_or_b32 exec_lo, exec_lo, s2
	v_or_b32_e32 v5, 0x60, v4
	s_delay_alu instid0(VALU_DEP_1)
	v_cmp_gt_u32_e64 s14, s33, v5
	s_and_saveexec_b32 s2, s14
	s_cbranch_execz .LBB217_9
; %bb.8:
	global_load_b32 v13, v[2:3], off offset:384
.LBB217_9:
	s_wait_alu 0xfffe
	s_or_b32 exec_lo, exec_lo, s2
	v_or_b32_e32 v5, 0x80, v4
	v_dual_mov_b32 v15, -1 :: v_dual_mov_b32 v16, -1
	s_delay_alu instid0(VALU_DEP_2)
	v_cmp_gt_u32_e64 s13, s33, v5
	s_and_saveexec_b32 s2, s13
	s_cbranch_execz .LBB217_11
; %bb.10:
	global_load_b32 v16, v[2:3], off offset:512
.LBB217_11:
	;; [unrolled: 21-line block ×7, first 2 shown]
	s_wait_alu 0xfffe
	s_or_b32 exec_lo, exec_lo, s2
	v_or_b32_e32 v4, 0x1e0, v4
	s_delay_alu instid0(VALU_DEP_1)
	v_cmp_gt_u32_e64 s2, s33, v4
	s_and_saveexec_b32 s18, s2
	s_cbranch_execz .LBB217_33
; %bb.32:
	global_load_b32 v25, v[2:3], off offset:1920
.LBB217_33:
	s_or_b32 exec_lo, exec_lo, s18
	s_clause 0x1
	s_load_b32 s46, s[0:1], 0x58
	s_load_u16 s20, s[0:1], 0x66
	s_wait_loadcnt 0x0
	v_lshrrev_b32_e32 v2, s40, v12
	v_mul_u32_u24_e32 v30, 36, v1
	s_wait_kmcnt 0x0
	s_cmp_lt_u32 ttmp9, s46
	s_cselect_b32 s18, 12, 18
	s_lshl_b32 s19, -1, s41
	s_delay_alu instid0(SALU_CYCLE_1)
	s_not_b32 s47, s19
	s_mov_b32 s19, 0
	v_and_b32_e32 v4, s47, v2
	s_add_nc_u64 s[18:19], s[44:45], s[18:19]
	v_bfe_u32 v2, v0, 10, 10
	s_load_u16 s19, s[18:19], 0x0
	s_delay_alu instid0(VALU_DEP_2)
	v_and_b32_e32 v3, 1, v4
	v_lshlrev_b32_e32 v5, 30, v4
	v_lshlrev_b32_e32 v6, 29, v4
	;; [unrolled: 1-line block ×4, first 2 shown]
	v_add_co_u32 v3, s18, v3, -1
	s_delay_alu instid0(VALU_DEP_1) | instskip(SKIP_3) | instid1(VALU_DEP_4)
	v_cndmask_b32_e64 v8, 0, 1, s18
	v_not_b32_e32 v29, v5
	v_cmp_gt_i32_e64 s18, 0, v5
	v_not_b32_e32 v5, v6
	v_cmp_ne_u32_e32 vcc_lo, 0, v8
	s_delay_alu instid0(VALU_DEP_4) | instskip(NEXT) | instid1(VALU_DEP_3)
	v_ashrrev_i32_e32 v29, 31, v29
	v_ashrrev_i32_e32 v5, 31, v5
	s_wait_alu 0xfffd
	v_xor_b32_e32 v3, vcc_lo, v3
	v_cmp_gt_i32_e32 vcc_lo, 0, v6
	v_not_b32_e32 v6, v7
	s_wait_alu 0xf1ff
	v_xor_b32_e32 v29, s18, v29
	v_cmp_gt_i32_e64 s18, 0, v7
	v_and_b32_e32 v3, exec_lo, v3
	v_not_b32_e32 v7, v9
	v_ashrrev_i32_e32 v6, 31, v6
	s_wait_alu 0xfffd
	v_xor_b32_e32 v5, vcc_lo, v5
	v_cmp_gt_i32_e32 vcc_lo, 0, v9
	v_and_b32_e32 v3, v3, v29
	v_ashrrev_i32_e32 v7, 31, v7
	s_wait_alu 0xf1ff
	v_xor_b32_e32 v6, s18, v6
	s_delay_alu instid0(VALU_DEP_3) | instskip(SKIP_2) | instid1(VALU_DEP_2)
	v_and_b32_e32 v3, v3, v5
	s_wait_alu 0xfffd
	v_xor_b32_e32 v7, vcc_lo, v7
	v_and_b32_e32 v3, v3, v6
	s_delay_alu instid0(VALU_DEP_1) | instskip(SKIP_1) | instid1(VALU_DEP_1)
	v_and_b32_e32 v3, v3, v7
	v_bfe_u32 v7, v0, 20, 10
	v_mad_u32_u24 v2, v7, s20, v2
	v_mov_b32_e32 v7, 0
	v_lshlrev_b32_e32 v27, 26, v4
	v_lshlrev_b32_e32 v28, 25, v4
	;; [unrolled: 1-line block ×3, first 2 shown]
	v_mul_lo_u32 v4, 0x84, v4
	ds_store_2addr_b32 v30, v7, v7 offset0:32 offset1:33
	ds_store_2addr_b32 v30, v7, v7 offset0:34 offset1:35
	;; [unrolled: 1-line block ×4, first 2 shown]
	v_not_b32_e32 v9, v27
	v_cmp_gt_i32_e64 s18, 0, v27
	v_not_b32_e32 v5, v28
	v_cmp_gt_i32_e32 vcc_lo, 0, v28
	v_not_b32_e32 v6, v8
	v_ashrrev_i32_e32 v9, 31, v9
	ds_store_b32 v30, v7 offset:160
	v_ashrrev_i32_e32 v5, 31, v5
	s_wait_dscnt 0x0
	v_ashrrev_i32_e32 v6, 31, v6
	s_wait_alu 0xf1ff
	v_xor_b32_e32 v9, s18, v9
	v_cmp_gt_i32_e64 s18, 0, v8
	s_wait_alu 0xfffd
	v_xor_b32_e32 v5, vcc_lo, v5
	s_barrier_signal -1
	s_barrier_wait -1
	v_and_b32_e32 v3, v3, v9
	s_wait_alu 0xf1ff
	v_xor_b32_e32 v6, s18, v6
	global_inv scope:SCOPE_SE
	; wave barrier
	v_and_b32_e32 v5, v3, v5
	s_wait_kmcnt 0x0
	v_mad_co_u64_u32 v[2:3], null, v2, s19, v[1:2]
	s_delay_alu instid0(VALU_DEP_2) | instskip(NEXT) | instid1(VALU_DEP_2)
	v_and_b32_e32 v3, v5, v6
	v_lshrrev_b32_e32 v2, 3, v2
	s_delay_alu instid0(VALU_DEP_2) | instskip(SKIP_1) | instid1(VALU_DEP_3)
	v_mbcnt_lo_u32_b32 v27, v3, 0
	v_cmp_ne_u32_e64 s18, 0, v3
	v_and_b32_e32 v2, 0x1ffffffc, v2
	s_delay_alu instid0(VALU_DEP_3) | instskip(NEXT) | instid1(VALU_DEP_2)
	v_cmp_eq_u32_e32 vcc_lo, 0, v27
	v_add_nc_u32_e32 v31, v2, v4
	s_and_b32 s19, s18, vcc_lo
	s_wait_alu 0xfffe
	s_and_saveexec_b32 s18, s19
; %bb.34:
	v_bcnt_u32_b32 v3, v3, 0
	ds_store_b32 v31, v3 offset:128
; %bb.35:
	s_wait_alu 0xfffe
	s_or_b32 exec_lo, exec_lo, s18
	v_lshrrev_b32_e32 v3, s40, v11
	; wave barrier
	s_delay_alu instid0(VALU_DEP_1) | instskip(NEXT) | instid1(VALU_DEP_1)
	v_and_b32_e32 v3, s47, v3
	v_and_b32_e32 v5, 1, v3
	v_lshlrev_b32_e32 v6, 30, v3
	v_lshlrev_b32_e32 v7, 29, v3
	;; [unrolled: 1-line block ×4, first 2 shown]
	v_add_co_u32 v5, s18, v5, -1
	s_wait_alu 0xf1ff
	v_cndmask_b32_e64 v9, 0, 1, s18
	v_not_b32_e32 v33, v6
	v_cmp_gt_i32_e64 s18, 0, v6
	v_not_b32_e32 v6, v7
	v_lshlrev_b32_e32 v29, 26, v3
	v_cmp_ne_u32_e32 vcc_lo, 0, v9
	v_ashrrev_i32_e32 v9, 31, v33
	v_lshlrev_b32_e32 v32, 25, v3
	v_ashrrev_i32_e32 v6, 31, v6
	v_mul_lo_u32 v4, 0x84, v3
	s_wait_alu 0xfffd
	v_xor_b32_e32 v5, vcc_lo, v5
	v_cmp_gt_i32_e32 vcc_lo, 0, v7
	v_not_b32_e32 v7, v8
	s_wait_alu 0xf1ff
	v_xor_b32_e32 v9, s18, v9
	v_cmp_gt_i32_e64 s18, 0, v8
	v_and_b32_e32 v5, exec_lo, v5
	v_not_b32_e32 v8, v28
	v_ashrrev_i32_e32 v7, 31, v7
	s_wait_alu 0xfffd
	v_xor_b32_e32 v6, vcc_lo, v6
	v_cmp_gt_i32_e32 vcc_lo, 0, v28
	v_and_b32_e32 v5, v5, v9
	v_not_b32_e32 v9, v29
	v_ashrrev_i32_e32 v8, 31, v8
	s_wait_alu 0xf1ff
	v_xor_b32_e32 v7, s18, v7
	v_lshlrev_b32_e32 v3, 24, v3
	v_and_b32_e32 v5, v5, v6
	v_cmp_gt_i32_e64 s18, 0, v29
	v_not_b32_e32 v6, v32
	v_ashrrev_i32_e32 v9, 31, v9
	s_wait_alu 0xfffd
	v_xor_b32_e32 v8, vcc_lo, v8
	v_and_b32_e32 v5, v5, v7
	v_cmp_gt_i32_e32 vcc_lo, 0, v32
	v_not_b32_e32 v7, v3
	v_ashrrev_i32_e32 v6, 31, v6
	s_wait_alu 0xf1ff
	v_xor_b32_e32 v9, s18, v9
	v_and_b32_e32 v5, v5, v8
	v_cmp_gt_i32_e64 s18, 0, v3
	v_ashrrev_i32_e32 v3, 31, v7
	s_wait_alu 0xfffd
	v_xor_b32_e32 v6, vcc_lo, v6
	v_add_nc_u32_e32 v34, v2, v4
	v_and_b32_e32 v5, v5, v9
	s_wait_alu 0xf1ff
	v_xor_b32_e32 v3, s18, v3
	ds_load_b32 v28, v34 offset:128
	v_and_b32_e32 v4, v5, v6
	; wave barrier
	s_delay_alu instid0(VALU_DEP_1) | instskip(NEXT) | instid1(VALU_DEP_1)
	v_and_b32_e32 v3, v4, v3
	v_mbcnt_lo_u32_b32 v29, v3, 0
	v_cmp_ne_u32_e64 s18, 0, v3
	s_delay_alu instid0(VALU_DEP_2)
	v_cmp_eq_u32_e32 vcc_lo, 0, v29
	s_and_b32 s19, s18, vcc_lo
	s_wait_alu 0xfffe
	s_and_saveexec_b32 s18, s19
	s_cbranch_execz .LBB217_37
; %bb.36:
	s_wait_dscnt 0x0
	v_bcnt_u32_b32 v3, v3, v28
	ds_store_b32 v34, v3 offset:128
.LBB217_37:
	s_wait_alu 0xfffe
	s_or_b32 exec_lo, exec_lo, s18
	v_lshrrev_b32_e32 v3, s40, v14
	; wave barrier
	s_delay_alu instid0(VALU_DEP_1) | instskip(NEXT) | instid1(VALU_DEP_1)
	v_and_b32_e32 v3, s47, v3
	v_and_b32_e32 v5, 1, v3
	v_lshlrev_b32_e32 v6, 30, v3
	v_lshlrev_b32_e32 v7, 29, v3
	;; [unrolled: 1-line block ×4, first 2 shown]
	v_add_co_u32 v5, s18, v5, -1
	s_wait_alu 0xf1ff
	v_cndmask_b32_e64 v9, 0, 1, s18
	v_not_b32_e32 v37, v6
	v_cmp_gt_i32_e64 s18, 0, v6
	v_not_b32_e32 v6, v7
	v_lshlrev_b32_e32 v33, 26, v3
	v_cmp_ne_u32_e32 vcc_lo, 0, v9
	v_ashrrev_i32_e32 v9, 31, v37
	v_lshlrev_b32_e32 v35, 25, v3
	v_ashrrev_i32_e32 v6, 31, v6
	v_mul_lo_u32 v4, 0x84, v3
	s_wait_alu 0xfffd
	v_xor_b32_e32 v5, vcc_lo, v5
	v_cmp_gt_i32_e32 vcc_lo, 0, v7
	v_not_b32_e32 v7, v8
	s_wait_alu 0xf1ff
	v_xor_b32_e32 v9, s18, v9
	v_cmp_gt_i32_e64 s18, 0, v8
	v_and_b32_e32 v5, exec_lo, v5
	v_not_b32_e32 v8, v32
	v_ashrrev_i32_e32 v7, 31, v7
	s_wait_alu 0xfffd
	v_xor_b32_e32 v6, vcc_lo, v6
	v_cmp_gt_i32_e32 vcc_lo, 0, v32
	v_and_b32_e32 v5, v5, v9
	v_not_b32_e32 v9, v33
	v_ashrrev_i32_e32 v8, 31, v8
	s_wait_alu 0xf1ff
	v_xor_b32_e32 v7, s18, v7
	v_lshlrev_b32_e32 v3, 24, v3
	v_and_b32_e32 v5, v5, v6
	v_cmp_gt_i32_e64 s18, 0, v33
	v_not_b32_e32 v6, v35
	v_ashrrev_i32_e32 v9, 31, v9
	s_wait_alu 0xfffd
	v_xor_b32_e32 v8, vcc_lo, v8
	v_and_b32_e32 v5, v5, v7
	v_cmp_gt_i32_e32 vcc_lo, 0, v35
	v_not_b32_e32 v7, v3
	v_ashrrev_i32_e32 v6, 31, v6
	s_wait_alu 0xf1ff
	v_xor_b32_e32 v9, s18, v9
	v_and_b32_e32 v5, v5, v8
	v_cmp_gt_i32_e64 s18, 0, v3
	v_ashrrev_i32_e32 v3, 31, v7
	s_wait_alu 0xfffd
	v_xor_b32_e32 v6, vcc_lo, v6
	v_add_nc_u32_e32 v38, v2, v4
	v_and_b32_e32 v5, v5, v9
	s_wait_alu 0xf1ff
	v_xor_b32_e32 v3, s18, v3
	ds_load_b32 v32, v38 offset:128
	v_and_b32_e32 v4, v5, v6
	; wave barrier
	s_delay_alu instid0(VALU_DEP_1) | instskip(NEXT) | instid1(VALU_DEP_1)
	v_and_b32_e32 v3, v4, v3
	v_mbcnt_lo_u32_b32 v33, v3, 0
	v_cmp_ne_u32_e64 s18, 0, v3
	s_delay_alu instid0(VALU_DEP_2)
	v_cmp_eq_u32_e32 vcc_lo, 0, v33
	s_and_b32 s19, s18, vcc_lo
	s_wait_alu 0xfffe
	s_and_saveexec_b32 s18, s19
	s_cbranch_execz .LBB217_39
; %bb.38:
	s_wait_dscnt 0x0
	v_bcnt_u32_b32 v3, v3, v32
	ds_store_b32 v38, v3 offset:128
.LBB217_39:
	s_wait_alu 0xfffe
	s_or_b32 exec_lo, exec_lo, s18
	v_lshrrev_b32_e32 v3, s40, v13
	; wave barrier
	s_delay_alu instid0(VALU_DEP_1) | instskip(NEXT) | instid1(VALU_DEP_1)
	v_and_b32_e32 v3, s47, v3
	v_and_b32_e32 v5, 1, v3
	v_lshlrev_b32_e32 v6, 30, v3
	v_lshlrev_b32_e32 v7, 29, v3
	v_lshlrev_b32_e32 v8, 28, v3
	v_lshlrev_b32_e32 v35, 27, v3
	v_add_co_u32 v5, s18, v5, -1
	s_wait_alu 0xf1ff
	v_cndmask_b32_e64 v9, 0, 1, s18
	v_not_b32_e32 v40, v6
	v_cmp_gt_i32_e64 s18, 0, v6
	v_not_b32_e32 v6, v7
	v_lshlrev_b32_e32 v37, 26, v3
	v_cmp_ne_u32_e32 vcc_lo, 0, v9
	v_ashrrev_i32_e32 v9, 31, v40
	v_lshlrev_b32_e32 v39, 25, v3
	v_ashrrev_i32_e32 v6, 31, v6
	v_mul_lo_u32 v4, 0x84, v3
	s_wait_alu 0xfffd
	v_xor_b32_e32 v5, vcc_lo, v5
	v_cmp_gt_i32_e32 vcc_lo, 0, v7
	v_not_b32_e32 v7, v8
	s_wait_alu 0xf1ff
	v_xor_b32_e32 v9, s18, v9
	v_cmp_gt_i32_e64 s18, 0, v8
	v_and_b32_e32 v5, exec_lo, v5
	v_not_b32_e32 v8, v35
	v_ashrrev_i32_e32 v7, 31, v7
	s_wait_alu 0xfffd
	v_xor_b32_e32 v6, vcc_lo, v6
	v_cmp_gt_i32_e32 vcc_lo, 0, v35
	v_and_b32_e32 v5, v5, v9
	v_not_b32_e32 v9, v37
	v_ashrrev_i32_e32 v8, 31, v8
	s_wait_alu 0xf1ff
	v_xor_b32_e32 v7, s18, v7
	v_lshlrev_b32_e32 v3, 24, v3
	v_and_b32_e32 v5, v5, v6
	v_cmp_gt_i32_e64 s18, 0, v37
	v_not_b32_e32 v6, v39
	v_ashrrev_i32_e32 v9, 31, v9
	s_wait_alu 0xfffd
	v_xor_b32_e32 v8, vcc_lo, v8
	v_and_b32_e32 v5, v5, v7
	v_cmp_gt_i32_e32 vcc_lo, 0, v39
	v_not_b32_e32 v7, v3
	v_ashrrev_i32_e32 v6, 31, v6
	s_wait_alu 0xf1ff
	v_xor_b32_e32 v9, s18, v9
	v_and_b32_e32 v5, v5, v8
	v_cmp_gt_i32_e64 s18, 0, v3
	v_ashrrev_i32_e32 v3, 31, v7
	s_wait_alu 0xfffd
	v_xor_b32_e32 v6, vcc_lo, v6
	v_add_nc_u32_e32 v41, v2, v4
	v_and_b32_e32 v5, v5, v9
	s_wait_alu 0xf1ff
	v_xor_b32_e32 v3, s18, v3
	ds_load_b32 v35, v41 offset:128
	v_and_b32_e32 v4, v5, v6
	; wave barrier
	s_delay_alu instid0(VALU_DEP_1) | instskip(NEXT) | instid1(VALU_DEP_1)
	v_and_b32_e32 v3, v4, v3
	v_mbcnt_lo_u32_b32 v37, v3, 0
	v_cmp_ne_u32_e64 s18, 0, v3
	s_delay_alu instid0(VALU_DEP_2)
	v_cmp_eq_u32_e32 vcc_lo, 0, v37
	s_and_b32 s19, s18, vcc_lo
	s_wait_alu 0xfffe
	s_and_saveexec_b32 s18, s19
	s_cbranch_execz .LBB217_41
; %bb.40:
	s_wait_dscnt 0x0
	v_bcnt_u32_b32 v3, v3, v35
	ds_store_b32 v41, v3 offset:128
.LBB217_41:
	s_wait_alu 0xfffe
	s_or_b32 exec_lo, exec_lo, s18
	v_lshrrev_b32_e32 v3, s40, v16
	; wave barrier
	s_delay_alu instid0(VALU_DEP_1) | instskip(NEXT) | instid1(VALU_DEP_1)
	v_and_b32_e32 v3, s47, v3
	v_and_b32_e32 v5, 1, v3
	v_lshlrev_b32_e32 v6, 30, v3
	v_lshlrev_b32_e32 v7, 29, v3
	;; [unrolled: 1-line block ×4, first 2 shown]
	v_add_co_u32 v5, s18, v5, -1
	s_wait_alu 0xf1ff
	v_cndmask_b32_e64 v9, 0, 1, s18
	v_not_b32_e32 v43, v6
	v_cmp_gt_i32_e64 s18, 0, v6
	v_not_b32_e32 v6, v7
	v_lshlrev_b32_e32 v40, 26, v3
	v_cmp_ne_u32_e32 vcc_lo, 0, v9
	v_ashrrev_i32_e32 v9, 31, v43
	v_lshlrev_b32_e32 v42, 25, v3
	v_ashrrev_i32_e32 v6, 31, v6
	v_mul_lo_u32 v4, 0x84, v3
	s_wait_alu 0xfffd
	v_xor_b32_e32 v5, vcc_lo, v5
	v_cmp_gt_i32_e32 vcc_lo, 0, v7
	v_not_b32_e32 v7, v8
	s_wait_alu 0xf1ff
	v_xor_b32_e32 v9, s18, v9
	v_cmp_gt_i32_e64 s18, 0, v8
	v_and_b32_e32 v5, exec_lo, v5
	v_not_b32_e32 v8, v39
	v_ashrrev_i32_e32 v7, 31, v7
	s_wait_alu 0xfffd
	v_xor_b32_e32 v6, vcc_lo, v6
	v_cmp_gt_i32_e32 vcc_lo, 0, v39
	v_and_b32_e32 v5, v5, v9
	v_not_b32_e32 v9, v40
	v_ashrrev_i32_e32 v8, 31, v8
	s_wait_alu 0xf1ff
	v_xor_b32_e32 v7, s18, v7
	v_lshlrev_b32_e32 v3, 24, v3
	v_and_b32_e32 v5, v5, v6
	v_cmp_gt_i32_e64 s18, 0, v40
	v_not_b32_e32 v6, v42
	v_ashrrev_i32_e32 v9, 31, v9
	s_wait_alu 0xfffd
	v_xor_b32_e32 v8, vcc_lo, v8
	v_and_b32_e32 v5, v5, v7
	v_cmp_gt_i32_e32 vcc_lo, 0, v42
	v_not_b32_e32 v7, v3
	v_ashrrev_i32_e32 v6, 31, v6
	s_wait_alu 0xf1ff
	v_xor_b32_e32 v9, s18, v9
	v_and_b32_e32 v5, v5, v8
	v_cmp_gt_i32_e64 s18, 0, v3
	v_ashrrev_i32_e32 v3, 31, v7
	s_wait_alu 0xfffd
	v_xor_b32_e32 v6, vcc_lo, v6
	v_add_nc_u32_e32 v44, v2, v4
	v_and_b32_e32 v5, v5, v9
	s_wait_alu 0xf1ff
	v_xor_b32_e32 v3, s18, v3
	ds_load_b32 v39, v44 offset:128
	v_and_b32_e32 v4, v5, v6
	; wave barrier
	s_delay_alu instid0(VALU_DEP_1) | instskip(NEXT) | instid1(VALU_DEP_1)
	v_and_b32_e32 v3, v4, v3
	v_mbcnt_lo_u32_b32 v40, v3, 0
	v_cmp_ne_u32_e64 s18, 0, v3
	s_delay_alu instid0(VALU_DEP_2)
	v_cmp_eq_u32_e32 vcc_lo, 0, v40
	s_and_b32 s19, s18, vcc_lo
	s_wait_alu 0xfffe
	s_and_saveexec_b32 s18, s19
	s_cbranch_execz .LBB217_43
; %bb.42:
	s_wait_dscnt 0x0
	v_bcnt_u32_b32 v3, v3, v39
	ds_store_b32 v44, v3 offset:128
.LBB217_43:
	s_wait_alu 0xfffe
	s_or_b32 exec_lo, exec_lo, s18
	v_lshrrev_b32_e32 v3, s40, v15
	; wave barrier
	s_delay_alu instid0(VALU_DEP_1) | instskip(NEXT) | instid1(VALU_DEP_1)
	v_and_b32_e32 v3, s47, v3
	v_and_b32_e32 v5, 1, v3
	v_lshlrev_b32_e32 v6, 30, v3
	v_lshlrev_b32_e32 v7, 29, v3
	v_lshlrev_b32_e32 v8, 28, v3
	v_lshlrev_b32_e32 v42, 27, v3
	v_add_co_u32 v5, s18, v5, -1
	s_wait_alu 0xf1ff
	v_cndmask_b32_e64 v9, 0, 1, s18
	v_not_b32_e32 v46, v6
	v_cmp_gt_i32_e64 s18, 0, v6
	v_not_b32_e32 v6, v7
	v_lshlrev_b32_e32 v43, 26, v3
	v_cmp_ne_u32_e32 vcc_lo, 0, v9
	v_ashrrev_i32_e32 v9, 31, v46
	v_lshlrev_b32_e32 v45, 25, v3
	v_ashrrev_i32_e32 v6, 31, v6
	v_mul_lo_u32 v4, 0x84, v3
	s_wait_alu 0xfffd
	v_xor_b32_e32 v5, vcc_lo, v5
	v_cmp_gt_i32_e32 vcc_lo, 0, v7
	v_not_b32_e32 v7, v8
	s_wait_alu 0xf1ff
	v_xor_b32_e32 v9, s18, v9
	v_cmp_gt_i32_e64 s18, 0, v8
	v_and_b32_e32 v5, exec_lo, v5
	v_not_b32_e32 v8, v42
	v_ashrrev_i32_e32 v7, 31, v7
	s_wait_alu 0xfffd
	v_xor_b32_e32 v6, vcc_lo, v6
	v_cmp_gt_i32_e32 vcc_lo, 0, v42
	v_and_b32_e32 v5, v5, v9
	v_not_b32_e32 v9, v43
	v_ashrrev_i32_e32 v8, 31, v8
	s_wait_alu 0xf1ff
	v_xor_b32_e32 v7, s18, v7
	v_lshlrev_b32_e32 v3, 24, v3
	v_and_b32_e32 v5, v5, v6
	v_cmp_gt_i32_e64 s18, 0, v43
	v_not_b32_e32 v6, v45
	v_ashrrev_i32_e32 v9, 31, v9
	s_wait_alu 0xfffd
	v_xor_b32_e32 v8, vcc_lo, v8
	v_and_b32_e32 v5, v5, v7
	v_cmp_gt_i32_e32 vcc_lo, 0, v45
	v_not_b32_e32 v7, v3
	v_ashrrev_i32_e32 v6, 31, v6
	s_wait_alu 0xf1ff
	v_xor_b32_e32 v9, s18, v9
	v_and_b32_e32 v5, v5, v8
	v_cmp_gt_i32_e64 s18, 0, v3
	v_ashrrev_i32_e32 v3, 31, v7
	s_wait_alu 0xfffd
	v_xor_b32_e32 v6, vcc_lo, v6
	v_add_nc_u32_e32 v47, v2, v4
	v_and_b32_e32 v5, v5, v9
	s_wait_alu 0xf1ff
	v_xor_b32_e32 v3, s18, v3
	ds_load_b32 v42, v47 offset:128
	v_and_b32_e32 v4, v5, v6
	; wave barrier
	s_delay_alu instid0(VALU_DEP_1) | instskip(NEXT) | instid1(VALU_DEP_1)
	v_and_b32_e32 v3, v4, v3
	v_mbcnt_lo_u32_b32 v43, v3, 0
	v_cmp_ne_u32_e64 s18, 0, v3
	s_delay_alu instid0(VALU_DEP_2)
	v_cmp_eq_u32_e32 vcc_lo, 0, v43
	s_and_b32 s19, s18, vcc_lo
	s_wait_alu 0xfffe
	s_and_saveexec_b32 s18, s19
	s_cbranch_execz .LBB217_45
; %bb.44:
	s_wait_dscnt 0x0
	v_bcnt_u32_b32 v3, v3, v42
	ds_store_b32 v47, v3 offset:128
.LBB217_45:
	s_wait_alu 0xfffe
	s_or_b32 exec_lo, exec_lo, s18
	v_lshrrev_b32_e32 v3, s40, v18
	; wave barrier
	s_delay_alu instid0(VALU_DEP_1) | instskip(NEXT) | instid1(VALU_DEP_1)
	v_and_b32_e32 v3, s47, v3
	v_and_b32_e32 v5, 1, v3
	v_lshlrev_b32_e32 v6, 30, v3
	v_lshlrev_b32_e32 v7, 29, v3
	;; [unrolled: 1-line block ×4, first 2 shown]
	v_add_co_u32 v5, s18, v5, -1
	s_wait_alu 0xf1ff
	v_cndmask_b32_e64 v9, 0, 1, s18
	v_not_b32_e32 v49, v6
	v_cmp_gt_i32_e64 s18, 0, v6
	v_not_b32_e32 v6, v7
	v_lshlrev_b32_e32 v46, 26, v3
	v_cmp_ne_u32_e32 vcc_lo, 0, v9
	v_ashrrev_i32_e32 v9, 31, v49
	v_lshlrev_b32_e32 v48, 25, v3
	v_ashrrev_i32_e32 v6, 31, v6
	v_mul_lo_u32 v4, 0x84, v3
	s_wait_alu 0xfffd
	v_xor_b32_e32 v5, vcc_lo, v5
	v_cmp_gt_i32_e32 vcc_lo, 0, v7
	v_not_b32_e32 v7, v8
	s_wait_alu 0xf1ff
	v_xor_b32_e32 v9, s18, v9
	v_cmp_gt_i32_e64 s18, 0, v8
	v_and_b32_e32 v5, exec_lo, v5
	v_not_b32_e32 v8, v45
	v_ashrrev_i32_e32 v7, 31, v7
	s_wait_alu 0xfffd
	v_xor_b32_e32 v6, vcc_lo, v6
	v_cmp_gt_i32_e32 vcc_lo, 0, v45
	v_and_b32_e32 v5, v5, v9
	v_not_b32_e32 v9, v46
	v_ashrrev_i32_e32 v8, 31, v8
	s_wait_alu 0xf1ff
	v_xor_b32_e32 v7, s18, v7
	v_lshlrev_b32_e32 v3, 24, v3
	v_and_b32_e32 v5, v5, v6
	v_cmp_gt_i32_e64 s18, 0, v46
	v_not_b32_e32 v6, v48
	v_ashrrev_i32_e32 v9, 31, v9
	s_wait_alu 0xfffd
	v_xor_b32_e32 v8, vcc_lo, v8
	v_and_b32_e32 v5, v5, v7
	v_cmp_gt_i32_e32 vcc_lo, 0, v48
	v_not_b32_e32 v7, v3
	v_ashrrev_i32_e32 v6, 31, v6
	s_wait_alu 0xf1ff
	v_xor_b32_e32 v9, s18, v9
	v_and_b32_e32 v5, v5, v8
	v_cmp_gt_i32_e64 s18, 0, v3
	v_ashrrev_i32_e32 v3, 31, v7
	s_wait_alu 0xfffd
	v_xor_b32_e32 v6, vcc_lo, v6
	v_add_nc_u32_e32 v50, v2, v4
	v_and_b32_e32 v5, v5, v9
	s_wait_alu 0xf1ff
	v_xor_b32_e32 v3, s18, v3
	ds_load_b32 v45, v50 offset:128
	v_and_b32_e32 v4, v5, v6
	; wave barrier
	s_delay_alu instid0(VALU_DEP_1) | instskip(NEXT) | instid1(VALU_DEP_1)
	v_and_b32_e32 v3, v4, v3
	v_mbcnt_lo_u32_b32 v46, v3, 0
	v_cmp_ne_u32_e64 s18, 0, v3
	s_delay_alu instid0(VALU_DEP_2)
	v_cmp_eq_u32_e32 vcc_lo, 0, v46
	s_and_b32 s19, s18, vcc_lo
	s_wait_alu 0xfffe
	s_and_saveexec_b32 s18, s19
	s_cbranch_execz .LBB217_47
; %bb.46:
	s_wait_dscnt 0x0
	v_bcnt_u32_b32 v3, v3, v45
	ds_store_b32 v50, v3 offset:128
.LBB217_47:
	s_wait_alu 0xfffe
	s_or_b32 exec_lo, exec_lo, s18
	v_lshrrev_b32_e32 v3, s40, v17
	; wave barrier
	s_delay_alu instid0(VALU_DEP_1) | instskip(NEXT) | instid1(VALU_DEP_1)
	v_and_b32_e32 v3, s47, v3
	v_and_b32_e32 v5, 1, v3
	v_lshlrev_b32_e32 v6, 30, v3
	v_lshlrev_b32_e32 v7, 29, v3
	;; [unrolled: 1-line block ×4, first 2 shown]
	v_add_co_u32 v5, s18, v5, -1
	s_wait_alu 0xf1ff
	v_cndmask_b32_e64 v9, 0, 1, s18
	v_not_b32_e32 v52, v6
	v_cmp_gt_i32_e64 s18, 0, v6
	v_not_b32_e32 v6, v7
	v_lshlrev_b32_e32 v49, 26, v3
	v_cmp_ne_u32_e32 vcc_lo, 0, v9
	v_ashrrev_i32_e32 v9, 31, v52
	v_lshlrev_b32_e32 v51, 25, v3
	v_ashrrev_i32_e32 v6, 31, v6
	v_mul_lo_u32 v4, 0x84, v3
	s_wait_alu 0xfffd
	v_xor_b32_e32 v5, vcc_lo, v5
	v_cmp_gt_i32_e32 vcc_lo, 0, v7
	v_not_b32_e32 v7, v8
	s_wait_alu 0xf1ff
	v_xor_b32_e32 v9, s18, v9
	v_cmp_gt_i32_e64 s18, 0, v8
	v_and_b32_e32 v5, exec_lo, v5
	v_not_b32_e32 v8, v48
	v_ashrrev_i32_e32 v7, 31, v7
	s_wait_alu 0xfffd
	v_xor_b32_e32 v6, vcc_lo, v6
	v_cmp_gt_i32_e32 vcc_lo, 0, v48
	v_and_b32_e32 v5, v5, v9
	v_not_b32_e32 v9, v49
	v_ashrrev_i32_e32 v8, 31, v8
	s_wait_alu 0xf1ff
	v_xor_b32_e32 v7, s18, v7
	v_lshlrev_b32_e32 v3, 24, v3
	v_and_b32_e32 v5, v5, v6
	v_cmp_gt_i32_e64 s18, 0, v49
	v_not_b32_e32 v6, v51
	v_ashrrev_i32_e32 v9, 31, v9
	s_wait_alu 0xfffd
	v_xor_b32_e32 v8, vcc_lo, v8
	v_and_b32_e32 v5, v5, v7
	v_cmp_gt_i32_e32 vcc_lo, 0, v51
	v_not_b32_e32 v7, v3
	v_ashrrev_i32_e32 v6, 31, v6
	s_wait_alu 0xf1ff
	v_xor_b32_e32 v9, s18, v9
	v_and_b32_e32 v5, v5, v8
	v_cmp_gt_i32_e64 s18, 0, v3
	v_ashrrev_i32_e32 v3, 31, v7
	s_wait_alu 0xfffd
	v_xor_b32_e32 v6, vcc_lo, v6
	v_add_nc_u32_e32 v54, v2, v4
	v_and_b32_e32 v5, v5, v9
	s_wait_alu 0xf1ff
	v_xor_b32_e32 v3, s18, v3
	ds_load_b32 v48, v54 offset:128
	v_and_b32_e32 v4, v5, v6
	; wave barrier
	s_delay_alu instid0(VALU_DEP_1) | instskip(NEXT) | instid1(VALU_DEP_1)
	v_and_b32_e32 v3, v4, v3
	v_mbcnt_lo_u32_b32 v49, v3, 0
	v_cmp_ne_u32_e64 s18, 0, v3
	s_delay_alu instid0(VALU_DEP_2)
	v_cmp_eq_u32_e32 vcc_lo, 0, v49
	s_and_b32 s19, s18, vcc_lo
	s_wait_alu 0xfffe
	s_and_saveexec_b32 s18, s19
	s_cbranch_execz .LBB217_49
; %bb.48:
	s_wait_dscnt 0x0
	v_bcnt_u32_b32 v3, v3, v48
	ds_store_b32 v54, v3 offset:128
.LBB217_49:
	s_wait_alu 0xfffe
	s_or_b32 exec_lo, exec_lo, s18
	v_lshrrev_b32_e32 v3, s40, v20
	; wave barrier
	s_delay_alu instid0(VALU_DEP_1) | instskip(NEXT) | instid1(VALU_DEP_1)
	v_and_b32_e32 v3, s47, v3
	v_and_b32_e32 v5, 1, v3
	v_lshlrev_b32_e32 v6, 30, v3
	v_lshlrev_b32_e32 v7, 29, v3
	;; [unrolled: 1-line block ×4, first 2 shown]
	v_add_co_u32 v5, s18, v5, -1
	s_wait_alu 0xf1ff
	v_cndmask_b32_e64 v9, 0, 1, s18
	v_not_b32_e32 v55, v6
	v_cmp_gt_i32_e64 s18, 0, v6
	v_not_b32_e32 v6, v7
	v_lshlrev_b32_e32 v52, 26, v3
	v_cmp_ne_u32_e32 vcc_lo, 0, v9
	v_ashrrev_i32_e32 v9, 31, v55
	v_lshlrev_b32_e32 v53, 25, v3
	v_ashrrev_i32_e32 v6, 31, v6
	v_mul_lo_u32 v4, 0x84, v3
	s_wait_alu 0xfffd
	v_xor_b32_e32 v5, vcc_lo, v5
	v_cmp_gt_i32_e32 vcc_lo, 0, v7
	v_not_b32_e32 v7, v8
	s_wait_alu 0xf1ff
	v_xor_b32_e32 v9, s18, v9
	v_cmp_gt_i32_e64 s18, 0, v8
	v_and_b32_e32 v5, exec_lo, v5
	v_not_b32_e32 v8, v51
	v_ashrrev_i32_e32 v7, 31, v7
	s_wait_alu 0xfffd
	v_xor_b32_e32 v6, vcc_lo, v6
	v_cmp_gt_i32_e32 vcc_lo, 0, v51
	v_and_b32_e32 v5, v5, v9
	v_not_b32_e32 v9, v52
	v_ashrrev_i32_e32 v8, 31, v8
	s_wait_alu 0xf1ff
	v_xor_b32_e32 v7, s18, v7
	v_lshlrev_b32_e32 v3, 24, v3
	v_and_b32_e32 v5, v5, v6
	v_cmp_gt_i32_e64 s18, 0, v52
	v_not_b32_e32 v6, v53
	v_ashrrev_i32_e32 v9, 31, v9
	s_wait_alu 0xfffd
	v_xor_b32_e32 v8, vcc_lo, v8
	v_and_b32_e32 v5, v5, v7
	v_cmp_gt_i32_e32 vcc_lo, 0, v53
	v_not_b32_e32 v7, v3
	v_ashrrev_i32_e32 v6, 31, v6
	s_wait_alu 0xf1ff
	v_xor_b32_e32 v9, s18, v9
	v_and_b32_e32 v5, v5, v8
	v_cmp_gt_i32_e64 s18, 0, v3
	v_ashrrev_i32_e32 v3, 31, v7
	s_wait_alu 0xfffd
	v_xor_b32_e32 v6, vcc_lo, v6
	v_add_nc_u32_e32 v57, v2, v4
	v_and_b32_e32 v5, v5, v9
	s_wait_alu 0xf1ff
	v_xor_b32_e32 v3, s18, v3
	ds_load_b32 v52, v57 offset:128
	v_and_b32_e32 v4, v5, v6
	; wave barrier
	s_delay_alu instid0(VALU_DEP_1) | instskip(NEXT) | instid1(VALU_DEP_1)
	v_and_b32_e32 v3, v4, v3
	v_mbcnt_lo_u32_b32 v53, v3, 0
	v_cmp_ne_u32_e64 s18, 0, v3
	s_delay_alu instid0(VALU_DEP_2)
	v_cmp_eq_u32_e32 vcc_lo, 0, v53
	s_and_b32 s19, s18, vcc_lo
	s_wait_alu 0xfffe
	s_and_saveexec_b32 s18, s19
	s_cbranch_execz .LBB217_51
; %bb.50:
	s_wait_dscnt 0x0
	v_bcnt_u32_b32 v3, v3, v52
	ds_store_b32 v57, v3 offset:128
.LBB217_51:
	s_wait_alu 0xfffe
	s_or_b32 exec_lo, exec_lo, s18
	v_lshrrev_b32_e32 v3, s40, v19
	; wave barrier
	s_delay_alu instid0(VALU_DEP_1) | instskip(NEXT) | instid1(VALU_DEP_1)
	v_and_b32_e32 v3, s47, v3
	v_and_b32_e32 v5, 1, v3
	v_lshlrev_b32_e32 v6, 30, v3
	v_lshlrev_b32_e32 v7, 29, v3
	;; [unrolled: 1-line block ×4, first 2 shown]
	v_add_co_u32 v5, s18, v5, -1
	s_wait_alu 0xf1ff
	v_cndmask_b32_e64 v9, 0, 1, s18
	v_not_b32_e32 v58, v6
	v_cmp_gt_i32_e64 s18, 0, v6
	v_not_b32_e32 v6, v7
	v_lshlrev_b32_e32 v55, 26, v3
	v_cmp_ne_u32_e32 vcc_lo, 0, v9
	v_ashrrev_i32_e32 v9, 31, v58
	v_lshlrev_b32_e32 v56, 25, v3
	v_ashrrev_i32_e32 v6, 31, v6
	v_mul_lo_u32 v4, 0x84, v3
	s_wait_alu 0xfffd
	v_xor_b32_e32 v5, vcc_lo, v5
	v_cmp_gt_i32_e32 vcc_lo, 0, v7
	v_not_b32_e32 v7, v8
	s_wait_alu 0xf1ff
	v_xor_b32_e32 v9, s18, v9
	v_cmp_gt_i32_e64 s18, 0, v8
	v_and_b32_e32 v5, exec_lo, v5
	v_not_b32_e32 v8, v51
	v_ashrrev_i32_e32 v7, 31, v7
	s_wait_alu 0xfffd
	v_xor_b32_e32 v6, vcc_lo, v6
	v_cmp_gt_i32_e32 vcc_lo, 0, v51
	v_and_b32_e32 v5, v5, v9
	v_not_b32_e32 v9, v55
	v_ashrrev_i32_e32 v8, 31, v8
	s_wait_alu 0xf1ff
	v_xor_b32_e32 v7, s18, v7
	v_lshlrev_b32_e32 v3, 24, v3
	v_and_b32_e32 v5, v5, v6
	v_cmp_gt_i32_e64 s18, 0, v55
	v_not_b32_e32 v6, v56
	v_ashrrev_i32_e32 v9, 31, v9
	s_wait_alu 0xfffd
	v_xor_b32_e32 v8, vcc_lo, v8
	v_and_b32_e32 v5, v5, v7
	v_cmp_gt_i32_e32 vcc_lo, 0, v56
	v_not_b32_e32 v7, v3
	v_ashrrev_i32_e32 v6, 31, v6
	s_wait_alu 0xf1ff
	v_xor_b32_e32 v9, s18, v9
	v_and_b32_e32 v5, v5, v8
	v_cmp_gt_i32_e64 s18, 0, v3
	v_ashrrev_i32_e32 v3, 31, v7
	s_wait_alu 0xfffd
	v_xor_b32_e32 v6, vcc_lo, v6
	v_add_nc_u32_e32 v60, v2, v4
	v_and_b32_e32 v5, v5, v9
	s_wait_alu 0xf1ff
	v_xor_b32_e32 v3, s18, v3
	ds_load_b32 v55, v60 offset:128
	v_and_b32_e32 v4, v5, v6
	; wave barrier
	s_delay_alu instid0(VALU_DEP_1) | instskip(NEXT) | instid1(VALU_DEP_1)
	v_and_b32_e32 v3, v4, v3
	v_mbcnt_lo_u32_b32 v56, v3, 0
	v_cmp_ne_u32_e64 s18, 0, v3
	s_delay_alu instid0(VALU_DEP_2)
	v_cmp_eq_u32_e32 vcc_lo, 0, v56
	s_and_b32 s19, s18, vcc_lo
	s_wait_alu 0xfffe
	s_and_saveexec_b32 s18, s19
	s_cbranch_execz .LBB217_53
; %bb.52:
	s_wait_dscnt 0x0
	v_bcnt_u32_b32 v3, v3, v55
	ds_store_b32 v60, v3 offset:128
.LBB217_53:
	s_wait_alu 0xfffe
	s_or_b32 exec_lo, exec_lo, s18
	v_lshrrev_b32_e32 v3, s40, v22
	; wave barrier
	s_delay_alu instid0(VALU_DEP_1) | instskip(NEXT) | instid1(VALU_DEP_1)
	v_and_b32_e32 v3, s47, v3
	v_and_b32_e32 v5, 1, v3
	v_lshlrev_b32_e32 v6, 30, v3
	v_lshlrev_b32_e32 v7, 29, v3
	v_lshlrev_b32_e32 v8, 28, v3
	v_lshlrev_b32_e32 v51, 27, v3
	v_add_co_u32 v5, s18, v5, -1
	s_wait_alu 0xf1ff
	v_cndmask_b32_e64 v9, 0, 1, s18
	v_not_b32_e32 v61, v6
	v_cmp_gt_i32_e64 s18, 0, v6
	v_not_b32_e32 v6, v7
	v_lshlrev_b32_e32 v58, 26, v3
	v_cmp_ne_u32_e32 vcc_lo, 0, v9
	v_ashrrev_i32_e32 v9, 31, v61
	v_lshlrev_b32_e32 v59, 25, v3
	v_ashrrev_i32_e32 v6, 31, v6
	v_mul_lo_u32 v4, 0x84, v3
	s_wait_alu 0xfffd
	v_xor_b32_e32 v5, vcc_lo, v5
	v_cmp_gt_i32_e32 vcc_lo, 0, v7
	v_not_b32_e32 v7, v8
	s_wait_alu 0xf1ff
	v_xor_b32_e32 v9, s18, v9
	v_cmp_gt_i32_e64 s18, 0, v8
	v_and_b32_e32 v5, exec_lo, v5
	v_not_b32_e32 v8, v51
	v_ashrrev_i32_e32 v7, 31, v7
	s_wait_alu 0xfffd
	v_xor_b32_e32 v6, vcc_lo, v6
	v_cmp_gt_i32_e32 vcc_lo, 0, v51
	v_and_b32_e32 v5, v5, v9
	v_not_b32_e32 v9, v58
	v_ashrrev_i32_e32 v8, 31, v8
	s_wait_alu 0xf1ff
	v_xor_b32_e32 v7, s18, v7
	v_lshlrev_b32_e32 v3, 24, v3
	v_and_b32_e32 v5, v5, v6
	v_cmp_gt_i32_e64 s18, 0, v58
	v_not_b32_e32 v6, v59
	v_ashrrev_i32_e32 v9, 31, v9
	s_wait_alu 0xfffd
	v_xor_b32_e32 v8, vcc_lo, v8
	v_and_b32_e32 v5, v5, v7
	v_cmp_gt_i32_e32 vcc_lo, 0, v59
	v_not_b32_e32 v7, v3
	v_ashrrev_i32_e32 v6, 31, v6
	s_wait_alu 0xf1ff
	v_xor_b32_e32 v9, s18, v9
	v_and_b32_e32 v5, v5, v8
	v_cmp_gt_i32_e64 s18, 0, v3
	v_ashrrev_i32_e32 v3, 31, v7
	s_wait_alu 0xfffd
	v_xor_b32_e32 v6, vcc_lo, v6
	v_add_nc_u32_e32 v63, v2, v4
	v_and_b32_e32 v5, v5, v9
	s_wait_alu 0xf1ff
	v_xor_b32_e32 v3, s18, v3
	ds_load_b32 v58, v63 offset:128
	v_and_b32_e32 v4, v5, v6
	; wave barrier
	s_delay_alu instid0(VALU_DEP_1) | instskip(NEXT) | instid1(VALU_DEP_1)
	v_and_b32_e32 v3, v4, v3
	v_mbcnt_lo_u32_b32 v59, v3, 0
	v_cmp_ne_u32_e64 s18, 0, v3
	s_delay_alu instid0(VALU_DEP_2)
	v_cmp_eq_u32_e32 vcc_lo, 0, v59
	s_and_b32 s19, s18, vcc_lo
	s_wait_alu 0xfffe
	s_and_saveexec_b32 s18, s19
	s_cbranch_execz .LBB217_55
; %bb.54:
	s_wait_dscnt 0x0
	v_bcnt_u32_b32 v3, v3, v58
	ds_store_b32 v63, v3 offset:128
.LBB217_55:
	s_wait_alu 0xfffe
	s_or_b32 exec_lo, exec_lo, s18
	v_lshrrev_b32_e32 v3, s40, v21
	; wave barrier
	s_delay_alu instid0(VALU_DEP_1) | instskip(NEXT) | instid1(VALU_DEP_1)
	v_and_b32_e32 v3, s47, v3
	v_and_b32_e32 v5, 1, v3
	v_lshlrev_b32_e32 v6, 30, v3
	v_lshlrev_b32_e32 v7, 29, v3
	;; [unrolled: 1-line block ×4, first 2 shown]
	v_add_co_u32 v5, s18, v5, -1
	s_wait_alu 0xf1ff
	v_cndmask_b32_e64 v9, 0, 1, s18
	v_not_b32_e32 v64, v6
	v_cmp_gt_i32_e64 s18, 0, v6
	v_not_b32_e32 v6, v7
	v_lshlrev_b32_e32 v61, 26, v3
	v_cmp_ne_u32_e32 vcc_lo, 0, v9
	v_ashrrev_i32_e32 v9, 31, v64
	v_lshlrev_b32_e32 v62, 25, v3
	v_ashrrev_i32_e32 v6, 31, v6
	v_mul_lo_u32 v4, 0x84, v3
	s_wait_alu 0xfffd
	v_xor_b32_e32 v5, vcc_lo, v5
	v_cmp_gt_i32_e32 vcc_lo, 0, v7
	v_not_b32_e32 v7, v8
	s_wait_alu 0xf1ff
	v_xor_b32_e32 v9, s18, v9
	v_cmp_gt_i32_e64 s18, 0, v8
	v_and_b32_e32 v5, exec_lo, v5
	v_not_b32_e32 v8, v51
	v_ashrrev_i32_e32 v7, 31, v7
	s_wait_alu 0xfffd
	v_xor_b32_e32 v6, vcc_lo, v6
	v_cmp_gt_i32_e32 vcc_lo, 0, v51
	v_and_b32_e32 v5, v5, v9
	v_not_b32_e32 v9, v61
	v_ashrrev_i32_e32 v8, 31, v8
	s_wait_alu 0xf1ff
	v_xor_b32_e32 v7, s18, v7
	v_lshlrev_b32_e32 v3, 24, v3
	v_and_b32_e32 v5, v5, v6
	v_cmp_gt_i32_e64 s18, 0, v61
	v_not_b32_e32 v6, v62
	v_ashrrev_i32_e32 v9, 31, v9
	s_wait_alu 0xfffd
	v_xor_b32_e32 v8, vcc_lo, v8
	v_and_b32_e32 v5, v5, v7
	v_cmp_gt_i32_e32 vcc_lo, 0, v62
	v_not_b32_e32 v7, v3
	v_ashrrev_i32_e32 v6, 31, v6
	s_wait_alu 0xf1ff
	v_xor_b32_e32 v9, s18, v9
	v_and_b32_e32 v5, v5, v8
	v_cmp_gt_i32_e64 s18, 0, v3
	v_ashrrev_i32_e32 v3, 31, v7
	s_wait_alu 0xfffd
	v_xor_b32_e32 v6, vcc_lo, v6
	v_add_nc_u32_e32 v66, v2, v4
	v_and_b32_e32 v5, v5, v9
	s_wait_alu 0xf1ff
	v_xor_b32_e32 v3, s18, v3
	ds_load_b32 v61, v66 offset:128
	v_and_b32_e32 v4, v5, v6
	; wave barrier
	s_delay_alu instid0(VALU_DEP_1) | instskip(NEXT) | instid1(VALU_DEP_1)
	v_and_b32_e32 v3, v4, v3
	v_mbcnt_lo_u32_b32 v62, v3, 0
	v_cmp_ne_u32_e64 s18, 0, v3
	s_delay_alu instid0(VALU_DEP_2)
	v_cmp_eq_u32_e32 vcc_lo, 0, v62
	s_and_b32 s19, s18, vcc_lo
	s_wait_alu 0xfffe
	s_and_saveexec_b32 s18, s19
	s_cbranch_execz .LBB217_57
; %bb.56:
	s_wait_dscnt 0x0
	v_bcnt_u32_b32 v3, v3, v61
	ds_store_b32 v66, v3 offset:128
.LBB217_57:
	s_wait_alu 0xfffe
	s_or_b32 exec_lo, exec_lo, s18
	v_lshrrev_b32_e32 v3, s40, v24
	; wave barrier
	s_delay_alu instid0(VALU_DEP_1) | instskip(NEXT) | instid1(VALU_DEP_1)
	v_and_b32_e32 v3, s47, v3
	v_and_b32_e32 v5, 1, v3
	v_lshlrev_b32_e32 v6, 30, v3
	v_lshlrev_b32_e32 v7, 29, v3
	;; [unrolled: 1-line block ×4, first 2 shown]
	v_add_co_u32 v5, s18, v5, -1
	s_wait_alu 0xf1ff
	v_cndmask_b32_e64 v9, 0, 1, s18
	v_not_b32_e32 v67, v6
	v_cmp_gt_i32_e64 s18, 0, v6
	v_not_b32_e32 v6, v7
	v_lshlrev_b32_e32 v64, 26, v3
	v_cmp_ne_u32_e32 vcc_lo, 0, v9
	v_ashrrev_i32_e32 v9, 31, v67
	v_lshlrev_b32_e32 v65, 25, v3
	v_ashrrev_i32_e32 v6, 31, v6
	v_mul_lo_u32 v4, 0x84, v3
	s_wait_alu 0xfffd
	v_xor_b32_e32 v5, vcc_lo, v5
	v_cmp_gt_i32_e32 vcc_lo, 0, v7
	v_not_b32_e32 v7, v8
	s_wait_alu 0xf1ff
	v_xor_b32_e32 v9, s18, v9
	v_cmp_gt_i32_e64 s18, 0, v8
	v_and_b32_e32 v5, exec_lo, v5
	v_not_b32_e32 v8, v51
	v_ashrrev_i32_e32 v7, 31, v7
	s_wait_alu 0xfffd
	v_xor_b32_e32 v6, vcc_lo, v6
	v_cmp_gt_i32_e32 vcc_lo, 0, v51
	v_and_b32_e32 v5, v5, v9
	v_not_b32_e32 v9, v64
	v_ashrrev_i32_e32 v8, 31, v8
	s_wait_alu 0xf1ff
	v_xor_b32_e32 v7, s18, v7
	v_lshlrev_b32_e32 v3, 24, v3
	v_and_b32_e32 v5, v5, v6
	v_cmp_gt_i32_e64 s18, 0, v64
	v_not_b32_e32 v6, v65
	v_ashrrev_i32_e32 v9, 31, v9
	s_wait_alu 0xfffd
	v_xor_b32_e32 v8, vcc_lo, v8
	v_and_b32_e32 v5, v5, v7
	v_cmp_gt_i32_e32 vcc_lo, 0, v65
	v_not_b32_e32 v7, v3
	v_ashrrev_i32_e32 v6, 31, v6
	s_wait_alu 0xf1ff
	v_xor_b32_e32 v9, s18, v9
	v_and_b32_e32 v5, v5, v8
	v_cmp_gt_i32_e64 s18, 0, v3
	v_ashrrev_i32_e32 v3, 31, v7
	s_wait_alu 0xfffd
	v_xor_b32_e32 v6, vcc_lo, v6
	v_add_nc_u32_e32 v69, v2, v4
	v_and_b32_e32 v5, v5, v9
	s_wait_alu 0xf1ff
	v_xor_b32_e32 v3, s18, v3
	ds_load_b32 v64, v69 offset:128
	v_and_b32_e32 v4, v5, v6
	; wave barrier
	s_delay_alu instid0(VALU_DEP_1) | instskip(NEXT) | instid1(VALU_DEP_1)
	v_and_b32_e32 v3, v4, v3
	v_mbcnt_lo_u32_b32 v65, v3, 0
	v_cmp_ne_u32_e64 s18, 0, v3
	s_delay_alu instid0(VALU_DEP_2)
	v_cmp_eq_u32_e32 vcc_lo, 0, v65
	s_and_b32 s19, s18, vcc_lo
	s_wait_alu 0xfffe
	s_and_saveexec_b32 s18, s19
	s_cbranch_execz .LBB217_59
; %bb.58:
	s_wait_dscnt 0x0
	v_bcnt_u32_b32 v3, v3, v64
	ds_store_b32 v69, v3 offset:128
.LBB217_59:
	s_wait_alu 0xfffe
	s_or_b32 exec_lo, exec_lo, s18
	v_lshrrev_b32_e32 v3, s40, v23
	; wave barrier
	s_delay_alu instid0(VALU_DEP_1) | instskip(NEXT) | instid1(VALU_DEP_1)
	v_and_b32_e32 v3, s47, v3
	v_and_b32_e32 v5, 1, v3
	v_lshlrev_b32_e32 v6, 30, v3
	v_lshlrev_b32_e32 v7, 29, v3
	v_lshlrev_b32_e32 v8, 28, v3
	v_lshlrev_b32_e32 v51, 27, v3
	v_add_co_u32 v5, s18, v5, -1
	s_wait_alu 0xf1ff
	v_cndmask_b32_e64 v9, 0, 1, s18
	v_not_b32_e32 v70, v6
	v_cmp_gt_i32_e64 s18, 0, v6
	v_not_b32_e32 v6, v7
	v_lshlrev_b32_e32 v67, 26, v3
	v_cmp_ne_u32_e32 vcc_lo, 0, v9
	v_ashrrev_i32_e32 v9, 31, v70
	v_lshlrev_b32_e32 v68, 25, v3
	v_ashrrev_i32_e32 v6, 31, v6
	v_mul_lo_u32 v4, 0x84, v3
	s_wait_alu 0xfffd
	v_xor_b32_e32 v5, vcc_lo, v5
	v_cmp_gt_i32_e32 vcc_lo, 0, v7
	v_not_b32_e32 v7, v8
	s_wait_alu 0xf1ff
	v_xor_b32_e32 v9, s18, v9
	v_cmp_gt_i32_e64 s18, 0, v8
	v_and_b32_e32 v5, exec_lo, v5
	v_not_b32_e32 v8, v51
	v_ashrrev_i32_e32 v7, 31, v7
	s_wait_alu 0xfffd
	v_xor_b32_e32 v6, vcc_lo, v6
	v_cmp_gt_i32_e32 vcc_lo, 0, v51
	v_and_b32_e32 v5, v5, v9
	v_not_b32_e32 v9, v67
	v_ashrrev_i32_e32 v8, 31, v8
	s_wait_alu 0xf1ff
	v_xor_b32_e32 v7, s18, v7
	v_lshlrev_b32_e32 v3, 24, v3
	v_and_b32_e32 v5, v5, v6
	v_cmp_gt_i32_e64 s18, 0, v67
	v_not_b32_e32 v6, v68
	v_ashrrev_i32_e32 v9, 31, v9
	s_wait_alu 0xfffd
	v_xor_b32_e32 v8, vcc_lo, v8
	v_and_b32_e32 v5, v5, v7
	v_cmp_gt_i32_e32 vcc_lo, 0, v68
	v_not_b32_e32 v7, v3
	v_ashrrev_i32_e32 v6, 31, v6
	s_wait_alu 0xf1ff
	v_xor_b32_e32 v9, s18, v9
	v_and_b32_e32 v5, v5, v8
	v_cmp_gt_i32_e64 s18, 0, v3
	v_ashrrev_i32_e32 v3, 31, v7
	s_wait_alu 0xfffd
	v_xor_b32_e32 v6, vcc_lo, v6
	v_add_nc_u32_e32 v72, v2, v4
	v_and_b32_e32 v5, v5, v9
	s_wait_alu 0xf1ff
	v_xor_b32_e32 v3, s18, v3
	ds_load_b32 v67, v72 offset:128
	v_and_b32_e32 v4, v5, v6
	; wave barrier
	s_delay_alu instid0(VALU_DEP_1) | instskip(NEXT) | instid1(VALU_DEP_1)
	v_and_b32_e32 v3, v4, v3
	v_mbcnt_lo_u32_b32 v68, v3, 0
	v_cmp_ne_u32_e64 s18, 0, v3
	s_delay_alu instid0(VALU_DEP_2)
	v_cmp_eq_u32_e32 vcc_lo, 0, v68
	s_and_b32 s19, s18, vcc_lo
	s_wait_alu 0xfffe
	s_and_saveexec_b32 s18, s19
	s_cbranch_execz .LBB217_61
; %bb.60:
	s_wait_dscnt 0x0
	v_bcnt_u32_b32 v3, v3, v67
	ds_store_b32 v72, v3 offset:128
.LBB217_61:
	s_wait_alu 0xfffe
	s_or_b32 exec_lo, exec_lo, s18
	v_lshrrev_b32_e32 v3, s40, v26
	; wave barrier
	s_delay_alu instid0(VALU_DEP_1) | instskip(NEXT) | instid1(VALU_DEP_1)
	v_and_b32_e32 v3, s47, v3
	v_and_b32_e32 v5, 1, v3
	v_lshlrev_b32_e32 v6, 30, v3
	v_lshlrev_b32_e32 v7, 29, v3
	;; [unrolled: 1-line block ×4, first 2 shown]
	v_add_co_u32 v5, s18, v5, -1
	s_wait_alu 0xf1ff
	v_cndmask_b32_e64 v9, 0, 1, s18
	v_not_b32_e32 v73, v6
	v_cmp_gt_i32_e64 s18, 0, v6
	v_not_b32_e32 v6, v7
	v_lshlrev_b32_e32 v70, 26, v3
	v_cmp_ne_u32_e32 vcc_lo, 0, v9
	v_ashrrev_i32_e32 v9, 31, v73
	v_lshlrev_b32_e32 v71, 25, v3
	v_ashrrev_i32_e32 v6, 31, v6
	v_mul_lo_u32 v4, 0x84, v3
	s_wait_alu 0xfffd
	v_xor_b32_e32 v5, vcc_lo, v5
	v_cmp_gt_i32_e32 vcc_lo, 0, v7
	v_not_b32_e32 v7, v8
	s_wait_alu 0xf1ff
	v_xor_b32_e32 v9, s18, v9
	v_cmp_gt_i32_e64 s18, 0, v8
	v_and_b32_e32 v5, exec_lo, v5
	v_not_b32_e32 v8, v51
	v_ashrrev_i32_e32 v7, 31, v7
	s_wait_alu 0xfffd
	v_xor_b32_e32 v6, vcc_lo, v6
	v_cmp_gt_i32_e32 vcc_lo, 0, v51
	v_and_b32_e32 v5, v5, v9
	v_not_b32_e32 v9, v70
	v_ashrrev_i32_e32 v8, 31, v8
	s_wait_alu 0xf1ff
	v_xor_b32_e32 v7, s18, v7
	v_lshlrev_b32_e32 v3, 24, v3
	v_and_b32_e32 v5, v5, v6
	v_cmp_gt_i32_e64 s18, 0, v70
	v_not_b32_e32 v6, v71
	v_ashrrev_i32_e32 v9, 31, v9
	s_wait_alu 0xfffd
	v_xor_b32_e32 v8, vcc_lo, v8
	v_and_b32_e32 v5, v5, v7
	v_cmp_gt_i32_e32 vcc_lo, 0, v71
	v_not_b32_e32 v7, v3
	v_ashrrev_i32_e32 v6, 31, v6
	s_wait_alu 0xf1ff
	v_xor_b32_e32 v9, s18, v9
	v_and_b32_e32 v5, v5, v8
	v_cmp_gt_i32_e64 s18, 0, v3
	v_ashrrev_i32_e32 v3, 31, v7
	s_wait_alu 0xfffd
	v_xor_b32_e32 v6, vcc_lo, v6
	v_add_nc_u32_e32 v75, v2, v4
	v_and_b32_e32 v5, v5, v9
	s_wait_alu 0xf1ff
	v_xor_b32_e32 v3, s18, v3
	ds_load_b32 v70, v75 offset:128
	v_and_b32_e32 v4, v5, v6
	; wave barrier
	s_delay_alu instid0(VALU_DEP_1) | instskip(NEXT) | instid1(VALU_DEP_1)
	v_and_b32_e32 v3, v4, v3
	v_mbcnt_lo_u32_b32 v71, v3, 0
	v_cmp_ne_u32_e64 s18, 0, v3
	s_delay_alu instid0(VALU_DEP_2)
	v_cmp_eq_u32_e32 vcc_lo, 0, v71
	s_and_b32 s19, s18, vcc_lo
	s_wait_alu 0xfffe
	s_and_saveexec_b32 s18, s19
	s_cbranch_execz .LBB217_63
; %bb.62:
	s_wait_dscnt 0x0
	v_bcnt_u32_b32 v3, v3, v70
	ds_store_b32 v75, v3 offset:128
.LBB217_63:
	s_wait_alu 0xfffe
	s_or_b32 exec_lo, exec_lo, s18
	v_lshrrev_b32_e32 v3, s40, v25
	; wave barrier
	s_delay_alu instid0(VALU_DEP_1) | instskip(NEXT) | instid1(VALU_DEP_1)
	v_and_b32_e32 v3, s47, v3
	v_and_b32_e32 v5, 1, v3
	v_lshlrev_b32_e32 v6, 30, v3
	v_lshlrev_b32_e32 v7, 29, v3
	;; [unrolled: 1-line block ×4, first 2 shown]
	v_add_co_u32 v5, s18, v5, -1
	s_wait_alu 0xf1ff
	v_cndmask_b32_e64 v9, 0, 1, s18
	v_not_b32_e32 v76, v6
	v_cmp_gt_i32_e64 s18, 0, v6
	v_not_b32_e32 v6, v7
	v_lshlrev_b32_e32 v73, 26, v3
	v_cmp_ne_u32_e32 vcc_lo, 0, v9
	v_ashrrev_i32_e32 v9, 31, v76
	v_lshlrev_b32_e32 v74, 25, v3
	v_ashrrev_i32_e32 v6, 31, v6
	v_mul_lo_u32 v4, 0x84, v3
	s_wait_alu 0xfffd
	v_xor_b32_e32 v5, vcc_lo, v5
	v_cmp_gt_i32_e32 vcc_lo, 0, v7
	v_not_b32_e32 v7, v8
	s_wait_alu 0xf1ff
	v_xor_b32_e32 v9, s18, v9
	v_cmp_gt_i32_e64 s18, 0, v8
	v_and_b32_e32 v5, exec_lo, v5
	v_not_b32_e32 v8, v51
	v_ashrrev_i32_e32 v7, 31, v7
	s_wait_alu 0xfffd
	v_xor_b32_e32 v6, vcc_lo, v6
	v_cmp_gt_i32_e32 vcc_lo, 0, v51
	v_and_b32_e32 v5, v5, v9
	v_not_b32_e32 v9, v73
	v_ashrrev_i32_e32 v8, 31, v8
	s_wait_alu 0xf1ff
	v_xor_b32_e32 v7, s18, v7
	v_lshlrev_b32_e32 v3, 24, v3
	v_and_b32_e32 v5, v5, v6
	v_cmp_gt_i32_e64 s18, 0, v73
	v_not_b32_e32 v6, v74
	v_ashrrev_i32_e32 v9, 31, v9
	s_wait_alu 0xfffd
	v_xor_b32_e32 v8, vcc_lo, v8
	v_and_b32_e32 v5, v5, v7
	v_cmp_gt_i32_e32 vcc_lo, 0, v74
	v_not_b32_e32 v7, v3
	v_ashrrev_i32_e32 v6, 31, v6
	s_wait_alu 0xf1ff
	v_xor_b32_e32 v9, s18, v9
	v_and_b32_e32 v5, v5, v8
	v_cmp_gt_i32_e64 s18, 0, v3
	v_ashrrev_i32_e32 v3, 31, v7
	s_wait_alu 0xfffd
	v_xor_b32_e32 v6, vcc_lo, v6
	v_add_nc_u32_e32 v78, v2, v4
	v_and_b32_e32 v5, v5, v9
	s_wait_alu 0xf1ff
	v_xor_b32_e32 v2, s18, v3
	ds_load_b32 v73, v78 offset:128
	v_and_b32_e32 v3, v5, v6
	; wave barrier
	s_delay_alu instid0(VALU_DEP_1) | instskip(NEXT) | instid1(VALU_DEP_1)
	v_and_b32_e32 v2, v3, v2
	v_mbcnt_lo_u32_b32 v74, v2, 0
	v_cmp_ne_u32_e64 s18, 0, v2
	s_delay_alu instid0(VALU_DEP_2)
	v_cmp_eq_u32_e32 vcc_lo, 0, v74
	s_and_b32 s19, s18, vcc_lo
	s_wait_alu 0xfffe
	s_and_saveexec_b32 s18, s19
	s_cbranch_execz .LBB217_65
; %bb.64:
	s_wait_dscnt 0x0
	v_bcnt_u32_b32 v2, v2, v73
	ds_store_b32 v78, v2 offset:128
.LBB217_65:
	s_wait_alu 0xfffe
	s_or_b32 exec_lo, exec_lo, s18
	; wave barrier
	s_wait_loadcnt_dscnt 0x0
	s_barrier_signal -1
	s_barrier_wait -1
	global_inv scope:SCOPE_SE
	ds_load_2addr_b32 v[8:9], v30 offset0:32 offset1:33
	ds_load_2addr_b32 v[6:7], v30 offset0:34 offset1:35
	;; [unrolled: 1-line block ×4, first 2 shown]
	ds_load_b32 v51, v30 offset:160
	v_and_b32_e32 v79, 16, v36
	v_and_b32_e32 v80, 31, v1
	s_mov_b32 s23, exec_lo
	s_delay_alu instid0(VALU_DEP_2) | instskip(SKIP_3) | instid1(VALU_DEP_1)
	v_cmp_eq_u32_e64 s21, 0, v79
	s_wait_dscnt 0x3
	v_add3_u32 v76, v9, v8, v6
	s_wait_dscnt 0x2
	v_add3_u32 v76, v76, v7, v4
	s_wait_dscnt 0x1
	s_delay_alu instid0(VALU_DEP_1) | instskip(SKIP_1) | instid1(VALU_DEP_1)
	v_add3_u32 v76, v76, v5, v2
	s_wait_dscnt 0x0
	v_add3_u32 v51, v76, v3, v51
	v_and_b32_e32 v76, 15, v36
	s_delay_alu instid0(VALU_DEP_2) | instskip(NEXT) | instid1(VALU_DEP_2)
	v_mov_b32_dpp v77, v51 row_shr:1 row_mask:0xf bank_mask:0xf
	v_cmp_eq_u32_e32 vcc_lo, 0, v76
	v_cmp_lt_u32_e64 s18, 1, v76
	v_cmp_lt_u32_e64 s19, 3, v76
	;; [unrolled: 1-line block ×3, first 2 shown]
	s_wait_alu 0xfffd
	v_cndmask_b32_e64 v77, v77, 0, vcc_lo
	s_delay_alu instid0(VALU_DEP_1) | instskip(NEXT) | instid1(VALU_DEP_1)
	v_add_nc_u32_e32 v51, v77, v51
	v_mov_b32_dpp v77, v51 row_shr:2 row_mask:0xf bank_mask:0xf
	s_wait_alu 0xf1ff
	s_delay_alu instid0(VALU_DEP_1) | instskip(NEXT) | instid1(VALU_DEP_1)
	v_cndmask_b32_e64 v77, 0, v77, s18
	v_add_nc_u32_e32 v51, v51, v77
	s_delay_alu instid0(VALU_DEP_1) | instskip(NEXT) | instid1(VALU_DEP_1)
	v_mov_b32_dpp v77, v51 row_shr:4 row_mask:0xf bank_mask:0xf
	v_cndmask_b32_e64 v77, 0, v77, s19
	s_delay_alu instid0(VALU_DEP_1) | instskip(NEXT) | instid1(VALU_DEP_1)
	v_add_nc_u32_e32 v51, v51, v77
	v_mov_b32_dpp v77, v51 row_shr:8 row_mask:0xf bank_mask:0xf
	s_delay_alu instid0(VALU_DEP_1) | instskip(SKIP_1) | instid1(VALU_DEP_2)
	v_cndmask_b32_e64 v76, 0, v77, s20
	v_bfe_i32 v77, v36, 4, 1
	v_add_nc_u32_e32 v51, v51, v76
	ds_swizzle_b32 v76, v51 offset:swizzle(BROADCAST,32,15)
	s_wait_dscnt 0x0
	v_and_b32_e32 v76, v77, v76
	v_lshrrev_b32_e32 v77, 5, v1
	s_delay_alu instid0(VALU_DEP_2)
	v_add_nc_u32_e32 v76, v51, v76
	v_cmpx_eq_u32_e32 31, v80
; %bb.66:
	s_delay_alu instid0(VALU_DEP_3)
	v_lshlrev_b32_e32 v51, 2, v77
	ds_store_b32 v51, v76
; %bb.67:
	s_or_b32 exec_lo, exec_lo, s23
	v_cmp_lt_u32_e64 s22, 31, v1
	v_lshlrev_b32_e32 v51, 2, v1
	s_mov_b32 s48, exec_lo
	s_wait_loadcnt_dscnt 0x0
	s_barrier_signal -1
	s_barrier_wait -1
	global_inv scope:SCOPE_SE
	v_cmpx_gt_u32_e32 32, v1
	s_cbranch_execz .LBB217_69
; %bb.68:
	ds_load_b32 v79, v51
	s_wait_dscnt 0x0
	v_mov_b32_dpp v80, v79 row_shr:1 row_mask:0xf bank_mask:0xf
	s_delay_alu instid0(VALU_DEP_1) | instskip(NEXT) | instid1(VALU_DEP_1)
	v_cndmask_b32_e64 v80, v80, 0, vcc_lo
	v_add_nc_u32_e32 v79, v80, v79
	s_delay_alu instid0(VALU_DEP_1) | instskip(NEXT) | instid1(VALU_DEP_1)
	v_mov_b32_dpp v80, v79 row_shr:2 row_mask:0xf bank_mask:0xf
	v_cndmask_b32_e64 v80, 0, v80, s18
	s_delay_alu instid0(VALU_DEP_1) | instskip(NEXT) | instid1(VALU_DEP_1)
	v_add_nc_u32_e32 v79, v79, v80
	v_mov_b32_dpp v80, v79 row_shr:4 row_mask:0xf bank_mask:0xf
	s_delay_alu instid0(VALU_DEP_1) | instskip(NEXT) | instid1(VALU_DEP_1)
	v_cndmask_b32_e64 v80, 0, v80, s19
	v_add_nc_u32_e32 v79, v79, v80
	s_delay_alu instid0(VALU_DEP_1) | instskip(NEXT) | instid1(VALU_DEP_1)
	v_mov_b32_dpp v80, v79 row_shr:8 row_mask:0xf bank_mask:0xf
	v_cndmask_b32_e64 v80, 0, v80, s20
	s_delay_alu instid0(VALU_DEP_1) | instskip(SKIP_3) | instid1(VALU_DEP_1)
	v_add_nc_u32_e32 v79, v79, v80
	ds_swizzle_b32 v80, v79 offset:swizzle(BROADCAST,32,15)
	s_wait_dscnt 0x0
	v_cndmask_b32_e64 v80, v80, 0, s21
	v_add_nc_u32_e32 v79, v79, v80
	ds_store_b32 v51, v79
.LBB217_69:
	s_or_b32 exec_lo, exec_lo, s48
	v_mov_b32_e32 v79, 0
	s_wait_loadcnt_dscnt 0x0
	s_barrier_signal -1
	s_barrier_wait -1
	global_inv scope:SCOPE_SE
	s_and_saveexec_b32 s18, s22
; %bb.70:
	v_lshl_add_u32 v77, v77, 2, -4
	ds_load_b32 v79, v77
; %bb.71:
	s_wait_alu 0xfffe
	s_or_b32 exec_lo, exec_lo, s18
	v_sub_co_u32 v77, vcc_lo, v36, 1
	s_wait_dscnt 0x0
	v_add_nc_u32_e32 v76, v79, v76
	s_delay_alu instid0(VALU_DEP_2) | instskip(SKIP_1) | instid1(VALU_DEP_1)
	v_cmp_gt_i32_e64 s18, 0, v77
	s_wait_alu 0xf1ff
	v_cndmask_b32_e64 v77, v77, v36, s18
	v_cmp_lt_u32_e64 s18, 0xff, v1
	s_delay_alu instid0(VALU_DEP_2)
	v_lshlrev_b32_e32 v77, 2, v77
	ds_bpermute_b32 v76, v77, v76
	s_wait_dscnt 0x0
	s_wait_alu 0xfffd
	v_cndmask_b32_e32 v76, v76, v79, vcc_lo
	v_cmp_ne_u32_e32 vcc_lo, 0, v1
	s_wait_alu 0xfffd
	s_delay_alu instid0(VALU_DEP_2) | instskip(SKIP_1) | instid1(VALU_DEP_2)
	v_cndmask_b32_e32 v76, 0, v76, vcc_lo
	v_cmp_gt_u32_e32 vcc_lo, 0x100, v1
	v_add_nc_u32_e32 v8, v76, v8
	s_delay_alu instid0(VALU_DEP_1) | instskip(NEXT) | instid1(VALU_DEP_1)
	v_add_nc_u32_e32 v9, v8, v9
	v_add_nc_u32_e32 v6, v9, v6
	s_delay_alu instid0(VALU_DEP_1) | instskip(NEXT) | instid1(VALU_DEP_1)
	v_add_nc_u32_e32 v7, v6, v7
	;; [unrolled: 3-line block ×3, first 2 shown]
	v_add_nc_u32_e32 v2, v5, v2
	s_delay_alu instid0(VALU_DEP_1)
	v_add_nc_u32_e32 v3, v2, v3
	ds_store_2addr_b32 v30, v76, v8 offset0:32 offset1:33
	ds_store_2addr_b32 v30, v9, v6 offset0:34 offset1:35
	;; [unrolled: 1-line block ×4, first 2 shown]
	ds_store_b32 v30, v3 offset:160
	s_wait_loadcnt_dscnt 0x0
	s_barrier_signal -1
	s_barrier_wait -1
	global_inv scope:SCOPE_SE
	ds_load_b32 v8, v34 offset:128
	ds_load_b32 v9, v38 offset:128
	;; [unrolled: 1-line block ×16, first 2 shown]
                                        ; implicit-def: $vgpr38
                                        ; implicit-def: $vgpr41
	s_and_saveexec_b32 s20, vcc_lo
	s_cbranch_execz .LBB217_75
; %bb.72:
	v_mul_u32_u24_e32 v2, 0x84, v1
	v_add_nc_u32_e32 v3, 1, v1
	s_mov_b32 s21, exec_lo
	ds_load_b32 v38, v2 offset:128
	v_mov_b32_e32 v2, 0x4000
	v_cmpx_ne_u32_e32 0x100, v3
; %bb.73:
	v_mul_u32_u24_e32 v2, 0x84, v3
	ds_load_b32 v2, v2 offset:128
; %bb.74:
	s_wait_alu 0xfffe
	s_or_b32 exec_lo, exec_lo, s21
	s_wait_dscnt 0x0
	v_sub_nc_u32_e32 v41, v2, v38
.LBB217_75:
	s_wait_alu 0xfffe
	s_or_b32 exec_lo, exec_lo, s20
	v_mov_b32_e32 v3, 0
	s_wait_loadcnt_dscnt 0x0
	s_barrier_signal -1
	s_barrier_wait -1
	global_inv scope:SCOPE_SE
	s_and_saveexec_b32 s19, vcc_lo
	s_cbranch_execz .LBB217_85
; %bb.76:
	v_lshl_add_u32 v2, ttmp9, 8, v1
	v_mov_b32_e32 v66, 0
	s_mov_b32 s20, ttmp9
	s_mov_b32 s21, 0
                                        ; implicit-def: $sgpr22
	s_delay_alu instid0(VALU_DEP_2) | instskip(SKIP_1) | instid1(VALU_DEP_2)
	v_lshlrev_b64_e32 v[4:5], 2, v[2:3]
	v_or_b32_e32 v2, 2.0, v41
	v_add_co_u32 v4, vcc_lo, s34, v4
	s_wait_alu 0xfffd
	s_delay_alu instid0(VALU_DEP_3)
	v_add_co_ci_u32_e64 v5, null, s35, v5, vcc_lo
	global_store_b32 v[4:5], v2, off scope:SCOPE_DEV
	s_branch .LBB217_79
.LBB217_77:                             ;   in Loop: Header=BB217_79 Depth=1
	s_or_b32 exec_lo, exec_lo, s23
.LBB217_78:                             ;   in Loop: Header=BB217_79 Depth=1
	s_delay_alu instid0(SALU_CYCLE_1) | instskip(SKIP_2) | instid1(VALU_DEP_2)
	s_or_b32 exec_lo, exec_lo, s22
	v_and_b32_e32 v6, 0x3fffffff, v2
	v_cmp_gt_i32_e64 s22, -2.0, v2
	v_add_nc_u32_e32 v66, v6, v66
	s_and_b32 s23, exec_lo, s22
	s_delay_alu instid0(SALU_CYCLE_1)
	s_or_b32 s21, s23, s21
	s_wait_alu 0xfffe
	s_and_not1_b32 exec_lo, exec_lo, s21
	s_cbranch_execz .LBB217_84
.LBB217_79:                             ; =>This Loop Header: Depth=1
                                        ;     Child Loop BB217_82 Depth 2
	s_or_b32 s22, s22, exec_lo
	s_wait_alu 0xfffe
	s_cmp_eq_u32 s20, 0
	s_cbranch_scc1 .LBB217_83
; %bb.80:                               ;   in Loop: Header=BB217_79 Depth=1
	s_add_co_i32 s20, s20, -1
	s_mov_b32 s22, exec_lo
	s_wait_alu 0xfffe
	v_lshl_or_b32 v2, s20, 8, v1
	s_delay_alu instid0(VALU_DEP_1) | instskip(NEXT) | instid1(VALU_DEP_1)
	v_lshlrev_b64_e32 v[6:7], 2, v[2:3]
	v_add_co_u32 v6, vcc_lo, s34, v6
	s_wait_alu 0xfffd
	s_delay_alu instid0(VALU_DEP_2)
	v_add_co_ci_u32_e64 v7, null, s35, v7, vcc_lo
	global_load_b32 v2, v[6:7], off scope:SCOPE_DEV
	s_wait_loadcnt 0x0
	v_cmpx_gt_u32_e32 2.0, v2
	s_cbranch_execz .LBB217_78
; %bb.81:                               ;   in Loop: Header=BB217_79 Depth=1
	s_mov_b32 s23, 0
.LBB217_82:                             ;   Parent Loop BB217_79 Depth=1
                                        ; =>  This Inner Loop Header: Depth=2
	global_load_b32 v2, v[6:7], off scope:SCOPE_DEV
	s_wait_loadcnt 0x0
	v_cmp_lt_u32_e32 vcc_lo, 0x3fffffff, v2
	s_or_b32 s23, vcc_lo, s23
	s_delay_alu instid0(SALU_CYCLE_1)
	s_and_not1_b32 exec_lo, exec_lo, s23
	s_cbranch_execnz .LBB217_82
	s_branch .LBB217_77
.LBB217_83:                             ;   in Loop: Header=BB217_79 Depth=1
                                        ; implicit-def: $sgpr20
	s_and_b32 s23, exec_lo, s22
	s_delay_alu instid0(SALU_CYCLE_1)
	s_or_b32 s21, s23, s21
	s_wait_alu 0xfffe
	s_and_not1_b32 exec_lo, exec_lo, s21
	s_cbranch_execnz .LBB217_79
.LBB217_84:
	s_or_b32 exec_lo, exec_lo, s21
	v_add_nc_u32_e32 v2, v66, v41
	v_sub_nc_u32_e32 v3, v66, v38
	s_delay_alu instid0(VALU_DEP_2)
	v_or_b32_e32 v2, 0x80000000, v2
	global_store_b32 v[4:5], v2, off scope:SCOPE_DEV
	global_load_b32 v2, v51, s[36:37]
	s_wait_loadcnt 0x0
	v_add_nc_u32_e32 v2, v3, v2
	ds_store_b32 v51, v2
.LBB217_85:
	s_wait_alu 0xfffe
	s_or_b32 exec_lo, exec_lo, s19
	v_dual_mov_b32 v3, 0 :: v_dual_add_nc_u32 v44, v44, v27
	v_add3_u32 v47, v74, v47, v73
	v_add3_u32 v50, v71, v50, v70
	;; [unrolled: 1-line block ×15, first 2 shown]
	v_mov_b32_e32 v4, v1
	s_mov_b32 s19, 32
	s_mov_b32 s22, 0
	s_mov_b32 s21, -1
	s_mov_b32 s20, 0
	s_branch .LBB217_87
.LBB217_86:                             ;   in Loop: Header=BB217_87 Depth=1
	s_or_b32 exec_lo, exec_lo, s23
	v_add_nc_u32_e32 v4, 0x2000, v4
	s_xor_b32 s22, s21, -1
	s_addk_co_i32 s20, 0xe000
	s_mov_b32 s21, 0
	s_and_b32 vcc_lo, exec_lo, s22
	s_mov_b32 s22, s19
	s_wait_loadcnt 0x0
	s_wait_storecnt 0x0
	s_barrier_signal -1
	s_barrier_wait -1
	global_inv scope:SCOPE_SE
	s_wait_alu 0xfffe
	s_cbranch_vccnz .LBB217_103
.LBB217_87:                             ; =>This Inner Loop Header: Depth=1
	s_wait_alu 0xfffe
	v_add_nc_u32_e32 v2, s20, v44
	v_add_nc_u32_e32 v5, s20, v43
	;; [unrolled: 1-line block ×5, first 2 shown]
	v_min_u32_e32 v2, 0x2000, v2
	v_add_nc_u32_e32 v9, s20, v42
	v_min_u32_e32 v5, 0x2000, v5
	v_min_u32_e32 v6, 0x2000, v6
	;; [unrolled: 1-line block ×3, first 2 shown]
	v_lshlrev_b32_e32 v2, 2, v2
	v_min_u32_e32 v8, 0x2000, v8
	v_min_u32_e32 v9, 0x2000, v9
	v_lshlrev_b32_e32 v5, 2, v5
	v_lshlrev_b32_e32 v6, 2, v6
	ds_store_b32 v2, v12 offset:1024
	v_lshlrev_b32_e32 v2, 2, v7
	v_lshlrev_b32_e32 v7, 2, v8
	;; [unrolled: 1-line block ×3, first 2 shown]
	ds_store_b32 v5, v11 offset:1024
	ds_store_b32 v6, v14 offset:1024
	ds_store_b32 v2, v13 offset:1024
	ds_store_b32 v7, v16 offset:1024
	ds_store_b32 v8, v15 offset:1024
	v_add_nc_u32_e32 v2, s20, v45
	v_add_nc_u32_e32 v5, s20, v48
	;; [unrolled: 1-line block ×5, first 2 shown]
	v_min_u32_e32 v2, 0x2000, v2
	v_min_u32_e32 v5, 0x2000, v5
	;; [unrolled: 1-line block ×5, first 2 shown]
	v_lshlrev_b32_e32 v2, 2, v2
	v_lshlrev_b32_e32 v5, 2, v5
	;; [unrolled: 1-line block ×5, first 2 shown]
	ds_store_b32 v2, v18 offset:1024
	ds_store_b32 v5, v17 offset:1024
	;; [unrolled: 1-line block ×5, first 2 shown]
	v_add_nc_u32_e32 v2, s20, v60
	v_add_nc_u32_e32 v5, s20, v57
	;; [unrolled: 1-line block ×5, first 2 shown]
	v_min_u32_e32 v2, 0x2000, v2
	v_min_u32_e32 v5, 0x2000, v5
	;; [unrolled: 1-line block ×5, first 2 shown]
	v_lshlrev_b32_e32 v2, 2, v2
	v_lshlrev_b32_e32 v5, 2, v5
	;; [unrolled: 1-line block ×4, first 2 shown]
	s_mov_b32 s23, exec_lo
	v_lshlrev_b32_e32 v8, 2, v8
	ds_store_b32 v2, v21 offset:1024
	ds_store_b32 v5, v24 offset:1024
	;; [unrolled: 1-line block ×5, first 2 shown]
	s_wait_storecnt 0x0
	s_wait_loadcnt_dscnt 0x0
	s_barrier_signal -1
	s_barrier_wait -1
	global_inv scope:SCOPE_SE
	v_cmpx_gt_u32_e64 s33, v4
	s_cbranch_execz .LBB217_89
; %bb.88:                               ;   in Loop: Header=BB217_87 Depth=1
	ds_load_b32 v7, v51 offset:1024
	s_wait_dscnt 0x0
	v_lshrrev_b32_e32 v2, s40, v7
	s_delay_alu instid0(VALU_DEP_1) | instskip(NEXT) | instid1(VALU_DEP_1)
	v_and_b32_e32 v8, s47, v2
	v_lshlrev_b32_e32 v2, 2, v8
	ds_load_b32 v2, v2
	s_wait_dscnt 0x0
	v_add_nc_u32_e32 v2, v4, v2
	s_delay_alu instid0(VALU_DEP_1) | instskip(NEXT) | instid1(VALU_DEP_1)
	v_lshlrev_b64_e32 v[5:6], 2, v[2:3]
	v_add_co_u32 v5, vcc_lo, s26, v5
	s_wait_alu 0xfffd
	s_delay_alu instid0(VALU_DEP_2)
	v_add_co_ci_u32_e64 v6, null, s27, v6, vcc_lo
	global_store_b32 v[5:6], v7, off
	scratch_store_b32 off, v8, s22
.LBB217_89:                             ;   in Loop: Header=BB217_87 Depth=1
	s_or_b32 exec_lo, exec_lo, s23
	v_add_nc_u32_e32 v2, 0x400, v4
	s_mov_b32 s23, exec_lo
	s_delay_alu instid0(VALU_DEP_1)
	v_cmpx_gt_u32_e64 s33, v2
	s_cbranch_execz .LBB217_91
; %bb.90:                               ;   in Loop: Header=BB217_87 Depth=1
	ds_load_b32 v7, v51 offset:5120
	s_wait_dscnt 0x0
	v_lshrrev_b32_e32 v2, s40, v7
	s_delay_alu instid0(VALU_DEP_1) | instskip(NEXT) | instid1(VALU_DEP_1)
	v_and_b32_e32 v8, s47, v2
	v_lshlrev_b32_e32 v2, 2, v8
	ds_load_b32 v2, v2
	s_wait_dscnt 0x0
	v_add3_u32 v2, v4, v2, 0x400
	s_delay_alu instid0(VALU_DEP_1) | instskip(NEXT) | instid1(VALU_DEP_1)
	v_lshlrev_b64_e32 v[5:6], 2, v[2:3]
	v_add_co_u32 v5, vcc_lo, s26, v5
	s_wait_alu 0xfffd
	s_delay_alu instid0(VALU_DEP_2)
	v_add_co_ci_u32_e64 v6, null, s27, v6, vcc_lo
	global_store_b32 v[5:6], v7, off
	scratch_store_b32 off, v8, s22 offset:4
.LBB217_91:                             ;   in Loop: Header=BB217_87 Depth=1
	s_or_b32 exec_lo, exec_lo, s23
	v_add_nc_u32_e32 v2, 0x800, v4
	s_mov_b32 s23, exec_lo
	s_delay_alu instid0(VALU_DEP_1)
	v_cmpx_gt_u32_e64 s33, v2
	s_cbranch_execz .LBB217_93
; %bb.92:                               ;   in Loop: Header=BB217_87 Depth=1
	ds_load_b32 v7, v51 offset:9216
	s_wait_dscnt 0x0
	v_lshrrev_b32_e32 v2, s40, v7
	s_delay_alu instid0(VALU_DEP_1) | instskip(NEXT) | instid1(VALU_DEP_1)
	v_and_b32_e32 v8, s47, v2
	v_lshlrev_b32_e32 v2, 2, v8
	ds_load_b32 v2, v2
	s_wait_dscnt 0x0
	v_add3_u32 v2, v4, v2, 0x800
	s_delay_alu instid0(VALU_DEP_1) | instskip(NEXT) | instid1(VALU_DEP_1)
	v_lshlrev_b64_e32 v[5:6], 2, v[2:3]
	v_add_co_u32 v5, vcc_lo, s26, v5
	s_wait_alu 0xfffd
	s_delay_alu instid0(VALU_DEP_2)
	v_add_co_ci_u32_e64 v6, null, s27, v6, vcc_lo
	global_store_b32 v[5:6], v7, off
	scratch_store_b32 off, v8, s22 offset:8
.LBB217_93:                             ;   in Loop: Header=BB217_87 Depth=1
	;; [unrolled: 25-line block ×5, first 2 shown]
	s_or_b32 exec_lo, exec_lo, s23
	v_add_nc_u32_e32 v2, 0x1800, v4
	s_mov_b32 s23, exec_lo
	s_delay_alu instid0(VALU_DEP_1)
	v_cmpx_gt_u32_e64 s33, v2
	s_cbranch_execz .LBB217_101
; %bb.100:                              ;   in Loop: Header=BB217_87 Depth=1
	ds_load_b32 v7, v51 offset:25600
	s_wait_dscnt 0x0
	v_lshrrev_b32_e32 v2, s40, v7
	s_delay_alu instid0(VALU_DEP_1) | instskip(NEXT) | instid1(VALU_DEP_1)
	v_and_b32_e32 v8, s47, v2
	v_lshlrev_b32_e32 v2, 2, v8
	ds_load_b32 v2, v2
	s_wait_dscnt 0x0
	v_add3_u32 v2, v4, v2, 0x1800
	s_delay_alu instid0(VALU_DEP_1) | instskip(NEXT) | instid1(VALU_DEP_1)
	v_lshlrev_b64_e32 v[5:6], 2, v[2:3]
	v_add_co_u32 v5, vcc_lo, s26, v5
	s_wait_alu 0xfffd
	s_delay_alu instid0(VALU_DEP_2)
	v_add_co_ci_u32_e64 v6, null, s27, v6, vcc_lo
	global_store_b32 v[5:6], v7, off
	scratch_store_b32 off, v8, s22 offset:24
.LBB217_101:                            ;   in Loop: Header=BB217_87 Depth=1
	s_or_b32 exec_lo, exec_lo, s23
	v_add_nc_u32_e32 v2, 0x1c00, v4
	s_mov_b32 s23, exec_lo
	s_delay_alu instid0(VALU_DEP_1)
	v_cmpx_gt_u32_e64 s33, v2
	s_cbranch_execz .LBB217_86
; %bb.102:                              ;   in Loop: Header=BB217_87 Depth=1
	ds_load_b32 v7, v51 offset:29696
	s_wait_dscnt 0x0
	v_lshrrev_b32_e32 v2, s40, v7
	s_delay_alu instid0(VALU_DEP_1) | instskip(NEXT) | instid1(VALU_DEP_1)
	v_and_b32_e32 v8, s47, v2
	v_lshlrev_b32_e32 v2, 2, v8
	ds_load_b32 v2, v2
	s_wait_dscnt 0x0
	v_add3_u32 v2, v4, v2, 0x1c00
	s_delay_alu instid0(VALU_DEP_1) | instskip(NEXT) | instid1(VALU_DEP_1)
	v_lshlrev_b64_e32 v[5:6], 2, v[2:3]
	v_add_co_u32 v5, vcc_lo, s26, v5
	s_wait_alu 0xfffd
	s_delay_alu instid0(VALU_DEP_2)
	v_add_co_ci_u32_e64 v6, null, s27, v6, vcc_lo
	global_store_b32 v[5:6], v7, off
	scratch_store_b32 off, v8, s22 offset:28
	s_branch .LBB217_86
.LBB217_103:
	v_dual_mov_b32 v3, 0 :: v_dual_lshlrev_b32 v2, 3, v36
	s_lshl_b64 s[20:21], s[42:43], 3
	v_lshlrev_b32_e32 v4, 3, v10
	s_wait_alu 0xfffe
	s_add_nc_u64 s[20:21], s[28:29], s[20:21]
	s_wait_alu 0xfffe
	v_add_co_u32 v2, s19, s20, v2
	s_wait_alu 0xf1ff
	v_add_co_ci_u32_e64 v5, null, s21, 0, s19
	s_delay_alu instid0(VALU_DEP_2) | instskip(SKIP_1) | instid1(VALU_DEP_2)
	v_add_co_u32 v34, vcc_lo, v2, v4
	s_wait_alu 0xfffd
	v_add_co_ci_u32_e64 v35, null, 0, v5, vcc_lo
	v_dual_mov_b32 v5, 0 :: v_dual_mov_b32 v4, 0
	s_and_saveexec_b32 s19, s17
	s_cbranch_execz .LBB217_105
; %bb.104:
	global_load_b64 v[4:5], v[34:35], off
.LBB217_105:
	s_wait_alu 0xfffe
	s_or_b32 exec_lo, exec_lo, s19
	v_mov_b32_e32 v2, 0
	s_and_saveexec_b32 s17, s16
	s_cbranch_execz .LBB217_107
; %bb.106:
	global_load_b64 v[2:3], v[34:35], off offset:256
.LBB217_107:
	s_or_b32 exec_lo, exec_lo, s17
	v_dual_mov_b32 v7, 0 :: v_dual_mov_b32 v8, 0
	v_mov_b32_e32 v9, 0
	s_and_saveexec_b32 s16, s15
	s_cbranch_execz .LBB217_109
; %bb.108:
	global_load_b64 v[8:9], v[34:35], off offset:512
.LBB217_109:
	s_or_b32 exec_lo, exec_lo, s16
	v_mov_b32_e32 v6, 0
	s_and_saveexec_b32 s15, s14
	s_cbranch_execz .LBB217_111
; %bb.110:
	global_load_b64 v[6:7], v[34:35], off offset:768
.LBB217_111:
	s_or_b32 exec_lo, exec_lo, s15
	v_dual_mov_b32 v11, 0 :: v_dual_mov_b32 v12, 0
	v_mov_b32_e32 v13, 0
	s_and_saveexec_b32 s14, s13
	s_cbranch_execz .LBB217_113
; %bb.112:
	global_load_b64 v[12:13], v[34:35], off offset:1024
.LBB217_113:
	;; [unrolled: 15-line block ×7, first 2 shown]
	s_or_b32 exec_lo, exec_lo, s4
	v_mov_b32_e32 v30, 0
	s_and_saveexec_b32 s3, s2
	s_cbranch_execz .LBB217_135
; %bb.134:
	global_load_b64 v[30:31], v[34:35], off offset:3840
.LBB217_135:
	s_wait_alu 0xfffe
	s_or_b32 exec_lo, exec_lo, s3
	v_dual_mov_b32 v35, 0 :: v_dual_lshlrev_b32 v46, 3, v1
	v_mov_b32_e32 v49, v1
	s_or_b32 s2, 0, 8
	s_mov_b32 s3, 0
	s_branch .LBB217_137
.LBB217_136:                            ;   in Loop: Header=BB217_137 Depth=1
	s_or_b32 exec_lo, exec_lo, s4
	v_add_nc_u32_e32 v49, 0x1000, v49
	s_addk_co_i32 s3, 0xf000
	s_add_co_i32 s2, s2, 16
	s_wait_alu 0xfffe
	s_cmp_eq_u32 s3, 0xffffc000
	s_wait_loadcnt 0x0
	s_wait_storecnt 0x0
	s_barrier_signal -1
	s_barrier_wait -1
	global_inv scope:SCOPE_SE
	s_cbranch_scc1 .LBB217_145
.LBB217_137:                            ; =>This Inner Loop Header: Depth=1
	s_wait_alu 0xfffe
	v_add_nc_u32_e32 v34, s3, v44
	v_add_nc_u32_e32 v53, s3, v43
	;; [unrolled: 1-line block ×5, first 2 shown]
	v_min_u32_e32 v34, 0x1000, v34
	v_add_nc_u32_e32 v62, s3, v42
	v_min_u32_e32 v53, 0x1000, v53
	v_min_u32_e32 v56, 0x1000, v56
	;; [unrolled: 1-line block ×3, first 2 shown]
	v_lshlrev_b32_e32 v34, 3, v34
	v_min_u32_e32 v61, 0x1000, v61
	v_min_u32_e32 v62, 0x1000, v62
	v_lshlrev_b32_e32 v53, 3, v53
	v_lshlrev_b32_e32 v56, 3, v56
	s_wait_loadcnt 0x0
	ds_store_b64 v34, v[4:5] offset:1024
	v_lshlrev_b32_e32 v34, 3, v59
	v_lshlrev_b32_e32 v59, 3, v61
	;; [unrolled: 1-line block ×3, first 2 shown]
	ds_store_b64 v53, v[2:3] offset:1024
	ds_store_b64 v56, v[8:9] offset:1024
	;; [unrolled: 1-line block ×5, first 2 shown]
	v_add_nc_u32_e32 v34, s3, v45
	v_add_nc_u32_e32 v53, s3, v48
	;; [unrolled: 1-line block ×5, first 2 shown]
	v_min_u32_e32 v34, 0x1000, v34
	v_min_u32_e32 v53, 0x1000, v53
	v_min_u32_e32 v56, 0x1000, v56
	v_min_u32_e32 v59, 0x1000, v59
	v_min_u32_e32 v61, 0x1000, v61
	v_lshlrev_b32_e32 v34, 3, v34
	v_lshlrev_b32_e32 v53, 3, v53
	;; [unrolled: 1-line block ×5, first 2 shown]
	ds_store_b64 v34, v[16:17] offset:1024
	ds_store_b64 v53, v[14:15] offset:1024
	;; [unrolled: 1-line block ×5, first 2 shown]
	v_add_nc_u32_e32 v34, s3, v60
	v_add_nc_u32_e32 v53, s3, v57
	;; [unrolled: 1-line block ×5, first 2 shown]
	v_min_u32_e32 v34, 0x1000, v34
	v_min_u32_e32 v53, 0x1000, v53
	;; [unrolled: 1-line block ×5, first 2 shown]
	v_lshlrev_b32_e32 v34, 3, v34
	v_lshlrev_b32_e32 v53, 3, v53
	;; [unrolled: 1-line block ×4, first 2 shown]
	s_mov_b32 s4, exec_lo
	v_lshlrev_b32_e32 v61, 3, v61
	ds_store_b64 v34, v[22:23] offset:1024
	ds_store_b64 v53, v[28:29] offset:1024
	;; [unrolled: 1-line block ×5, first 2 shown]
	s_wait_dscnt 0x0
	s_barrier_signal -1
	s_barrier_wait -1
	global_inv scope:SCOPE_SE
	v_cmpx_gt_u32_e64 s33, v49
	s_cbranch_execz .LBB217_139
; %bb.138:                              ;   in Loop: Header=BB217_137 Depth=1
	scratch_load_b32 v34, off, s2 offset:-8
	s_wait_loadcnt 0x0
	v_lshlrev_b32_e32 v34, 2, v34
	ds_load_b32 v34, v34
	ds_load_b64 v[61:62], v46 offset:1024
	s_wait_dscnt 0x1
	v_add_nc_u32_e32 v34, v49, v34
	s_delay_alu instid0(VALU_DEP_1) | instskip(NEXT) | instid1(VALU_DEP_1)
	v_lshlrev_b64_e32 v[63:64], 3, v[34:35]
	v_add_co_u32 v63, vcc_lo, s30, v63
	s_wait_alu 0xfffd
	s_delay_alu instid0(VALU_DEP_2)
	v_add_co_ci_u32_e64 v64, null, s31, v64, vcc_lo
	s_wait_dscnt 0x0
	global_store_b64 v[63:64], v[61:62], off
.LBB217_139:                            ;   in Loop: Header=BB217_137 Depth=1
	s_or_b32 exec_lo, exec_lo, s4
	v_add_nc_u32_e32 v34, 0x400, v49
	s_mov_b32 s4, exec_lo
	s_delay_alu instid0(VALU_DEP_1)
	v_cmpx_gt_u32_e64 s33, v34
	s_cbranch_execz .LBB217_141
; %bb.140:                              ;   in Loop: Header=BB217_137 Depth=1
	scratch_load_b32 v34, off, s2 offset:-4
	s_wait_loadcnt 0x0
	v_lshlrev_b32_e32 v34, 2, v34
	ds_load_b32 v34, v34
	ds_load_b64 v[61:62], v46 offset:9216
	s_wait_dscnt 0x1
	v_add3_u32 v34, v49, v34, 0x400
	s_delay_alu instid0(VALU_DEP_1) | instskip(NEXT) | instid1(VALU_DEP_1)
	v_lshlrev_b64_e32 v[63:64], 3, v[34:35]
	v_add_co_u32 v63, vcc_lo, s30, v63
	s_wait_alu 0xfffd
	s_delay_alu instid0(VALU_DEP_2)
	v_add_co_ci_u32_e64 v64, null, s31, v64, vcc_lo
	s_wait_dscnt 0x0
	global_store_b64 v[63:64], v[61:62], off
.LBB217_141:                            ;   in Loop: Header=BB217_137 Depth=1
	s_or_b32 exec_lo, exec_lo, s4
	v_add_nc_u32_e32 v34, 0x800, v49
	s_mov_b32 s4, exec_lo
	s_delay_alu instid0(VALU_DEP_1)
	v_cmpx_gt_u32_e64 s33, v34
	s_cbranch_execz .LBB217_143
; %bb.142:                              ;   in Loop: Header=BB217_137 Depth=1
	scratch_load_b32 v34, off, s2
	s_wait_loadcnt 0x0
	v_lshlrev_b32_e32 v34, 2, v34
	ds_load_b32 v34, v34
	ds_load_b64 v[61:62], v46 offset:17408
	s_wait_dscnt 0x1
	v_add3_u32 v34, v49, v34, 0x800
	s_delay_alu instid0(VALU_DEP_1) | instskip(NEXT) | instid1(VALU_DEP_1)
	v_lshlrev_b64_e32 v[63:64], 3, v[34:35]
	v_add_co_u32 v63, vcc_lo, s30, v63
	s_wait_alu 0xfffd
	s_delay_alu instid0(VALU_DEP_2)
	v_add_co_ci_u32_e64 v64, null, s31, v64, vcc_lo
	s_wait_dscnt 0x0
	global_store_b64 v[63:64], v[61:62], off
.LBB217_143:                            ;   in Loop: Header=BB217_137 Depth=1
	s_or_b32 exec_lo, exec_lo, s4
	v_add_nc_u32_e32 v34, 0xc00, v49
	s_mov_b32 s4, exec_lo
	s_delay_alu instid0(VALU_DEP_1)
	v_cmpx_gt_u32_e64 s33, v34
	s_cbranch_execz .LBB217_136
; %bb.144:                              ;   in Loop: Header=BB217_137 Depth=1
	scratch_load_b32 v34, off, s2 offset:4
	s_wait_loadcnt 0x0
	v_lshlrev_b32_e32 v34, 2, v34
	ds_load_b32 v34, v34
	ds_load_b64 v[61:62], v46 offset:25600
	s_wait_dscnt 0x1
	v_add3_u32 v34, v49, v34, 0xc00
	s_delay_alu instid0(VALU_DEP_1) | instskip(NEXT) | instid1(VALU_DEP_1)
	v_lshlrev_b64_e32 v[63:64], 3, v[34:35]
	v_add_co_u32 v63, vcc_lo, s30, v63
	s_wait_alu 0xfffd
	s_delay_alu instid0(VALU_DEP_2)
	v_add_co_ci_u32_e64 v64, null, s31, v64, vcc_lo
	s_wait_dscnt 0x0
	global_store_b64 v[63:64], v[61:62], off
	s_branch .LBB217_136
.LBB217_145:
	s_add_co_i32 s46, s46, -1
	s_wait_alu 0xfffe
	s_cmp_eq_u32 ttmp9, s46
	s_cselect_b32 s2, -1, 0
	s_xor_b32 s3, s18, -1
	s_wait_alu 0xfffe
	s_and_b32 s3, s3, s2
	s_wait_alu 0xfffe
	s_and_saveexec_b32 s2, s3
	s_cbranch_execz .LBB217_147
; %bb.146:
	ds_load_b32 v2, v51
	s_wait_dscnt 0x0
	v_add3_u32 v2, v38, v41, v2
	global_store_b32 v51, v2, s[38:39]
.LBB217_147:
	s_wait_alu 0xfffe
	s_or_b32 exec_lo, exec_lo, s2
	s_mov_b32 s2, 0
.LBB217_148:
	s_wait_alu 0xfffe
	s_and_b32 vcc_lo, exec_lo, s2
	s_wait_alu 0xfffe
	s_cbranch_vccz .LBB217_207
; %bb.149:
	v_lshlrev_b32_e32 v2, 4, v1
	s_lshl_b32 s6, ttmp9, 14
	s_mov_b32 s7, 0
	s_delay_alu instid0(SALU_CYCLE_1) | instskip(NEXT) | instid1(VALU_DEP_1)
	s_lshl_b64 s[2:3], s[6:7], 2
	v_and_b32_e32 v10, 0x3e00, v2
	v_lshlrev_b32_e32 v2, 2, v36
	s_wait_alu 0xfffe
	s_add_nc_u64 s[2:3], s[24:25], s[2:3]
	s_delay_alu instid0(VALU_DEP_2) | instskip(SKIP_4) | instid1(VALU_DEP_2)
	v_lshlrev_b32_e32 v3, 2, v10
	s_wait_alu 0xfffe
	v_add_co_u32 v2, s2, s2, v2
	s_wait_alu 0xf1ff
	v_add_co_ci_u32_e64 v4, null, s3, 0, s2
	v_add_co_u32 v2, vcc_lo, v2, v3
	s_wait_alu 0xfffd
	s_delay_alu instid0(VALU_DEP_2)
	v_add_co_ci_u32_e64 v3, null, 0, v4, vcc_lo
	s_clause 0xf
	global_load_b32 v11, v[2:3], off
	global_load_b32 v12, v[2:3], off offset:128
	global_load_b32 v13, v[2:3], off offset:256
	;; [unrolled: 1-line block ×15, first 2 shown]
	s_clause 0x1
	s_load_b32 s8, s[0:1], 0x58
	s_load_u16 s2, s[0:1], 0x66
	s_wait_kmcnt 0x0
	s_cmp_lt_u32 ttmp9, s8
	s_cselect_b32 s0, 12, 18
	s_lshl_b32 s1, -1, s41
	s_wait_alu 0xfffe
	s_not_b32 s9, s1
	s_mov_b32 s1, s7
	s_wait_alu 0xfffe
	s_add_nc_u64 s[0:1], s[44:45], s[0:1]
	s_load_u16 s1, s[0:1], 0x0
	s_wait_loadcnt 0xf
	v_lshrrev_b32_e32 v2, s40, v11
	s_delay_alu instid0(VALU_DEP_1) | instskip(SKIP_2) | instid1(VALU_DEP_3)
	v_and_b32_e32 v4, s9, v2
	v_bfe_u32 v2, v0, 10, 10
	v_bfe_u32 v0, v0, 20, 10
	v_and_b32_e32 v3, 1, v4
	v_lshlrev_b32_e32 v5, 30, v4
	v_lshlrev_b32_e32 v6, 29, v4
	;; [unrolled: 1-line block ×4, first 2 shown]
	v_add_co_u32 v3, s0, v3, -1
	s_wait_alu 0xf1ff
	v_cndmask_b32_e64 v8, 0, 1, s0
	v_not_b32_e32 v29, v5
	v_cmp_gt_i32_e64 s0, 0, v5
	v_not_b32_e32 v5, v6
	v_lshlrev_b32_e32 v27, 26, v4
	v_cmp_ne_u32_e32 vcc_lo, 0, v8
	v_ashrrev_i32_e32 v29, 31, v29
	v_lshlrev_b32_e32 v28, 25, v4
	v_ashrrev_i32_e32 v5, 31, v5
	v_lshlrev_b32_e32 v8, 24, v4
	s_wait_alu 0xfffd
	v_xor_b32_e32 v3, vcc_lo, v3
	v_cmp_gt_i32_e32 vcc_lo, 0, v6
	v_not_b32_e32 v6, v7
	s_wait_alu 0xf1ff
	v_xor_b32_e32 v29, s0, v29
	v_cmp_gt_i32_e64 s0, 0, v7
	v_and_b32_e32 v3, exec_lo, v3
	v_not_b32_e32 v7, v9
	v_ashrrev_i32_e32 v6, 31, v6
	s_wait_alu 0xfffd
	v_xor_b32_e32 v5, vcc_lo, v5
	v_cmp_gt_i32_e32 vcc_lo, 0, v9
	v_and_b32_e32 v3, v3, v29
	v_not_b32_e32 v9, v27
	v_ashrrev_i32_e32 v7, 31, v7
	s_wait_alu 0xf1ff
	v_xor_b32_e32 v6, s0, v6
	v_cmp_gt_i32_e64 s0, 0, v27
	v_and_b32_e32 v3, v3, v5
	v_not_b32_e32 v5, v28
	v_ashrrev_i32_e32 v9, 31, v9
	s_wait_alu 0xfffd
	v_xor_b32_e32 v7, vcc_lo, v7
	v_cmp_gt_i32_e32 vcc_lo, 0, v28
	v_and_b32_e32 v3, v3, v6
	v_ashrrev_i32_e32 v5, 31, v5
	s_wait_alu 0xf1ff
	v_xor_b32_e32 v9, s0, v9
	v_not_b32_e32 v6, v8
	v_mad_u32_u24 v0, v0, s2, v2
	v_and_b32_e32 v3, v3, v7
	s_wait_alu 0xfffd
	v_xor_b32_e32 v5, vcc_lo, v5
	v_cmp_gt_i32_e64 s0, 0, v8
	v_ashrrev_i32_e32 v6, 31, v6
	v_mul_lo_u32 v4, 0x84, v4
	v_and_b32_e32 v3, v3, v9
	v_mul_u32_u24_e32 v29, 36, v1
	v_mov_b32_e32 v7, 0
	s_wait_alu 0xf1ff
	v_xor_b32_e32 v6, s0, v6
	ds_store_2addr_b32 v29, v7, v7 offset0:32 offset1:33
	ds_store_2addr_b32 v29, v7, v7 offset0:34 offset1:35
	;; [unrolled: 1-line block ×4, first 2 shown]
	v_and_b32_e32 v5, v3, v5
	s_wait_kmcnt 0x0
	v_mad_co_u64_u32 v[2:3], null, v0, s1, v[1:2]
	ds_store_b32 v29, v7 offset:160
	s_wait_storecnt 0x0
	s_wait_loadcnt_dscnt 0x0
	v_and_b32_e32 v3, v5, v6
	s_barrier_signal -1
	s_barrier_wait -1
	global_inv scope:SCOPE_SE
	v_lshrrev_b32_e32 v2, 3, v2
	v_mbcnt_lo_u32_b32 v0, v3, 0
	v_cmp_ne_u32_e64 s0, 0, v3
	; wave barrier
	s_delay_alu instid0(VALU_DEP_3) | instskip(NEXT) | instid1(VALU_DEP_3)
	v_and_b32_e32 v2, 0x1ffffffc, v2
	v_cmp_eq_u32_e32 vcc_lo, 0, v0
	s_delay_alu instid0(VALU_DEP_2)
	v_add_nc_u32_e32 v30, v2, v4
	s_and_b32 s1, s0, vcc_lo
	s_wait_alu 0xfffe
	s_and_saveexec_b32 s0, s1
; %bb.150:
	v_bcnt_u32_b32 v3, v3, 0
	ds_store_b32 v30, v3 offset:128
; %bb.151:
	s_wait_alu 0xfffe
	s_or_b32 exec_lo, exec_lo, s0
	v_lshrrev_b32_e32 v3, s40, v12
	; wave barrier
	s_delay_alu instid0(VALU_DEP_1) | instskip(NEXT) | instid1(VALU_DEP_1)
	v_and_b32_e32 v3, s9, v3
	v_and_b32_e32 v5, 1, v3
	v_lshlrev_b32_e32 v6, 30, v3
	v_lshlrev_b32_e32 v7, 29, v3
	;; [unrolled: 1-line block ×4, first 2 shown]
	v_add_co_u32 v5, s0, v5, -1
	s_wait_alu 0xf1ff
	v_cndmask_b32_e64 v9, 0, 1, s0
	v_not_b32_e32 v32, v6
	v_cmp_gt_i32_e64 s0, 0, v6
	v_not_b32_e32 v6, v7
	v_lshlrev_b32_e32 v28, 26, v3
	v_cmp_ne_u32_e32 vcc_lo, 0, v9
	v_ashrrev_i32_e32 v9, 31, v32
	v_lshlrev_b32_e32 v31, 25, v3
	v_ashrrev_i32_e32 v6, 31, v6
	v_mul_lo_u32 v4, 0x84, v3
	s_wait_alu 0xfffd
	v_xor_b32_e32 v5, vcc_lo, v5
	v_cmp_gt_i32_e32 vcc_lo, 0, v7
	v_not_b32_e32 v7, v8
	s_wait_alu 0xf1ff
	v_xor_b32_e32 v9, s0, v9
	v_cmp_gt_i32_e64 s0, 0, v8
	v_and_b32_e32 v5, exec_lo, v5
	v_not_b32_e32 v8, v27
	v_ashrrev_i32_e32 v7, 31, v7
	s_wait_alu 0xfffd
	v_xor_b32_e32 v6, vcc_lo, v6
	v_cmp_gt_i32_e32 vcc_lo, 0, v27
	v_and_b32_e32 v5, v5, v9
	v_not_b32_e32 v9, v28
	v_ashrrev_i32_e32 v8, 31, v8
	s_wait_alu 0xf1ff
	v_xor_b32_e32 v7, s0, v7
	v_lshlrev_b32_e32 v3, 24, v3
	v_and_b32_e32 v5, v5, v6
	v_cmp_gt_i32_e64 s0, 0, v28
	v_not_b32_e32 v6, v31
	v_ashrrev_i32_e32 v9, 31, v9
	s_wait_alu 0xfffd
	v_xor_b32_e32 v8, vcc_lo, v8
	v_and_b32_e32 v5, v5, v7
	v_cmp_gt_i32_e32 vcc_lo, 0, v31
	v_not_b32_e32 v7, v3
	v_ashrrev_i32_e32 v6, 31, v6
	s_wait_alu 0xf1ff
	v_xor_b32_e32 v9, s0, v9
	v_and_b32_e32 v5, v5, v8
	v_cmp_gt_i32_e64 s0, 0, v3
	v_ashrrev_i32_e32 v3, 31, v7
	s_wait_alu 0xfffd
	v_xor_b32_e32 v6, vcc_lo, v6
	v_add_nc_u32_e32 v33, v2, v4
	v_and_b32_e32 v5, v5, v9
	s_wait_alu 0xf1ff
	v_xor_b32_e32 v3, s0, v3
	ds_load_b32 v27, v33 offset:128
	v_and_b32_e32 v4, v5, v6
	; wave barrier
	s_delay_alu instid0(VALU_DEP_1) | instskip(NEXT) | instid1(VALU_DEP_1)
	v_and_b32_e32 v3, v4, v3
	v_mbcnt_lo_u32_b32 v28, v3, 0
	v_cmp_ne_u32_e64 s0, 0, v3
	s_delay_alu instid0(VALU_DEP_2)
	v_cmp_eq_u32_e32 vcc_lo, 0, v28
	s_and_b32 s1, s0, vcc_lo
	s_wait_alu 0xfffe
	s_and_saveexec_b32 s0, s1
	s_cbranch_execz .LBB217_153
; %bb.152:
	s_wait_dscnt 0x0
	v_bcnt_u32_b32 v3, v3, v27
	ds_store_b32 v33, v3 offset:128
.LBB217_153:
	s_wait_alu 0xfffe
	s_or_b32 exec_lo, exec_lo, s0
	v_lshrrev_b32_e32 v3, s40, v13
	; wave barrier
	s_delay_alu instid0(VALU_DEP_1) | instskip(NEXT) | instid1(VALU_DEP_1)
	v_and_b32_e32 v3, s9, v3
	v_and_b32_e32 v5, 1, v3
	v_lshlrev_b32_e32 v6, 30, v3
	v_lshlrev_b32_e32 v7, 29, v3
	;; [unrolled: 1-line block ×4, first 2 shown]
	v_add_co_u32 v5, s0, v5, -1
	s_wait_alu 0xf1ff
	v_cndmask_b32_e64 v9, 0, 1, s0
	v_not_b32_e32 v35, v6
	v_cmp_gt_i32_e64 s0, 0, v6
	v_not_b32_e32 v6, v7
	v_lshlrev_b32_e32 v32, 26, v3
	v_cmp_ne_u32_e32 vcc_lo, 0, v9
	v_ashrrev_i32_e32 v9, 31, v35
	v_lshlrev_b32_e32 v34, 25, v3
	v_ashrrev_i32_e32 v6, 31, v6
	v_mul_lo_u32 v4, 0x84, v3
	s_wait_alu 0xfffd
	v_xor_b32_e32 v5, vcc_lo, v5
	v_cmp_gt_i32_e32 vcc_lo, 0, v7
	v_not_b32_e32 v7, v8
	s_wait_alu 0xf1ff
	v_xor_b32_e32 v9, s0, v9
	v_cmp_gt_i32_e64 s0, 0, v8
	v_and_b32_e32 v5, exec_lo, v5
	v_not_b32_e32 v8, v31
	v_ashrrev_i32_e32 v7, 31, v7
	s_wait_alu 0xfffd
	v_xor_b32_e32 v6, vcc_lo, v6
	v_cmp_gt_i32_e32 vcc_lo, 0, v31
	v_and_b32_e32 v5, v5, v9
	v_not_b32_e32 v9, v32
	v_ashrrev_i32_e32 v8, 31, v8
	s_wait_alu 0xf1ff
	v_xor_b32_e32 v7, s0, v7
	v_lshlrev_b32_e32 v3, 24, v3
	v_and_b32_e32 v5, v5, v6
	v_cmp_gt_i32_e64 s0, 0, v32
	v_not_b32_e32 v6, v34
	v_ashrrev_i32_e32 v9, 31, v9
	s_wait_alu 0xfffd
	v_xor_b32_e32 v8, vcc_lo, v8
	v_and_b32_e32 v5, v5, v7
	v_cmp_gt_i32_e32 vcc_lo, 0, v34
	v_not_b32_e32 v7, v3
	v_ashrrev_i32_e32 v6, 31, v6
	s_wait_alu 0xf1ff
	v_xor_b32_e32 v9, s0, v9
	v_and_b32_e32 v5, v5, v8
	v_cmp_gt_i32_e64 s0, 0, v3
	v_ashrrev_i32_e32 v3, 31, v7
	s_wait_alu 0xfffd
	v_xor_b32_e32 v6, vcc_lo, v6
	v_add_nc_u32_e32 v37, v2, v4
	v_and_b32_e32 v5, v5, v9
	s_wait_alu 0xf1ff
	v_xor_b32_e32 v3, s0, v3
	ds_load_b32 v31, v37 offset:128
	v_and_b32_e32 v4, v5, v6
	; wave barrier
	s_delay_alu instid0(VALU_DEP_1) | instskip(NEXT) | instid1(VALU_DEP_1)
	v_and_b32_e32 v3, v4, v3
	v_mbcnt_lo_u32_b32 v32, v3, 0
	v_cmp_ne_u32_e64 s0, 0, v3
	s_delay_alu instid0(VALU_DEP_2)
	v_cmp_eq_u32_e32 vcc_lo, 0, v32
	s_and_b32 s1, s0, vcc_lo
	s_wait_alu 0xfffe
	s_and_saveexec_b32 s0, s1
	s_cbranch_execz .LBB217_155
; %bb.154:
	s_wait_dscnt 0x0
	v_bcnt_u32_b32 v3, v3, v31
	ds_store_b32 v37, v3 offset:128
.LBB217_155:
	s_wait_alu 0xfffe
	s_or_b32 exec_lo, exec_lo, s0
	v_lshrrev_b32_e32 v3, s40, v14
	; wave barrier
	s_delay_alu instid0(VALU_DEP_1) | instskip(NEXT) | instid1(VALU_DEP_1)
	v_and_b32_e32 v3, s9, v3
	v_and_b32_e32 v5, 1, v3
	v_lshlrev_b32_e32 v6, 30, v3
	v_lshlrev_b32_e32 v7, 29, v3
	;; [unrolled: 1-line block ×4, first 2 shown]
	v_add_co_u32 v5, s0, v5, -1
	s_wait_alu 0xf1ff
	v_cndmask_b32_e64 v9, 0, 1, s0
	v_not_b32_e32 v39, v6
	v_cmp_gt_i32_e64 s0, 0, v6
	v_not_b32_e32 v6, v7
	v_lshlrev_b32_e32 v35, 26, v3
	v_cmp_ne_u32_e32 vcc_lo, 0, v9
	v_ashrrev_i32_e32 v9, 31, v39
	v_lshlrev_b32_e32 v38, 25, v3
	v_ashrrev_i32_e32 v6, 31, v6
	v_mul_lo_u32 v4, 0x84, v3
	s_wait_alu 0xfffd
	v_xor_b32_e32 v5, vcc_lo, v5
	v_cmp_gt_i32_e32 vcc_lo, 0, v7
	v_not_b32_e32 v7, v8
	s_wait_alu 0xf1ff
	v_xor_b32_e32 v9, s0, v9
	v_cmp_gt_i32_e64 s0, 0, v8
	v_and_b32_e32 v5, exec_lo, v5
	v_not_b32_e32 v8, v34
	v_ashrrev_i32_e32 v7, 31, v7
	s_wait_alu 0xfffd
	v_xor_b32_e32 v6, vcc_lo, v6
	v_cmp_gt_i32_e32 vcc_lo, 0, v34
	v_and_b32_e32 v5, v5, v9
	v_not_b32_e32 v9, v35
	v_ashrrev_i32_e32 v8, 31, v8
	s_wait_alu 0xf1ff
	v_xor_b32_e32 v7, s0, v7
	v_lshlrev_b32_e32 v3, 24, v3
	v_and_b32_e32 v5, v5, v6
	v_cmp_gt_i32_e64 s0, 0, v35
	v_not_b32_e32 v6, v38
	v_ashrrev_i32_e32 v9, 31, v9
	s_wait_alu 0xfffd
	v_xor_b32_e32 v8, vcc_lo, v8
	v_and_b32_e32 v5, v5, v7
	v_cmp_gt_i32_e32 vcc_lo, 0, v38
	v_not_b32_e32 v7, v3
	v_ashrrev_i32_e32 v6, 31, v6
	s_wait_alu 0xf1ff
	v_xor_b32_e32 v9, s0, v9
	v_and_b32_e32 v5, v5, v8
	v_cmp_gt_i32_e64 s0, 0, v3
	v_ashrrev_i32_e32 v3, 31, v7
	s_wait_alu 0xfffd
	v_xor_b32_e32 v6, vcc_lo, v6
	v_add_nc_u32_e32 v40, v2, v4
	v_and_b32_e32 v5, v5, v9
	s_wait_alu 0xf1ff
	v_xor_b32_e32 v3, s0, v3
	ds_load_b32 v34, v40 offset:128
	v_and_b32_e32 v4, v5, v6
	; wave barrier
	s_delay_alu instid0(VALU_DEP_1) | instskip(NEXT) | instid1(VALU_DEP_1)
	v_and_b32_e32 v3, v4, v3
	v_mbcnt_lo_u32_b32 v35, v3, 0
	v_cmp_ne_u32_e64 s0, 0, v3
	s_delay_alu instid0(VALU_DEP_2)
	v_cmp_eq_u32_e32 vcc_lo, 0, v35
	s_and_b32 s1, s0, vcc_lo
	s_wait_alu 0xfffe
	s_and_saveexec_b32 s0, s1
	s_cbranch_execz .LBB217_157
; %bb.156:
	s_wait_dscnt 0x0
	v_bcnt_u32_b32 v3, v3, v34
	ds_store_b32 v40, v3 offset:128
.LBB217_157:
	s_wait_alu 0xfffe
	s_or_b32 exec_lo, exec_lo, s0
	v_lshrrev_b32_e32 v3, s40, v15
	; wave barrier
	s_delay_alu instid0(VALU_DEP_1) | instskip(NEXT) | instid1(VALU_DEP_1)
	v_and_b32_e32 v3, s9, v3
	v_and_b32_e32 v5, 1, v3
	v_lshlrev_b32_e32 v6, 30, v3
	v_lshlrev_b32_e32 v7, 29, v3
	;; [unrolled: 1-line block ×4, first 2 shown]
	v_add_co_u32 v5, s0, v5, -1
	s_wait_alu 0xf1ff
	v_cndmask_b32_e64 v9, 0, 1, s0
	v_not_b32_e32 v42, v6
	v_cmp_gt_i32_e64 s0, 0, v6
	v_not_b32_e32 v6, v7
	v_lshlrev_b32_e32 v39, 26, v3
	v_cmp_ne_u32_e32 vcc_lo, 0, v9
	v_ashrrev_i32_e32 v9, 31, v42
	v_lshlrev_b32_e32 v41, 25, v3
	v_ashrrev_i32_e32 v6, 31, v6
	v_mul_lo_u32 v4, 0x84, v3
	s_wait_alu 0xfffd
	v_xor_b32_e32 v5, vcc_lo, v5
	v_cmp_gt_i32_e32 vcc_lo, 0, v7
	v_not_b32_e32 v7, v8
	s_wait_alu 0xf1ff
	v_xor_b32_e32 v9, s0, v9
	v_cmp_gt_i32_e64 s0, 0, v8
	v_and_b32_e32 v5, exec_lo, v5
	v_not_b32_e32 v8, v38
	v_ashrrev_i32_e32 v7, 31, v7
	s_wait_alu 0xfffd
	v_xor_b32_e32 v6, vcc_lo, v6
	v_cmp_gt_i32_e32 vcc_lo, 0, v38
	v_and_b32_e32 v5, v5, v9
	v_not_b32_e32 v9, v39
	v_ashrrev_i32_e32 v8, 31, v8
	s_wait_alu 0xf1ff
	v_xor_b32_e32 v7, s0, v7
	v_lshlrev_b32_e32 v3, 24, v3
	v_and_b32_e32 v5, v5, v6
	v_cmp_gt_i32_e64 s0, 0, v39
	v_not_b32_e32 v6, v41
	v_ashrrev_i32_e32 v9, 31, v9
	s_wait_alu 0xfffd
	v_xor_b32_e32 v8, vcc_lo, v8
	v_and_b32_e32 v5, v5, v7
	v_cmp_gt_i32_e32 vcc_lo, 0, v41
	v_not_b32_e32 v7, v3
	v_ashrrev_i32_e32 v6, 31, v6
	s_wait_alu 0xf1ff
	v_xor_b32_e32 v9, s0, v9
	v_and_b32_e32 v5, v5, v8
	v_cmp_gt_i32_e64 s0, 0, v3
	v_ashrrev_i32_e32 v3, 31, v7
	s_wait_alu 0xfffd
	v_xor_b32_e32 v6, vcc_lo, v6
	v_add_nc_u32_e32 v43, v2, v4
	v_and_b32_e32 v5, v5, v9
	s_wait_alu 0xf1ff
	v_xor_b32_e32 v3, s0, v3
	ds_load_b32 v38, v43 offset:128
	v_and_b32_e32 v4, v5, v6
	; wave barrier
	s_delay_alu instid0(VALU_DEP_1) | instskip(NEXT) | instid1(VALU_DEP_1)
	v_and_b32_e32 v3, v4, v3
	v_mbcnt_lo_u32_b32 v39, v3, 0
	v_cmp_ne_u32_e64 s0, 0, v3
	s_delay_alu instid0(VALU_DEP_2)
	v_cmp_eq_u32_e32 vcc_lo, 0, v39
	s_and_b32 s1, s0, vcc_lo
	s_wait_alu 0xfffe
	s_and_saveexec_b32 s0, s1
	s_cbranch_execz .LBB217_159
; %bb.158:
	s_wait_dscnt 0x0
	v_bcnt_u32_b32 v3, v3, v38
	ds_store_b32 v43, v3 offset:128
.LBB217_159:
	s_wait_alu 0xfffe
	s_or_b32 exec_lo, exec_lo, s0
	v_lshrrev_b32_e32 v3, s40, v16
	; wave barrier
	s_delay_alu instid0(VALU_DEP_1) | instskip(NEXT) | instid1(VALU_DEP_1)
	v_and_b32_e32 v3, s9, v3
	v_and_b32_e32 v5, 1, v3
	v_lshlrev_b32_e32 v6, 30, v3
	v_lshlrev_b32_e32 v7, 29, v3
	;; [unrolled: 1-line block ×4, first 2 shown]
	v_add_co_u32 v5, s0, v5, -1
	s_wait_alu 0xf1ff
	v_cndmask_b32_e64 v9, 0, 1, s0
	v_not_b32_e32 v45, v6
	v_cmp_gt_i32_e64 s0, 0, v6
	v_not_b32_e32 v6, v7
	v_lshlrev_b32_e32 v42, 26, v3
	v_cmp_ne_u32_e32 vcc_lo, 0, v9
	v_ashrrev_i32_e32 v9, 31, v45
	v_lshlrev_b32_e32 v44, 25, v3
	v_ashrrev_i32_e32 v6, 31, v6
	v_mul_lo_u32 v4, 0x84, v3
	s_wait_alu 0xfffd
	v_xor_b32_e32 v5, vcc_lo, v5
	v_cmp_gt_i32_e32 vcc_lo, 0, v7
	v_not_b32_e32 v7, v8
	s_wait_alu 0xf1ff
	v_xor_b32_e32 v9, s0, v9
	v_cmp_gt_i32_e64 s0, 0, v8
	v_and_b32_e32 v5, exec_lo, v5
	v_not_b32_e32 v8, v41
	v_ashrrev_i32_e32 v7, 31, v7
	s_wait_alu 0xfffd
	v_xor_b32_e32 v6, vcc_lo, v6
	v_cmp_gt_i32_e32 vcc_lo, 0, v41
	v_and_b32_e32 v5, v5, v9
	v_not_b32_e32 v9, v42
	v_ashrrev_i32_e32 v8, 31, v8
	s_wait_alu 0xf1ff
	v_xor_b32_e32 v7, s0, v7
	v_lshlrev_b32_e32 v3, 24, v3
	v_and_b32_e32 v5, v5, v6
	v_cmp_gt_i32_e64 s0, 0, v42
	v_not_b32_e32 v6, v44
	v_ashrrev_i32_e32 v9, 31, v9
	s_wait_alu 0xfffd
	v_xor_b32_e32 v8, vcc_lo, v8
	v_and_b32_e32 v5, v5, v7
	v_cmp_gt_i32_e32 vcc_lo, 0, v44
	v_not_b32_e32 v7, v3
	v_ashrrev_i32_e32 v6, 31, v6
	s_wait_alu 0xf1ff
	v_xor_b32_e32 v9, s0, v9
	v_and_b32_e32 v5, v5, v8
	v_cmp_gt_i32_e64 s0, 0, v3
	v_ashrrev_i32_e32 v3, 31, v7
	s_wait_alu 0xfffd
	v_xor_b32_e32 v6, vcc_lo, v6
	v_add_nc_u32_e32 v46, v2, v4
	v_and_b32_e32 v5, v5, v9
	s_wait_alu 0xf1ff
	v_xor_b32_e32 v3, s0, v3
	ds_load_b32 v41, v46 offset:128
	v_and_b32_e32 v4, v5, v6
	; wave barrier
	s_delay_alu instid0(VALU_DEP_1) | instskip(NEXT) | instid1(VALU_DEP_1)
	v_and_b32_e32 v3, v4, v3
	v_mbcnt_lo_u32_b32 v42, v3, 0
	v_cmp_ne_u32_e64 s0, 0, v3
	s_delay_alu instid0(VALU_DEP_2)
	v_cmp_eq_u32_e32 vcc_lo, 0, v42
	s_and_b32 s1, s0, vcc_lo
	s_wait_alu 0xfffe
	s_and_saveexec_b32 s0, s1
	s_cbranch_execz .LBB217_161
; %bb.160:
	s_wait_dscnt 0x0
	v_bcnt_u32_b32 v3, v3, v41
	ds_store_b32 v46, v3 offset:128
.LBB217_161:
	s_wait_alu 0xfffe
	s_or_b32 exec_lo, exec_lo, s0
	v_lshrrev_b32_e32 v3, s40, v17
	; wave barrier
	s_delay_alu instid0(VALU_DEP_1) | instskip(NEXT) | instid1(VALU_DEP_1)
	v_and_b32_e32 v3, s9, v3
	v_and_b32_e32 v5, 1, v3
	v_lshlrev_b32_e32 v6, 30, v3
	v_lshlrev_b32_e32 v7, 29, v3
	;; [unrolled: 1-line block ×4, first 2 shown]
	v_add_co_u32 v5, s0, v5, -1
	s_wait_alu 0xf1ff
	v_cndmask_b32_e64 v9, 0, 1, s0
	v_not_b32_e32 v48, v6
	v_cmp_gt_i32_e64 s0, 0, v6
	v_not_b32_e32 v6, v7
	v_lshlrev_b32_e32 v45, 26, v3
	v_cmp_ne_u32_e32 vcc_lo, 0, v9
	v_ashrrev_i32_e32 v9, 31, v48
	v_lshlrev_b32_e32 v47, 25, v3
	v_ashrrev_i32_e32 v6, 31, v6
	v_mul_lo_u32 v4, 0x84, v3
	s_wait_alu 0xfffd
	v_xor_b32_e32 v5, vcc_lo, v5
	v_cmp_gt_i32_e32 vcc_lo, 0, v7
	v_not_b32_e32 v7, v8
	s_wait_alu 0xf1ff
	v_xor_b32_e32 v9, s0, v9
	v_cmp_gt_i32_e64 s0, 0, v8
	v_and_b32_e32 v5, exec_lo, v5
	v_not_b32_e32 v8, v44
	v_ashrrev_i32_e32 v7, 31, v7
	s_wait_alu 0xfffd
	v_xor_b32_e32 v6, vcc_lo, v6
	v_cmp_gt_i32_e32 vcc_lo, 0, v44
	v_and_b32_e32 v5, v5, v9
	v_not_b32_e32 v9, v45
	v_ashrrev_i32_e32 v8, 31, v8
	s_wait_alu 0xf1ff
	v_xor_b32_e32 v7, s0, v7
	v_lshlrev_b32_e32 v3, 24, v3
	v_and_b32_e32 v5, v5, v6
	v_cmp_gt_i32_e64 s0, 0, v45
	v_not_b32_e32 v6, v47
	v_ashrrev_i32_e32 v9, 31, v9
	s_wait_alu 0xfffd
	v_xor_b32_e32 v8, vcc_lo, v8
	v_and_b32_e32 v5, v5, v7
	v_cmp_gt_i32_e32 vcc_lo, 0, v47
	v_not_b32_e32 v7, v3
	v_ashrrev_i32_e32 v6, 31, v6
	s_wait_alu 0xf1ff
	v_xor_b32_e32 v9, s0, v9
	v_and_b32_e32 v5, v5, v8
	v_cmp_gt_i32_e64 s0, 0, v3
	v_ashrrev_i32_e32 v3, 31, v7
	s_wait_alu 0xfffd
	v_xor_b32_e32 v6, vcc_lo, v6
	v_add_nc_u32_e32 v49, v2, v4
	v_and_b32_e32 v5, v5, v9
	s_wait_alu 0xf1ff
	v_xor_b32_e32 v3, s0, v3
	ds_load_b32 v44, v49 offset:128
	v_and_b32_e32 v4, v5, v6
	; wave barrier
	s_delay_alu instid0(VALU_DEP_1) | instskip(NEXT) | instid1(VALU_DEP_1)
	v_and_b32_e32 v3, v4, v3
	v_mbcnt_lo_u32_b32 v45, v3, 0
	v_cmp_ne_u32_e64 s0, 0, v3
	s_delay_alu instid0(VALU_DEP_2)
	v_cmp_eq_u32_e32 vcc_lo, 0, v45
	s_and_b32 s1, s0, vcc_lo
	s_wait_alu 0xfffe
	s_and_saveexec_b32 s0, s1
	s_cbranch_execz .LBB217_163
; %bb.162:
	s_wait_dscnt 0x0
	v_bcnt_u32_b32 v3, v3, v44
	ds_store_b32 v49, v3 offset:128
.LBB217_163:
	s_wait_alu 0xfffe
	s_or_b32 exec_lo, exec_lo, s0
	v_lshrrev_b32_e32 v3, s40, v18
	; wave barrier
	s_delay_alu instid0(VALU_DEP_1) | instskip(NEXT) | instid1(VALU_DEP_1)
	v_and_b32_e32 v3, s9, v3
	v_and_b32_e32 v5, 1, v3
	v_lshlrev_b32_e32 v6, 30, v3
	v_lshlrev_b32_e32 v7, 29, v3
	;; [unrolled: 1-line block ×4, first 2 shown]
	v_add_co_u32 v5, s0, v5, -1
	s_wait_alu 0xf1ff
	v_cndmask_b32_e64 v9, 0, 1, s0
	v_not_b32_e32 v51, v6
	v_cmp_gt_i32_e64 s0, 0, v6
	v_not_b32_e32 v6, v7
	v_lshlrev_b32_e32 v48, 26, v3
	v_cmp_ne_u32_e32 vcc_lo, 0, v9
	v_ashrrev_i32_e32 v9, 31, v51
	v_lshlrev_b32_e32 v50, 25, v3
	v_ashrrev_i32_e32 v6, 31, v6
	v_mul_lo_u32 v4, 0x84, v3
	s_wait_alu 0xfffd
	v_xor_b32_e32 v5, vcc_lo, v5
	v_cmp_gt_i32_e32 vcc_lo, 0, v7
	v_not_b32_e32 v7, v8
	s_wait_alu 0xf1ff
	v_xor_b32_e32 v9, s0, v9
	v_cmp_gt_i32_e64 s0, 0, v8
	v_and_b32_e32 v5, exec_lo, v5
	v_not_b32_e32 v8, v47
	v_ashrrev_i32_e32 v7, 31, v7
	s_wait_alu 0xfffd
	v_xor_b32_e32 v6, vcc_lo, v6
	v_cmp_gt_i32_e32 vcc_lo, 0, v47
	v_and_b32_e32 v5, v5, v9
	v_not_b32_e32 v9, v48
	v_ashrrev_i32_e32 v8, 31, v8
	s_wait_alu 0xf1ff
	v_xor_b32_e32 v7, s0, v7
	v_lshlrev_b32_e32 v3, 24, v3
	v_and_b32_e32 v5, v5, v6
	v_cmp_gt_i32_e64 s0, 0, v48
	v_not_b32_e32 v6, v50
	v_ashrrev_i32_e32 v9, 31, v9
	s_wait_alu 0xfffd
	v_xor_b32_e32 v8, vcc_lo, v8
	v_and_b32_e32 v5, v5, v7
	v_cmp_gt_i32_e32 vcc_lo, 0, v50
	v_not_b32_e32 v7, v3
	v_ashrrev_i32_e32 v6, 31, v6
	s_wait_alu 0xf1ff
	v_xor_b32_e32 v9, s0, v9
	v_and_b32_e32 v5, v5, v8
	v_cmp_gt_i32_e64 s0, 0, v3
	v_ashrrev_i32_e32 v3, 31, v7
	s_wait_alu 0xfffd
	v_xor_b32_e32 v6, vcc_lo, v6
	v_add_nc_u32_e32 v52, v2, v4
	v_and_b32_e32 v5, v5, v9
	s_wait_alu 0xf1ff
	v_xor_b32_e32 v3, s0, v3
	ds_load_b32 v47, v52 offset:128
	v_and_b32_e32 v4, v5, v6
	; wave barrier
	s_delay_alu instid0(VALU_DEP_1) | instskip(NEXT) | instid1(VALU_DEP_1)
	v_and_b32_e32 v3, v4, v3
	v_mbcnt_lo_u32_b32 v48, v3, 0
	v_cmp_ne_u32_e64 s0, 0, v3
	s_delay_alu instid0(VALU_DEP_2)
	v_cmp_eq_u32_e32 vcc_lo, 0, v48
	s_and_b32 s1, s0, vcc_lo
	s_wait_alu 0xfffe
	s_and_saveexec_b32 s0, s1
	s_cbranch_execz .LBB217_165
; %bb.164:
	s_wait_dscnt 0x0
	v_bcnt_u32_b32 v3, v3, v47
	ds_store_b32 v52, v3 offset:128
.LBB217_165:
	s_wait_alu 0xfffe
	s_or_b32 exec_lo, exec_lo, s0
	v_lshrrev_b32_e32 v3, s40, v19
	; wave barrier
	s_delay_alu instid0(VALU_DEP_1) | instskip(NEXT) | instid1(VALU_DEP_1)
	v_and_b32_e32 v3, s9, v3
	v_and_b32_e32 v5, 1, v3
	v_lshlrev_b32_e32 v6, 30, v3
	v_lshlrev_b32_e32 v7, 29, v3
	;; [unrolled: 1-line block ×4, first 2 shown]
	v_add_co_u32 v5, s0, v5, -1
	s_wait_alu 0xf1ff
	v_cndmask_b32_e64 v9, 0, 1, s0
	v_not_b32_e32 v54, v6
	v_cmp_gt_i32_e64 s0, 0, v6
	v_not_b32_e32 v6, v7
	v_lshlrev_b32_e32 v51, 26, v3
	v_cmp_ne_u32_e32 vcc_lo, 0, v9
	v_ashrrev_i32_e32 v9, 31, v54
	v_lshlrev_b32_e32 v53, 25, v3
	v_ashrrev_i32_e32 v6, 31, v6
	v_mul_lo_u32 v4, 0x84, v3
	s_wait_alu 0xfffd
	v_xor_b32_e32 v5, vcc_lo, v5
	v_cmp_gt_i32_e32 vcc_lo, 0, v7
	v_not_b32_e32 v7, v8
	s_wait_alu 0xf1ff
	v_xor_b32_e32 v9, s0, v9
	v_cmp_gt_i32_e64 s0, 0, v8
	v_and_b32_e32 v5, exec_lo, v5
	v_not_b32_e32 v8, v50
	v_ashrrev_i32_e32 v7, 31, v7
	s_wait_alu 0xfffd
	v_xor_b32_e32 v6, vcc_lo, v6
	v_cmp_gt_i32_e32 vcc_lo, 0, v50
	v_and_b32_e32 v5, v5, v9
	v_not_b32_e32 v9, v51
	v_ashrrev_i32_e32 v8, 31, v8
	s_wait_alu 0xf1ff
	v_xor_b32_e32 v7, s0, v7
	v_lshlrev_b32_e32 v3, 24, v3
	v_and_b32_e32 v5, v5, v6
	v_cmp_gt_i32_e64 s0, 0, v51
	v_not_b32_e32 v6, v53
	v_ashrrev_i32_e32 v9, 31, v9
	s_wait_alu 0xfffd
	v_xor_b32_e32 v8, vcc_lo, v8
	v_and_b32_e32 v5, v5, v7
	v_cmp_gt_i32_e32 vcc_lo, 0, v53
	v_not_b32_e32 v7, v3
	v_ashrrev_i32_e32 v6, 31, v6
	s_wait_alu 0xf1ff
	v_xor_b32_e32 v9, s0, v9
	v_and_b32_e32 v5, v5, v8
	v_cmp_gt_i32_e64 s0, 0, v3
	v_ashrrev_i32_e32 v3, 31, v7
	s_wait_alu 0xfffd
	v_xor_b32_e32 v6, vcc_lo, v6
	v_add_nc_u32_e32 v55, v2, v4
	v_and_b32_e32 v5, v5, v9
	s_wait_alu 0xf1ff
	v_xor_b32_e32 v3, s0, v3
	ds_load_b32 v50, v55 offset:128
	v_and_b32_e32 v4, v5, v6
	; wave barrier
	s_delay_alu instid0(VALU_DEP_1) | instskip(NEXT) | instid1(VALU_DEP_1)
	v_and_b32_e32 v3, v4, v3
	v_mbcnt_lo_u32_b32 v51, v3, 0
	v_cmp_ne_u32_e64 s0, 0, v3
	s_delay_alu instid0(VALU_DEP_2)
	v_cmp_eq_u32_e32 vcc_lo, 0, v51
	s_and_b32 s1, s0, vcc_lo
	s_wait_alu 0xfffe
	s_and_saveexec_b32 s0, s1
	s_cbranch_execz .LBB217_167
; %bb.166:
	s_wait_dscnt 0x0
	v_bcnt_u32_b32 v3, v3, v50
	ds_store_b32 v55, v3 offset:128
.LBB217_167:
	s_wait_alu 0xfffe
	s_or_b32 exec_lo, exec_lo, s0
	v_lshrrev_b32_e32 v3, s40, v20
	; wave barrier
	s_delay_alu instid0(VALU_DEP_1) | instskip(NEXT) | instid1(VALU_DEP_1)
	v_and_b32_e32 v3, s9, v3
	v_and_b32_e32 v5, 1, v3
	v_lshlrev_b32_e32 v6, 30, v3
	v_lshlrev_b32_e32 v7, 29, v3
	;; [unrolled: 1-line block ×4, first 2 shown]
	v_add_co_u32 v5, s0, v5, -1
	s_wait_alu 0xf1ff
	v_cndmask_b32_e64 v9, 0, 1, s0
	v_not_b32_e32 v57, v6
	v_cmp_gt_i32_e64 s0, 0, v6
	v_not_b32_e32 v6, v7
	v_lshlrev_b32_e32 v54, 26, v3
	v_cmp_ne_u32_e32 vcc_lo, 0, v9
	v_ashrrev_i32_e32 v9, 31, v57
	v_lshlrev_b32_e32 v56, 25, v3
	v_ashrrev_i32_e32 v6, 31, v6
	v_mul_lo_u32 v4, 0x84, v3
	s_wait_alu 0xfffd
	v_xor_b32_e32 v5, vcc_lo, v5
	v_cmp_gt_i32_e32 vcc_lo, 0, v7
	v_not_b32_e32 v7, v8
	s_wait_alu 0xf1ff
	v_xor_b32_e32 v9, s0, v9
	v_cmp_gt_i32_e64 s0, 0, v8
	v_and_b32_e32 v5, exec_lo, v5
	v_not_b32_e32 v8, v53
	v_ashrrev_i32_e32 v7, 31, v7
	s_wait_alu 0xfffd
	v_xor_b32_e32 v6, vcc_lo, v6
	v_cmp_gt_i32_e32 vcc_lo, 0, v53
	v_and_b32_e32 v5, v5, v9
	v_not_b32_e32 v9, v54
	v_ashrrev_i32_e32 v8, 31, v8
	s_wait_alu 0xf1ff
	v_xor_b32_e32 v7, s0, v7
	v_lshlrev_b32_e32 v3, 24, v3
	v_and_b32_e32 v5, v5, v6
	v_cmp_gt_i32_e64 s0, 0, v54
	v_not_b32_e32 v6, v56
	v_ashrrev_i32_e32 v9, 31, v9
	s_wait_alu 0xfffd
	v_xor_b32_e32 v8, vcc_lo, v8
	v_and_b32_e32 v5, v5, v7
	v_cmp_gt_i32_e32 vcc_lo, 0, v56
	v_not_b32_e32 v7, v3
	v_ashrrev_i32_e32 v6, 31, v6
	s_wait_alu 0xf1ff
	v_xor_b32_e32 v9, s0, v9
	v_and_b32_e32 v5, v5, v8
	v_cmp_gt_i32_e64 s0, 0, v3
	v_ashrrev_i32_e32 v3, 31, v7
	s_wait_alu 0xfffd
	v_xor_b32_e32 v6, vcc_lo, v6
	v_add_nc_u32_e32 v59, v2, v4
	v_and_b32_e32 v5, v5, v9
	s_wait_alu 0xf1ff
	v_xor_b32_e32 v3, s0, v3
	ds_load_b32 v53, v59 offset:128
	v_and_b32_e32 v4, v5, v6
	; wave barrier
	s_delay_alu instid0(VALU_DEP_1) | instskip(NEXT) | instid1(VALU_DEP_1)
	v_and_b32_e32 v3, v4, v3
	v_mbcnt_lo_u32_b32 v54, v3, 0
	v_cmp_ne_u32_e64 s0, 0, v3
	s_delay_alu instid0(VALU_DEP_2)
	v_cmp_eq_u32_e32 vcc_lo, 0, v54
	s_and_b32 s1, s0, vcc_lo
	s_wait_alu 0xfffe
	s_and_saveexec_b32 s0, s1
	s_cbranch_execz .LBB217_169
; %bb.168:
	s_wait_dscnt 0x0
	v_bcnt_u32_b32 v3, v3, v53
	ds_store_b32 v59, v3 offset:128
.LBB217_169:
	s_wait_alu 0xfffe
	s_or_b32 exec_lo, exec_lo, s0
	v_lshrrev_b32_e32 v3, s40, v21
	; wave barrier
	s_delay_alu instid0(VALU_DEP_1) | instskip(NEXT) | instid1(VALU_DEP_1)
	v_and_b32_e32 v3, s9, v3
	v_and_b32_e32 v5, 1, v3
	v_lshlrev_b32_e32 v6, 30, v3
	v_lshlrev_b32_e32 v7, 29, v3
	;; [unrolled: 1-line block ×4, first 2 shown]
	v_add_co_u32 v5, s0, v5, -1
	s_wait_alu 0xf1ff
	v_cndmask_b32_e64 v9, 0, 1, s0
	v_not_b32_e32 v60, v6
	v_cmp_gt_i32_e64 s0, 0, v6
	v_not_b32_e32 v6, v7
	v_lshlrev_b32_e32 v57, 26, v3
	v_cmp_ne_u32_e32 vcc_lo, 0, v9
	v_ashrrev_i32_e32 v9, 31, v60
	v_lshlrev_b32_e32 v58, 25, v3
	v_ashrrev_i32_e32 v6, 31, v6
	v_mul_lo_u32 v4, 0x84, v3
	s_wait_alu 0xfffd
	v_xor_b32_e32 v5, vcc_lo, v5
	v_cmp_gt_i32_e32 vcc_lo, 0, v7
	v_not_b32_e32 v7, v8
	s_wait_alu 0xf1ff
	v_xor_b32_e32 v9, s0, v9
	v_cmp_gt_i32_e64 s0, 0, v8
	v_and_b32_e32 v5, exec_lo, v5
	v_not_b32_e32 v8, v56
	v_ashrrev_i32_e32 v7, 31, v7
	s_wait_alu 0xfffd
	v_xor_b32_e32 v6, vcc_lo, v6
	v_cmp_gt_i32_e32 vcc_lo, 0, v56
	v_and_b32_e32 v5, v5, v9
	v_not_b32_e32 v9, v57
	v_ashrrev_i32_e32 v8, 31, v8
	s_wait_alu 0xf1ff
	v_xor_b32_e32 v7, s0, v7
	v_lshlrev_b32_e32 v3, 24, v3
	v_and_b32_e32 v5, v5, v6
	v_cmp_gt_i32_e64 s0, 0, v57
	v_not_b32_e32 v6, v58
	v_ashrrev_i32_e32 v9, 31, v9
	s_wait_alu 0xfffd
	v_xor_b32_e32 v8, vcc_lo, v8
	v_and_b32_e32 v5, v5, v7
	v_cmp_gt_i32_e32 vcc_lo, 0, v58
	v_not_b32_e32 v7, v3
	v_ashrrev_i32_e32 v6, 31, v6
	s_wait_alu 0xf1ff
	v_xor_b32_e32 v9, s0, v9
	v_and_b32_e32 v5, v5, v8
	v_cmp_gt_i32_e64 s0, 0, v3
	v_ashrrev_i32_e32 v3, 31, v7
	s_wait_alu 0xfffd
	v_xor_b32_e32 v6, vcc_lo, v6
	v_add_nc_u32_e32 v62, v2, v4
	v_and_b32_e32 v5, v5, v9
	s_wait_alu 0xf1ff
	v_xor_b32_e32 v3, s0, v3
	ds_load_b32 v56, v62 offset:128
	v_and_b32_e32 v4, v5, v6
	; wave barrier
	s_delay_alu instid0(VALU_DEP_1) | instskip(NEXT) | instid1(VALU_DEP_1)
	v_and_b32_e32 v3, v4, v3
	v_mbcnt_lo_u32_b32 v57, v3, 0
	v_cmp_ne_u32_e64 s0, 0, v3
	s_delay_alu instid0(VALU_DEP_2)
	v_cmp_eq_u32_e32 vcc_lo, 0, v57
	s_and_b32 s1, s0, vcc_lo
	s_wait_alu 0xfffe
	s_and_saveexec_b32 s0, s1
	s_cbranch_execz .LBB217_171
; %bb.170:
	s_wait_dscnt 0x0
	v_bcnt_u32_b32 v3, v3, v56
	ds_store_b32 v62, v3 offset:128
.LBB217_171:
	s_wait_alu 0xfffe
	s_or_b32 exec_lo, exec_lo, s0
	v_lshrrev_b32_e32 v3, s40, v22
	; wave barrier
	s_delay_alu instid0(VALU_DEP_1) | instskip(NEXT) | instid1(VALU_DEP_1)
	v_and_b32_e32 v3, s9, v3
	v_and_b32_e32 v5, 1, v3
	v_lshlrev_b32_e32 v6, 30, v3
	v_lshlrev_b32_e32 v7, 29, v3
	;; [unrolled: 1-line block ×4, first 2 shown]
	v_add_co_u32 v5, s0, v5, -1
	s_wait_alu 0xf1ff
	v_cndmask_b32_e64 v9, 0, 1, s0
	v_not_b32_e32 v63, v6
	v_cmp_gt_i32_e64 s0, 0, v6
	v_not_b32_e32 v6, v7
	v_lshlrev_b32_e32 v60, 26, v3
	v_cmp_ne_u32_e32 vcc_lo, 0, v9
	v_ashrrev_i32_e32 v9, 31, v63
	v_lshlrev_b32_e32 v61, 25, v3
	v_ashrrev_i32_e32 v6, 31, v6
	v_mul_lo_u32 v4, 0x84, v3
	s_wait_alu 0xfffd
	v_xor_b32_e32 v5, vcc_lo, v5
	v_cmp_gt_i32_e32 vcc_lo, 0, v7
	v_not_b32_e32 v7, v8
	s_wait_alu 0xf1ff
	v_xor_b32_e32 v9, s0, v9
	v_cmp_gt_i32_e64 s0, 0, v8
	v_and_b32_e32 v5, exec_lo, v5
	v_not_b32_e32 v8, v58
	v_ashrrev_i32_e32 v7, 31, v7
	s_wait_alu 0xfffd
	v_xor_b32_e32 v6, vcc_lo, v6
	v_cmp_gt_i32_e32 vcc_lo, 0, v58
	v_and_b32_e32 v5, v5, v9
	v_not_b32_e32 v9, v60
	v_ashrrev_i32_e32 v8, 31, v8
	s_wait_alu 0xf1ff
	v_xor_b32_e32 v7, s0, v7
	v_lshlrev_b32_e32 v3, 24, v3
	v_and_b32_e32 v5, v5, v6
	v_cmp_gt_i32_e64 s0, 0, v60
	v_not_b32_e32 v6, v61
	v_ashrrev_i32_e32 v9, 31, v9
	s_wait_alu 0xfffd
	v_xor_b32_e32 v8, vcc_lo, v8
	v_and_b32_e32 v5, v5, v7
	v_cmp_gt_i32_e32 vcc_lo, 0, v61
	v_not_b32_e32 v7, v3
	v_ashrrev_i32_e32 v6, 31, v6
	s_wait_alu 0xf1ff
	v_xor_b32_e32 v9, s0, v9
	v_and_b32_e32 v5, v5, v8
	v_cmp_gt_i32_e64 s0, 0, v3
	v_ashrrev_i32_e32 v3, 31, v7
	s_wait_alu 0xfffd
	v_xor_b32_e32 v6, vcc_lo, v6
	v_add_nc_u32_e32 v65, v2, v4
	v_and_b32_e32 v5, v5, v9
	s_wait_alu 0xf1ff
	v_xor_b32_e32 v3, s0, v3
	ds_load_b32 v60, v65 offset:128
	v_and_b32_e32 v4, v5, v6
	; wave barrier
	s_delay_alu instid0(VALU_DEP_1) | instskip(NEXT) | instid1(VALU_DEP_1)
	v_and_b32_e32 v3, v4, v3
	v_mbcnt_lo_u32_b32 v61, v3, 0
	v_cmp_ne_u32_e64 s0, 0, v3
	s_delay_alu instid0(VALU_DEP_2)
	v_cmp_eq_u32_e32 vcc_lo, 0, v61
	s_and_b32 s1, s0, vcc_lo
	s_wait_alu 0xfffe
	s_and_saveexec_b32 s0, s1
	s_cbranch_execz .LBB217_173
; %bb.172:
	s_wait_dscnt 0x0
	v_bcnt_u32_b32 v3, v3, v60
	ds_store_b32 v65, v3 offset:128
.LBB217_173:
	s_wait_alu 0xfffe
	s_or_b32 exec_lo, exec_lo, s0
	v_lshrrev_b32_e32 v3, s40, v23
	; wave barrier
	s_delay_alu instid0(VALU_DEP_1) | instskip(NEXT) | instid1(VALU_DEP_1)
	v_and_b32_e32 v3, s9, v3
	v_and_b32_e32 v5, 1, v3
	v_lshlrev_b32_e32 v6, 30, v3
	v_lshlrev_b32_e32 v7, 29, v3
	;; [unrolled: 1-line block ×4, first 2 shown]
	v_add_co_u32 v5, s0, v5, -1
	s_wait_alu 0xf1ff
	v_cndmask_b32_e64 v9, 0, 1, s0
	v_not_b32_e32 v66, v6
	v_cmp_gt_i32_e64 s0, 0, v6
	v_not_b32_e32 v6, v7
	v_lshlrev_b32_e32 v63, 26, v3
	v_cmp_ne_u32_e32 vcc_lo, 0, v9
	v_ashrrev_i32_e32 v9, 31, v66
	v_lshlrev_b32_e32 v64, 25, v3
	v_ashrrev_i32_e32 v6, 31, v6
	v_mul_lo_u32 v4, 0x84, v3
	s_wait_alu 0xfffd
	v_xor_b32_e32 v5, vcc_lo, v5
	v_cmp_gt_i32_e32 vcc_lo, 0, v7
	v_not_b32_e32 v7, v8
	s_wait_alu 0xf1ff
	v_xor_b32_e32 v9, s0, v9
	v_cmp_gt_i32_e64 s0, 0, v8
	v_and_b32_e32 v5, exec_lo, v5
	v_not_b32_e32 v8, v58
	v_ashrrev_i32_e32 v7, 31, v7
	s_wait_alu 0xfffd
	v_xor_b32_e32 v6, vcc_lo, v6
	v_cmp_gt_i32_e32 vcc_lo, 0, v58
	v_and_b32_e32 v5, v5, v9
	v_not_b32_e32 v9, v63
	v_ashrrev_i32_e32 v8, 31, v8
	s_wait_alu 0xf1ff
	v_xor_b32_e32 v7, s0, v7
	v_lshlrev_b32_e32 v3, 24, v3
	v_and_b32_e32 v5, v5, v6
	v_cmp_gt_i32_e64 s0, 0, v63
	v_not_b32_e32 v6, v64
	v_ashrrev_i32_e32 v9, 31, v9
	s_wait_alu 0xfffd
	v_xor_b32_e32 v8, vcc_lo, v8
	v_and_b32_e32 v5, v5, v7
	v_cmp_gt_i32_e32 vcc_lo, 0, v64
	v_not_b32_e32 v7, v3
	v_ashrrev_i32_e32 v6, 31, v6
	s_wait_alu 0xf1ff
	v_xor_b32_e32 v9, s0, v9
	v_and_b32_e32 v5, v5, v8
	v_cmp_gt_i32_e64 s0, 0, v3
	v_ashrrev_i32_e32 v3, 31, v7
	s_wait_alu 0xfffd
	v_xor_b32_e32 v6, vcc_lo, v6
	v_add_nc_u32_e32 v68, v2, v4
	v_and_b32_e32 v5, v5, v9
	s_wait_alu 0xf1ff
	v_xor_b32_e32 v3, s0, v3
	ds_load_b32 v63, v68 offset:128
	v_and_b32_e32 v4, v5, v6
	; wave barrier
	s_delay_alu instid0(VALU_DEP_1) | instskip(NEXT) | instid1(VALU_DEP_1)
	v_and_b32_e32 v3, v4, v3
	v_mbcnt_lo_u32_b32 v64, v3, 0
	v_cmp_ne_u32_e64 s0, 0, v3
	s_delay_alu instid0(VALU_DEP_2)
	v_cmp_eq_u32_e32 vcc_lo, 0, v64
	s_and_b32 s1, s0, vcc_lo
	s_wait_alu 0xfffe
	s_and_saveexec_b32 s0, s1
	s_cbranch_execz .LBB217_175
; %bb.174:
	s_wait_dscnt 0x0
	v_bcnt_u32_b32 v3, v3, v63
	ds_store_b32 v68, v3 offset:128
.LBB217_175:
	s_wait_alu 0xfffe
	s_or_b32 exec_lo, exec_lo, s0
	v_lshrrev_b32_e32 v3, s40, v24
	; wave barrier
	s_delay_alu instid0(VALU_DEP_1) | instskip(NEXT) | instid1(VALU_DEP_1)
	v_and_b32_e32 v3, s9, v3
	v_and_b32_e32 v5, 1, v3
	v_lshlrev_b32_e32 v6, 30, v3
	v_lshlrev_b32_e32 v7, 29, v3
	;; [unrolled: 1-line block ×4, first 2 shown]
	v_add_co_u32 v5, s0, v5, -1
	s_wait_alu 0xf1ff
	v_cndmask_b32_e64 v9, 0, 1, s0
	v_not_b32_e32 v69, v6
	v_cmp_gt_i32_e64 s0, 0, v6
	v_not_b32_e32 v6, v7
	v_lshlrev_b32_e32 v66, 26, v3
	v_cmp_ne_u32_e32 vcc_lo, 0, v9
	v_ashrrev_i32_e32 v9, 31, v69
	v_lshlrev_b32_e32 v67, 25, v3
	v_ashrrev_i32_e32 v6, 31, v6
	v_mul_lo_u32 v4, 0x84, v3
	s_wait_alu 0xfffd
	v_xor_b32_e32 v5, vcc_lo, v5
	v_cmp_gt_i32_e32 vcc_lo, 0, v7
	v_not_b32_e32 v7, v8
	s_wait_alu 0xf1ff
	v_xor_b32_e32 v9, s0, v9
	v_cmp_gt_i32_e64 s0, 0, v8
	v_and_b32_e32 v5, exec_lo, v5
	v_not_b32_e32 v8, v58
	v_ashrrev_i32_e32 v7, 31, v7
	s_wait_alu 0xfffd
	v_xor_b32_e32 v6, vcc_lo, v6
	v_cmp_gt_i32_e32 vcc_lo, 0, v58
	v_and_b32_e32 v5, v5, v9
	v_not_b32_e32 v9, v66
	v_ashrrev_i32_e32 v8, 31, v8
	s_wait_alu 0xf1ff
	v_xor_b32_e32 v7, s0, v7
	v_lshlrev_b32_e32 v3, 24, v3
	v_and_b32_e32 v5, v5, v6
	v_cmp_gt_i32_e64 s0, 0, v66
	v_not_b32_e32 v6, v67
	v_ashrrev_i32_e32 v9, 31, v9
	s_wait_alu 0xfffd
	v_xor_b32_e32 v8, vcc_lo, v8
	v_and_b32_e32 v5, v5, v7
	v_cmp_gt_i32_e32 vcc_lo, 0, v67
	v_not_b32_e32 v7, v3
	v_ashrrev_i32_e32 v6, 31, v6
	s_wait_alu 0xf1ff
	v_xor_b32_e32 v9, s0, v9
	v_and_b32_e32 v5, v5, v8
	v_cmp_gt_i32_e64 s0, 0, v3
	v_ashrrev_i32_e32 v3, 31, v7
	s_wait_alu 0xfffd
	v_xor_b32_e32 v6, vcc_lo, v6
	v_add_nc_u32_e32 v71, v2, v4
	v_and_b32_e32 v5, v5, v9
	s_wait_alu 0xf1ff
	v_xor_b32_e32 v3, s0, v3
	ds_load_b32 v66, v71 offset:128
	v_and_b32_e32 v4, v5, v6
	; wave barrier
	s_delay_alu instid0(VALU_DEP_1) | instskip(NEXT) | instid1(VALU_DEP_1)
	v_and_b32_e32 v3, v4, v3
	v_mbcnt_lo_u32_b32 v67, v3, 0
	v_cmp_ne_u32_e64 s0, 0, v3
	s_delay_alu instid0(VALU_DEP_2)
	v_cmp_eq_u32_e32 vcc_lo, 0, v67
	s_and_b32 s1, s0, vcc_lo
	s_wait_alu 0xfffe
	s_and_saveexec_b32 s0, s1
	s_cbranch_execz .LBB217_177
; %bb.176:
	s_wait_dscnt 0x0
	v_bcnt_u32_b32 v3, v3, v66
	ds_store_b32 v71, v3 offset:128
.LBB217_177:
	s_wait_alu 0xfffe
	s_or_b32 exec_lo, exec_lo, s0
	v_lshrrev_b32_e32 v3, s40, v25
	; wave barrier
	s_delay_alu instid0(VALU_DEP_1) | instskip(NEXT) | instid1(VALU_DEP_1)
	v_and_b32_e32 v3, s9, v3
	v_and_b32_e32 v5, 1, v3
	v_lshlrev_b32_e32 v6, 30, v3
	v_lshlrev_b32_e32 v7, 29, v3
	;; [unrolled: 1-line block ×4, first 2 shown]
	v_add_co_u32 v5, s0, v5, -1
	s_wait_alu 0xf1ff
	v_cndmask_b32_e64 v9, 0, 1, s0
	v_not_b32_e32 v72, v6
	v_cmp_gt_i32_e64 s0, 0, v6
	v_not_b32_e32 v6, v7
	v_lshlrev_b32_e32 v69, 26, v3
	v_cmp_ne_u32_e32 vcc_lo, 0, v9
	v_ashrrev_i32_e32 v9, 31, v72
	v_lshlrev_b32_e32 v70, 25, v3
	v_ashrrev_i32_e32 v6, 31, v6
	v_mul_lo_u32 v4, 0x84, v3
	s_wait_alu 0xfffd
	v_xor_b32_e32 v5, vcc_lo, v5
	v_cmp_gt_i32_e32 vcc_lo, 0, v7
	v_not_b32_e32 v7, v8
	s_wait_alu 0xf1ff
	v_xor_b32_e32 v9, s0, v9
	v_cmp_gt_i32_e64 s0, 0, v8
	v_and_b32_e32 v5, exec_lo, v5
	v_not_b32_e32 v8, v58
	v_ashrrev_i32_e32 v7, 31, v7
	s_wait_alu 0xfffd
	v_xor_b32_e32 v6, vcc_lo, v6
	v_cmp_gt_i32_e32 vcc_lo, 0, v58
	v_and_b32_e32 v5, v5, v9
	v_not_b32_e32 v9, v69
	v_ashrrev_i32_e32 v8, 31, v8
	s_wait_alu 0xf1ff
	v_xor_b32_e32 v7, s0, v7
	v_lshlrev_b32_e32 v3, 24, v3
	v_and_b32_e32 v5, v5, v6
	v_cmp_gt_i32_e64 s0, 0, v69
	v_not_b32_e32 v6, v70
	v_ashrrev_i32_e32 v9, 31, v9
	s_wait_alu 0xfffd
	v_xor_b32_e32 v8, vcc_lo, v8
	v_and_b32_e32 v5, v5, v7
	v_cmp_gt_i32_e32 vcc_lo, 0, v70
	v_not_b32_e32 v7, v3
	v_ashrrev_i32_e32 v6, 31, v6
	s_wait_alu 0xf1ff
	v_xor_b32_e32 v9, s0, v9
	v_and_b32_e32 v5, v5, v8
	v_cmp_gt_i32_e64 s0, 0, v3
	v_ashrrev_i32_e32 v3, 31, v7
	s_wait_alu 0xfffd
	v_xor_b32_e32 v6, vcc_lo, v6
	v_add_nc_u32_e32 v74, v2, v4
	v_and_b32_e32 v5, v5, v9
	s_wait_alu 0xf1ff
	v_xor_b32_e32 v3, s0, v3
	ds_load_b32 v69, v74 offset:128
	v_and_b32_e32 v4, v5, v6
	; wave barrier
	s_delay_alu instid0(VALU_DEP_1) | instskip(NEXT) | instid1(VALU_DEP_1)
	v_and_b32_e32 v3, v4, v3
	v_mbcnt_lo_u32_b32 v70, v3, 0
	v_cmp_ne_u32_e64 s0, 0, v3
	s_delay_alu instid0(VALU_DEP_2)
	v_cmp_eq_u32_e32 vcc_lo, 0, v70
	s_and_b32 s1, s0, vcc_lo
	s_wait_alu 0xfffe
	s_and_saveexec_b32 s0, s1
	s_cbranch_execz .LBB217_179
; %bb.178:
	s_wait_dscnt 0x0
	v_bcnt_u32_b32 v3, v3, v69
	ds_store_b32 v74, v3 offset:128
.LBB217_179:
	s_wait_alu 0xfffe
	s_or_b32 exec_lo, exec_lo, s0
	v_lshrrev_b32_e32 v3, s40, v26
	; wave barrier
	s_delay_alu instid0(VALU_DEP_1) | instskip(NEXT) | instid1(VALU_DEP_1)
	v_and_b32_e32 v3, s9, v3
	v_and_b32_e32 v5, 1, v3
	v_lshlrev_b32_e32 v6, 30, v3
	v_lshlrev_b32_e32 v7, 29, v3
	;; [unrolled: 1-line block ×4, first 2 shown]
	v_add_co_u32 v5, s0, v5, -1
	s_wait_alu 0xf1ff
	v_cndmask_b32_e64 v9, 0, 1, s0
	v_not_b32_e32 v75, v6
	v_cmp_gt_i32_e64 s0, 0, v6
	v_not_b32_e32 v6, v7
	v_lshlrev_b32_e32 v72, 26, v3
	v_cmp_ne_u32_e32 vcc_lo, 0, v9
	v_ashrrev_i32_e32 v9, 31, v75
	v_lshlrev_b32_e32 v73, 25, v3
	v_ashrrev_i32_e32 v6, 31, v6
	v_mul_lo_u32 v4, 0x84, v3
	s_wait_alu 0xfffd
	v_xor_b32_e32 v5, vcc_lo, v5
	v_cmp_gt_i32_e32 vcc_lo, 0, v7
	v_not_b32_e32 v7, v8
	s_wait_alu 0xf1ff
	v_xor_b32_e32 v9, s0, v9
	v_cmp_gt_i32_e64 s0, 0, v8
	v_and_b32_e32 v5, exec_lo, v5
	v_not_b32_e32 v8, v58
	v_ashrrev_i32_e32 v7, 31, v7
	s_wait_alu 0xfffd
	v_xor_b32_e32 v6, vcc_lo, v6
	v_cmp_gt_i32_e32 vcc_lo, 0, v58
	v_and_b32_e32 v5, v5, v9
	v_not_b32_e32 v9, v72
	v_ashrrev_i32_e32 v8, 31, v8
	s_wait_alu 0xf1ff
	v_xor_b32_e32 v7, s0, v7
	v_lshlrev_b32_e32 v3, 24, v3
	v_and_b32_e32 v5, v5, v6
	v_cmp_gt_i32_e64 s0, 0, v72
	v_not_b32_e32 v6, v73
	v_ashrrev_i32_e32 v9, 31, v9
	s_wait_alu 0xfffd
	v_xor_b32_e32 v8, vcc_lo, v8
	v_and_b32_e32 v5, v5, v7
	v_cmp_gt_i32_e32 vcc_lo, 0, v73
	v_not_b32_e32 v7, v3
	v_ashrrev_i32_e32 v6, 31, v6
	s_wait_alu 0xf1ff
	v_xor_b32_e32 v9, s0, v9
	v_and_b32_e32 v5, v5, v8
	v_cmp_gt_i32_e64 s0, 0, v3
	v_ashrrev_i32_e32 v3, 31, v7
	s_wait_alu 0xfffd
	v_xor_b32_e32 v6, vcc_lo, v6
	v_add_nc_u32_e32 v77, v2, v4
	v_and_b32_e32 v5, v5, v9
	s_wait_alu 0xf1ff
	v_xor_b32_e32 v2, s0, v3
	ds_load_b32 v72, v77 offset:128
	v_and_b32_e32 v3, v5, v6
	; wave barrier
	s_delay_alu instid0(VALU_DEP_1) | instskip(NEXT) | instid1(VALU_DEP_1)
	v_and_b32_e32 v2, v3, v2
	v_mbcnt_lo_u32_b32 v73, v2, 0
	v_cmp_ne_u32_e64 s0, 0, v2
	s_delay_alu instid0(VALU_DEP_2)
	v_cmp_eq_u32_e32 vcc_lo, 0, v73
	s_and_b32 s1, s0, vcc_lo
	s_wait_alu 0xfffe
	s_and_saveexec_b32 s0, s1
	s_cbranch_execz .LBB217_181
; %bb.180:
	s_wait_dscnt 0x0
	v_bcnt_u32_b32 v2, v2, v72
	ds_store_b32 v77, v2 offset:128
.LBB217_181:
	s_wait_alu 0xfffe
	s_or_b32 exec_lo, exec_lo, s0
	; wave barrier
	s_wait_loadcnt_dscnt 0x0
	s_barrier_signal -1
	s_barrier_wait -1
	global_inv scope:SCOPE_SE
	ds_load_2addr_b32 v[8:9], v29 offset0:32 offset1:33
	ds_load_2addr_b32 v[6:7], v29 offset0:34 offset1:35
	;; [unrolled: 1-line block ×4, first 2 shown]
	ds_load_b32 v58, v29 offset:160
	v_and_b32_e32 v78, 16, v36
	v_and_b32_e32 v79, 31, v1
	s_mov_b32 s5, exec_lo
	s_delay_alu instid0(VALU_DEP_2) | instskip(SKIP_3) | instid1(VALU_DEP_1)
	v_cmp_eq_u32_e64 s3, 0, v78
	s_wait_dscnt 0x3
	v_add3_u32 v75, v9, v8, v6
	s_wait_dscnt 0x2
	v_add3_u32 v75, v75, v7, v4
	s_wait_dscnt 0x1
	s_delay_alu instid0(VALU_DEP_1) | instskip(SKIP_1) | instid1(VALU_DEP_1)
	v_add3_u32 v75, v75, v5, v2
	s_wait_dscnt 0x0
	v_add3_u32 v58, v75, v3, v58
	v_and_b32_e32 v75, 15, v36
	s_delay_alu instid0(VALU_DEP_2) | instskip(NEXT) | instid1(VALU_DEP_2)
	v_mov_b32_dpp v76, v58 row_shr:1 row_mask:0xf bank_mask:0xf
	v_cmp_eq_u32_e32 vcc_lo, 0, v75
	v_cmp_lt_u32_e64 s0, 1, v75
	v_cmp_lt_u32_e64 s1, 3, v75
	;; [unrolled: 1-line block ×3, first 2 shown]
	s_wait_alu 0xfffd
	v_cndmask_b32_e64 v76, v76, 0, vcc_lo
	s_delay_alu instid0(VALU_DEP_1) | instskip(NEXT) | instid1(VALU_DEP_1)
	v_add_nc_u32_e32 v58, v76, v58
	v_mov_b32_dpp v76, v58 row_shr:2 row_mask:0xf bank_mask:0xf
	s_wait_alu 0xf1ff
	s_delay_alu instid0(VALU_DEP_1) | instskip(NEXT) | instid1(VALU_DEP_1)
	v_cndmask_b32_e64 v76, 0, v76, s0
	v_add_nc_u32_e32 v58, v58, v76
	s_delay_alu instid0(VALU_DEP_1) | instskip(NEXT) | instid1(VALU_DEP_1)
	v_mov_b32_dpp v76, v58 row_shr:4 row_mask:0xf bank_mask:0xf
	v_cndmask_b32_e64 v76, 0, v76, s1
	s_delay_alu instid0(VALU_DEP_1) | instskip(NEXT) | instid1(VALU_DEP_1)
	v_add_nc_u32_e32 v58, v58, v76
	v_mov_b32_dpp v76, v58 row_shr:8 row_mask:0xf bank_mask:0xf
	s_delay_alu instid0(VALU_DEP_1) | instskip(SKIP_1) | instid1(VALU_DEP_2)
	v_cndmask_b32_e64 v75, 0, v76, s2
	v_bfe_i32 v76, v36, 4, 1
	v_add_nc_u32_e32 v58, v58, v75
	ds_swizzle_b32 v75, v58 offset:swizzle(BROADCAST,32,15)
	s_wait_dscnt 0x0
	v_and_b32_e32 v75, v76, v75
	v_lshrrev_b32_e32 v76, 5, v1
	s_delay_alu instid0(VALU_DEP_2)
	v_add_nc_u32_e32 v75, v58, v75
	v_cmpx_eq_u32_e32 31, v79
; %bb.182:
	s_delay_alu instid0(VALU_DEP_3)
	v_lshlrev_b32_e32 v58, 2, v76
	ds_store_b32 v58, v75
; %bb.183:
	s_or_b32 exec_lo, exec_lo, s5
	v_cmp_lt_u32_e64 s4, 31, v1
	v_lshlrev_b32_e32 v58, 2, v1
	s_mov_b32 s10, exec_lo
	s_wait_loadcnt_dscnt 0x0
	s_barrier_signal -1
	s_barrier_wait -1
	global_inv scope:SCOPE_SE
	v_cmpx_gt_u32_e32 32, v1
	s_cbranch_execz .LBB217_185
; %bb.184:
	ds_load_b32 v78, v58
	s_wait_dscnt 0x0
	v_mov_b32_dpp v79, v78 row_shr:1 row_mask:0xf bank_mask:0xf
	s_delay_alu instid0(VALU_DEP_1) | instskip(NEXT) | instid1(VALU_DEP_1)
	v_cndmask_b32_e64 v79, v79, 0, vcc_lo
	v_add_nc_u32_e32 v78, v79, v78
	s_delay_alu instid0(VALU_DEP_1) | instskip(NEXT) | instid1(VALU_DEP_1)
	v_mov_b32_dpp v79, v78 row_shr:2 row_mask:0xf bank_mask:0xf
	v_cndmask_b32_e64 v79, 0, v79, s0
	s_delay_alu instid0(VALU_DEP_1) | instskip(NEXT) | instid1(VALU_DEP_1)
	v_add_nc_u32_e32 v78, v78, v79
	v_mov_b32_dpp v79, v78 row_shr:4 row_mask:0xf bank_mask:0xf
	s_delay_alu instid0(VALU_DEP_1) | instskip(NEXT) | instid1(VALU_DEP_1)
	v_cndmask_b32_e64 v79, 0, v79, s1
	v_add_nc_u32_e32 v78, v78, v79
	s_delay_alu instid0(VALU_DEP_1) | instskip(NEXT) | instid1(VALU_DEP_1)
	v_mov_b32_dpp v79, v78 row_shr:8 row_mask:0xf bank_mask:0xf
	v_cndmask_b32_e64 v79, 0, v79, s2
	s_delay_alu instid0(VALU_DEP_1) | instskip(SKIP_3) | instid1(VALU_DEP_1)
	v_add_nc_u32_e32 v78, v78, v79
	ds_swizzle_b32 v79, v78 offset:swizzle(BROADCAST,32,15)
	s_wait_dscnt 0x0
	v_cndmask_b32_e64 v79, v79, 0, s3
	v_add_nc_u32_e32 v78, v78, v79
	ds_store_b32 v58, v78
.LBB217_185:
	s_or_b32 exec_lo, exec_lo, s10
	v_mov_b32_e32 v78, 0
	s_wait_loadcnt_dscnt 0x0
	s_barrier_signal -1
	s_barrier_wait -1
	global_inv scope:SCOPE_SE
	s_and_saveexec_b32 s0, s4
; %bb.186:
	v_lshl_add_u32 v76, v76, 2, -4
	ds_load_b32 v78, v76
; %bb.187:
	s_wait_alu 0xfffe
	s_or_b32 exec_lo, exec_lo, s0
	v_sub_co_u32 v76, vcc_lo, v36, 1
	s_wait_dscnt 0x0
	v_add_nc_u32_e32 v75, v78, v75
	s_delay_alu instid0(VALU_DEP_2) | instskip(SKIP_1) | instid1(VALU_DEP_1)
	v_cmp_gt_i32_e64 s0, 0, v76
	s_wait_alu 0xf1ff
	v_cndmask_b32_e64 v76, v76, v36, s0
	v_cmp_lt_u32_e64 s0, 0xff, v1
	s_delay_alu instid0(VALU_DEP_2)
	v_lshlrev_b32_e32 v76, 2, v76
	ds_bpermute_b32 v75, v76, v75
	s_wait_dscnt 0x0
	s_wait_alu 0xfffd
	v_cndmask_b32_e32 v75, v75, v78, vcc_lo
	v_cmp_ne_u32_e32 vcc_lo, 0, v1
	s_wait_alu 0xfffd
	s_delay_alu instid0(VALU_DEP_2) | instskip(SKIP_1) | instid1(VALU_DEP_2)
	v_cndmask_b32_e32 v75, 0, v75, vcc_lo
	v_cmp_gt_u32_e32 vcc_lo, 0x100, v1
	v_add_nc_u32_e32 v8, v75, v8
	s_delay_alu instid0(VALU_DEP_1) | instskip(NEXT) | instid1(VALU_DEP_1)
	v_add_nc_u32_e32 v9, v8, v9
	v_add_nc_u32_e32 v6, v9, v6
	s_delay_alu instid0(VALU_DEP_1) | instskip(NEXT) | instid1(VALU_DEP_1)
	v_add_nc_u32_e32 v7, v6, v7
	;; [unrolled: 3-line block ×3, first 2 shown]
	v_add_nc_u32_e32 v2, v5, v2
	s_delay_alu instid0(VALU_DEP_1)
	v_add_nc_u32_e32 v3, v2, v3
	ds_store_2addr_b32 v29, v75, v8 offset0:32 offset1:33
	ds_store_2addr_b32 v29, v9, v6 offset0:34 offset1:35
	;; [unrolled: 1-line block ×4, first 2 shown]
	ds_store_b32 v29, v3 offset:160
	s_wait_loadcnt_dscnt 0x0
	s_barrier_signal -1
	s_barrier_wait -1
	global_inv scope:SCOPE_SE
	ds_load_b32 v8, v33 offset:128
	ds_load_b32 v9, v37 offset:128
	;; [unrolled: 1-line block ×16, first 2 shown]
                                        ; implicit-def: $vgpr37
                                        ; implicit-def: $vgpr40
	s_and_saveexec_b32 s2, vcc_lo
	s_cbranch_execz .LBB217_191
; %bb.188:
	v_mul_u32_u24_e32 v2, 0x84, v1
	v_add_nc_u32_e32 v3, 1, v1
	s_mov_b32 s3, exec_lo
	ds_load_b32 v37, v2 offset:128
	v_mov_b32_e32 v2, 0x4000
	v_cmpx_ne_u32_e32 0x100, v3
; %bb.189:
	v_mul_u32_u24_e32 v2, 0x84, v3
	ds_load_b32 v2, v2 offset:128
; %bb.190:
	s_wait_alu 0xfffe
	s_or_b32 exec_lo, exec_lo, s3
	s_wait_dscnt 0x0
	v_sub_nc_u32_e32 v40, v2, v37
.LBB217_191:
	s_wait_alu 0xfffe
	s_or_b32 exec_lo, exec_lo, s2
	v_mov_b32_e32 v3, 0
	s_wait_loadcnt_dscnt 0x0
	s_barrier_signal -1
	s_barrier_wait -1
	global_inv scope:SCOPE_SE
	s_and_saveexec_b32 s1, vcc_lo
	s_cbranch_execz .LBB217_201
; %bb.192:
	v_lshl_add_u32 v2, ttmp9, 8, v1
	v_mov_b32_e32 v65, 0
	s_mov_b32 s2, ttmp9
	s_mov_b32 s3, 0
                                        ; implicit-def: $sgpr4
	s_delay_alu instid0(VALU_DEP_2) | instskip(SKIP_1) | instid1(VALU_DEP_2)
	v_lshlrev_b64_e32 v[4:5], 2, v[2:3]
	v_or_b32_e32 v2, 2.0, v40
	v_add_co_u32 v4, vcc_lo, s34, v4
	s_wait_alu 0xfffd
	s_delay_alu instid0(VALU_DEP_3)
	v_add_co_ci_u32_e64 v5, null, s35, v5, vcc_lo
	global_store_b32 v[4:5], v2, off scope:SCOPE_DEV
	s_branch .LBB217_195
.LBB217_193:                            ;   in Loop: Header=BB217_195 Depth=1
	s_or_b32 exec_lo, exec_lo, s5
.LBB217_194:                            ;   in Loop: Header=BB217_195 Depth=1
	s_delay_alu instid0(SALU_CYCLE_1) | instskip(SKIP_2) | instid1(VALU_DEP_2)
	s_or_b32 exec_lo, exec_lo, s4
	v_and_b32_e32 v6, 0x3fffffff, v2
	v_cmp_gt_i32_e64 s4, -2.0, v2
	v_add_nc_u32_e32 v65, v6, v65
	s_and_b32 s5, exec_lo, s4
	s_delay_alu instid0(SALU_CYCLE_1)
	s_or_b32 s3, s5, s3
	s_wait_alu 0xfffe
	s_and_not1_b32 exec_lo, exec_lo, s3
	s_cbranch_execz .LBB217_200
.LBB217_195:                            ; =>This Loop Header: Depth=1
                                        ;     Child Loop BB217_198 Depth 2
	s_or_b32 s4, s4, exec_lo
	s_wait_alu 0xfffe
	s_cmp_eq_u32 s2, 0
	s_cbranch_scc1 .LBB217_199
; %bb.196:                              ;   in Loop: Header=BB217_195 Depth=1
	s_add_co_i32 s2, s2, -1
	s_mov_b32 s4, exec_lo
	s_wait_alu 0xfffe
	v_lshl_or_b32 v2, s2, 8, v1
	s_delay_alu instid0(VALU_DEP_1) | instskip(NEXT) | instid1(VALU_DEP_1)
	v_lshlrev_b64_e32 v[6:7], 2, v[2:3]
	v_add_co_u32 v6, vcc_lo, s34, v6
	s_wait_alu 0xfffd
	s_delay_alu instid0(VALU_DEP_2)
	v_add_co_ci_u32_e64 v7, null, s35, v7, vcc_lo
	global_load_b32 v2, v[6:7], off scope:SCOPE_DEV
	s_wait_loadcnt 0x0
	v_cmpx_gt_u32_e32 2.0, v2
	s_cbranch_execz .LBB217_194
; %bb.197:                              ;   in Loop: Header=BB217_195 Depth=1
	s_mov_b32 s5, 0
.LBB217_198:                            ;   Parent Loop BB217_195 Depth=1
                                        ; =>  This Inner Loop Header: Depth=2
	global_load_b32 v2, v[6:7], off scope:SCOPE_DEV
	s_wait_loadcnt 0x0
	v_cmp_lt_u32_e32 vcc_lo, 0x3fffffff, v2
	s_or_b32 s5, vcc_lo, s5
	s_delay_alu instid0(SALU_CYCLE_1)
	s_and_not1_b32 exec_lo, exec_lo, s5
	s_cbranch_execnz .LBB217_198
	s_branch .LBB217_193
.LBB217_199:                            ;   in Loop: Header=BB217_195 Depth=1
                                        ; implicit-def: $sgpr2
	s_and_b32 s5, exec_lo, s4
	s_delay_alu instid0(SALU_CYCLE_1)
	s_or_b32 s3, s5, s3
	s_wait_alu 0xfffe
	s_and_not1_b32 exec_lo, exec_lo, s3
	s_cbranch_execnz .LBB217_195
.LBB217_200:
	s_or_b32 exec_lo, exec_lo, s3
	v_add_nc_u32_e32 v2, v65, v40
	v_sub_nc_u32_e32 v3, v65, v37
	s_delay_alu instid0(VALU_DEP_2)
	v_or_b32_e32 v2, 0x80000000, v2
	global_store_b32 v[4:5], v2, off scope:SCOPE_DEV
	global_load_b32 v2, v58, s[36:37]
	s_wait_loadcnt 0x0
	v_add_nc_u32_e32 v2, v3, v2
	ds_store_b32 v58, v2
.LBB217_201:
	s_wait_alu 0xfffe
	s_or_b32 exec_lo, exec_lo, s1
	v_dual_mov_b32 v3, 0 :: v_dual_add_nc_u32 v0, v43, v0
	v_or_b32_e32 v4, 0x1c00, v1
	v_add3_u32 v43, v73, v62, v72
	v_add3_u32 v46, v70, v46, v69
	;; [unrolled: 1-line block ×15, first 2 shown]
	s_mov_b32 s2, 32
	s_mov_b32 s3, 0
	s_mov_b32 s5, -1
	s_mov_b32 s4, 0
.LBB217_202:                            ; =>This Inner Loop Header: Depth=1
	s_delay_alu instid0(SALU_CYCLE_1)
	v_add_nc_u32_e32 v2, s4, v0
	v_add_nc_u32_e32 v5, s4, v45
	;; [unrolled: 1-line block ×16, first 2 shown]
	v_min_u32_e32 v2, 0x2000, v2
	v_min_u32_e32 v5, 0x2000, v5
	v_min_u32_e32 v6, 0x2000, v6
	v_min_u32_e32 v7, 0x2000, v7
	v_min_u32_e32 v8, 0x2000, v8
	v_min_u32_e32 v31, 0x2000, v31
	v_min_u32_e32 v32, 0x2000, v32
	v_min_u32_e32 v33, 0x2000, v33
	v_min_u32_e32 v34, 0x2000, v34
	v_min_u32_e32 v9, 0x2000, v9
	v_min_u32_e32 v27, 0x2000, v27
	v_min_u32_e32 v28, 0x2000, v28
	v_min_u32_e32 v29, 0x2000, v29
	v_min_u32_e32 v30, 0x2000, v30
	v_min_u32_e32 v35, 0x2000, v35
	v_min_u32_e32 v48, 0x2000, v48
	v_lshlrev_b32_e32 v2, 2, v2
	v_lshlrev_b32_e32 v5, 2, v5
	v_lshlrev_b32_e32 v6, 2, v6
	v_lshlrev_b32_e32 v7, 2, v7
	v_lshlrev_b32_e32 v8, 2, v8
	v_lshlrev_b32_e32 v31, 2, v31
	v_lshlrev_b32_e32 v32, 2, v32
	v_lshlrev_b32_e32 v33, 2, v33
	v_lshlrev_b32_e32 v34, 2, v34
	v_lshlrev_b32_e32 v9, 2, v9
	v_lshlrev_b32_e32 v27, 2, v27
	v_lshlrev_b32_e32 v28, 2, v28
	v_lshlrev_b32_e32 v29, 2, v29
	v_lshlrev_b32_e32 v30, 2, v30
	v_lshlrev_b32_e32 v35, 2, v35
	v_lshlrev_b32_e32 v48, 2, v48
	ds_store_b32 v2, v11 offset:1024
	ds_store_b32 v5, v12 offset:1024
	;; [unrolled: 1-line block ×16, first 2 shown]
	s_wait_storecnt 0x0
	s_wait_loadcnt_dscnt 0x0
	s_barrier_signal -1
	s_barrier_wait -1
	global_inv scope:SCOPE_SE
	ds_load_2addr_stride64_b32 v[31:32], v58 offset0:4 offset1:20
	ds_load_2addr_stride64_b32 v[33:34], v58 offset0:36 offset1:52
	ds_load_2addr_stride64_b32 v[59:60], v58 offset0:68 offset1:84
	ds_load_2addr_stride64_b32 v[61:62], v58 offset0:100 offset1:116
	s_addk_co_i32 s4, 0xe000
	s_and_b32 vcc_lo, exec_lo, s5
	s_mov_b32 s5, 0
	s_wait_dscnt 0x3
	v_lshrrev_b32_e32 v2, s40, v31
	v_lshrrev_b32_e32 v6, s40, v32
	s_wait_dscnt 0x2
	v_lshrrev_b32_e32 v7, s40, v33
	v_lshrrev_b32_e32 v8, s40, v34
	;; [unrolled: 3-line block ×4, first 2 shown]
	v_and_b32_e32 v5, s9, v2
	v_and_b32_e32 v6, s9, v6
	;; [unrolled: 1-line block ×8, first 2 shown]
	v_lshlrev_b32_e32 v2, 2, v5
	v_lshlrev_b32_e32 v9, 2, v6
	;; [unrolled: 1-line block ×5, first 2 shown]
	s_clause 0x1
	scratch_store_b128 off, v[5:8], s3
	scratch_store_b128 off, v[27:30], s3 offset:16
	v_lshlrev_b32_e32 v54, 2, v28
	v_lshlrev_b32_e32 v57, 2, v29
	;; [unrolled: 1-line block ×3, first 2 shown]
	ds_load_b32 v2, v2
	ds_load_b32 v7, v9
	;; [unrolled: 1-line block ×8, first 2 shown]
	s_wait_alu 0xfffe
	s_mov_b32 s3, s2
	s_wait_dscnt 0x7
	v_add3_u32 v2, v4, v2, 0xffffe400
	s_delay_alu instid0(VALU_DEP_1) | instskip(SKIP_2) | instid1(VALU_DEP_1)
	v_lshlrev_b64_e32 v[5:6], 2, v[2:3]
	s_wait_dscnt 0x6
	v_add3_u32 v2, v4, v7, 0xffffe800
	v_lshlrev_b64_e32 v[7:8], 2, v[2:3]
	s_wait_dscnt 0x5
	v_add3_u32 v2, v4, v9, 0xffffec00
	v_add_co_u32 v5, s1, s26, v5
	s_wait_alu 0xf1ff
	v_add_co_ci_u32_e64 v6, null, s27, v6, s1
	s_delay_alu instid0(VALU_DEP_3)
	v_lshlrev_b64_e32 v[27:28], 2, v[2:3]
	s_wait_dscnt 0x4
	v_add3_u32 v2, v4, v29, 0xfffff000
	v_add_co_u32 v7, s1, s26, v7
	s_wait_alu 0xf1ff
	v_add_co_ci_u32_e64 v8, null, s27, v8, s1
	global_store_b32 v[5:6], v31, off
	v_lshlrev_b64_e32 v[5:6], 2, v[2:3]
	s_wait_dscnt 0x3
	v_add3_u32 v2, v4, v30, 0xfffff400
	global_store_b32 v[7:8], v32, off
	v_add_co_u32 v7, s1, s26, v27
	s_wait_alu 0xf1ff
	v_add_co_ci_u32_e64 v8, null, s27, v28, s1
	v_lshlrev_b64_e32 v[27:28], 2, v[2:3]
	s_wait_dscnt 0x2
	v_add3_u32 v2, v4, v35, 0xfffff800
	v_add_co_u32 v5, s1, s26, v5
	s_wait_alu 0xf1ff
	v_add_co_ci_u32_e64 v6, null, s27, v6, s1
	global_store_b32 v[7:8], v33, off
	v_lshlrev_b64_e32 v[7:8], 2, v[2:3]
	s_wait_dscnt 0x1
	v_add3_u32 v2, v4, v48, 0xfffffc00
	global_store_b32 v[5:6], v34, off
	v_add_co_u32 v5, s1, s26, v27
	s_wait_alu 0xf1ff
	v_add_co_ci_u32_e64 v6, null, s27, v28, s1
	v_lshlrev_b64_e32 v[27:28], 2, v[2:3]
	s_wait_dscnt 0x0
	v_add_nc_u32_e32 v2, v4, v51
	v_add_co_u32 v7, s1, s26, v7
	s_wait_alu 0xf1ff
	v_add_co_ci_u32_e64 v8, null, s27, v8, s1
	global_store_b32 v[5:6], v59, off
	v_lshlrev_b64_e32 v[5:6], 2, v[2:3]
	v_add_nc_u32_e32 v4, 0x2000, v4
	global_store_b32 v[7:8], v60, off
	v_add_co_u32 v7, s1, s26, v27
	s_wait_alu 0xf1ff
	v_add_co_ci_u32_e64 v8, null, s27, v28, s1
	v_add_co_u32 v5, s1, s26, v5
	s_wait_alu 0xf1ff
	v_add_co_ci_u32_e64 v6, null, s27, v6, s1
	s_clause 0x1
	global_store_b32 v[7:8], v61, off
	global_store_b32 v[5:6], v62, off
	s_wait_loadcnt 0x0
	s_wait_storecnt 0x0
	s_barrier_signal -1
	s_barrier_wait -1
	global_inv scope:SCOPE_SE
	s_cbranch_vccnz .LBB217_202
; %bb.203:
	v_dual_mov_b32 v35, 0 :: v_dual_lshlrev_b32 v2, 3, v36
	s_lshl_b64 s[2:3], s[6:7], 3
	v_lshlrev_b32_e32 v3, 3, v10
	s_wait_alu 0xfffe
	s_add_nc_u64 s[2:3], s[28:29], s[2:3]
	v_lshlrev_b32_e32 v36, 3, v1
	s_wait_alu 0xfffe
	v_add_co_u32 v2, s1, s2, v2
	s_wait_alu 0xf1ff
	v_add_co_ci_u32_e64 v4, null, s3, 0, s1
	v_or_b32_e32 v1, 0xc00, v1
	s_delay_alu instid0(VALU_DEP_3) | instskip(SKIP_1) | instid1(VALU_DEP_3)
	v_add_co_u32 v32, vcc_lo, v2, v3
	s_wait_alu 0xfffd
	v_add_co_ci_u32_e64 v33, null, 0, v4, vcc_lo
	s_or_b32 s1, 0, 8
	s_mov_b32 s2, 0
	s_clause 0xf
	global_load_b64 v[2:3], v[32:33], off
	global_load_b64 v[4:5], v[32:33], off offset:256
	global_load_b64 v[6:7], v[32:33], off offset:512
	;; [unrolled: 1-line block ×15, first 2 shown]
.LBB217_204:                            ; =>This Inner Loop Header: Depth=1
	s_wait_alu 0xfffe
	v_add_nc_u32_e32 v34, s2, v0
	v_add_nc_u32_e32 v48, s2, v45
	;; [unrolled: 1-line block ×16, first 2 shown]
	v_min_u32_e32 v34, 0x1000, v34
	v_min_u32_e32 v48, 0x1000, v48
	;; [unrolled: 1-line block ×16, first 2 shown]
	v_lshlrev_b32_e32 v34, 3, v34
	v_lshlrev_b32_e32 v48, 3, v48
	;; [unrolled: 1-line block ×16, first 2 shown]
	s_wait_loadcnt 0xf
	ds_store_b64 v34, v[2:3] offset:1024
	s_wait_loadcnt 0xe
	ds_store_b64 v48, v[4:5] offset:1024
	;; [unrolled: 2-line block ×16, first 2 shown]
	s_wait_dscnt 0x0
	s_barrier_signal -1
	s_barrier_wait -1
	global_inv scope:SCOPE_SE
	scratch_load_b128 v[59:62], off, s1 offset:-8
	ds_load_2addr_stride64_b64 v[63:66], v36 offset0:2 offset1:18
	ds_load_2addr_stride64_b64 v[67:70], v36 offset0:34 offset1:50
	s_addk_co_i32 s2, 0xf000
	s_add_co_i32 s1, s1, 16
	s_wait_alu 0xfffe
	s_cmp_lg_u32 s2, 0xffffc000
	s_wait_loadcnt 0x0
	v_lshlrev_b32_e32 v34, 2, v59
	v_lshlrev_b32_e32 v48, 2, v60
	;; [unrolled: 1-line block ×4, first 2 shown]
	ds_load_b32 v34, v34
	ds_load_b32 v48, v48
	;; [unrolled: 1-line block ×4, first 2 shown]
	s_wait_dscnt 0x3
	v_add3_u32 v34, v1, v34, 0xfffff400
	s_delay_alu instid0(VALU_DEP_1) | instskip(SKIP_2) | instid1(VALU_DEP_1)
	v_lshlrev_b64_e32 v[59:60], 3, v[34:35]
	s_wait_dscnt 0x2
	v_add3_u32 v34, v1, v48, 0xfffff800
	v_lshlrev_b64_e32 v[61:62], 3, v[34:35]
	s_wait_dscnt 0x1
	v_add3_u32 v34, v1, v51, 0xfffffc00
	v_add_co_u32 v59, vcc_lo, s30, v59
	s_wait_alu 0xfffd
	v_add_co_ci_u32_e64 v60, null, s31, v60, vcc_lo
	s_delay_alu instid0(VALU_DEP_3)
	v_lshlrev_b64_e32 v[71:72], 3, v[34:35]
	s_wait_dscnt 0x0
	v_add_nc_u32_e32 v34, v1, v54
	v_add_co_u32 v61, vcc_lo, s30, v61
	s_wait_alu 0xfffd
	v_add_co_ci_u32_e64 v62, null, s31, v62, vcc_lo
	global_store_b64 v[59:60], v[63:64], off
	v_lshlrev_b64_e32 v[59:60], 3, v[34:35]
	v_add_nc_u32_e32 v1, 0x1000, v1
	global_store_b64 v[61:62], v[65:66], off
	v_add_co_u32 v61, vcc_lo, s30, v71
	s_wait_alu 0xfffd
	v_add_co_ci_u32_e64 v62, null, s31, v72, vcc_lo
	v_add_co_u32 v59, vcc_lo, s30, v59
	s_wait_alu 0xfffd
	v_add_co_ci_u32_e64 v60, null, s31, v60, vcc_lo
	s_clause 0x1
	global_store_b64 v[61:62], v[67:68], off
	global_store_b64 v[59:60], v[69:70], off
	s_wait_storecnt 0x0
	s_barrier_signal -1
	s_barrier_wait -1
	global_inv scope:SCOPE_SE
	s_cbranch_scc1 .LBB217_204
; %bb.205:
	s_add_co_i32 s8, s8, -1
	s_wait_alu 0xfffe
	s_cmp_eq_u32 ttmp9, s8
	s_cselect_b32 s1, -1, 0
	s_xor_b32 s0, s0, -1
	s_wait_alu 0xfffe
	s_and_b32 s0, s0, s1
	s_wait_alu 0xfffe
	s_and_saveexec_b32 s1, s0
	s_cbranch_execz .LBB217_207
; %bb.206:
	ds_load_b32 v0, v58
	s_wait_dscnt 0x0
	v_add3_u32 v0, v37, v40, v0
	global_store_b32 v58, v0, s[38:39]
.LBB217_207:
	s_endpgm
	.section	.rodata,"a",@progbits
	.p2align	6, 0x0
	.amdhsa_kernel _ZN7rocprim17ROCPRIM_400000_NS6detail17trampoline_kernelINS0_14default_configENS1_35radix_sort_onesweep_config_selectorIjN6thrust23THRUST_200600_302600_NS5tupleIffNS6_9null_typeES8_S8_S8_S8_S8_S8_S8_EEEEZZNS1_29radix_sort_onesweep_iterationIS3_Lb0ENS6_6detail15normal_iteratorINS6_10device_ptrIjEEEESG_NSD_INSE_IS9_EEEESI_jNS0_19identity_decomposerENS1_16block_id_wrapperIjLb0EEEEE10hipError_tT1_PNSt15iterator_traitsISN_E10value_typeET2_T3_PNSO_IST_E10value_typeET4_T5_PSY_SZ_PNS1_23onesweep_lookback_stateEbbT6_jjT7_P12ihipStream_tbENKUlT_T0_SN_SS_E_clISG_PjSI_PS9_EEDaS16_S17_SN_SS_EUlS16_E_NS1_11comp_targetILNS1_3genE10ELNS1_11target_archE1201ELNS1_3gpuE5ELNS1_3repE0EEENS1_47radix_sort_onesweep_sort_config_static_selectorELNS0_4arch9wavefront6targetE0EEEvSN_
		.amdhsa_group_segment_fixed_size 37000
		.amdhsa_private_segment_fixed_size 80
		.amdhsa_kernarg_size 344
		.amdhsa_user_sgpr_count 2
		.amdhsa_user_sgpr_dispatch_ptr 0
		.amdhsa_user_sgpr_queue_ptr 0
		.amdhsa_user_sgpr_kernarg_segment_ptr 1
		.amdhsa_user_sgpr_dispatch_id 0
		.amdhsa_user_sgpr_private_segment_size 0
		.amdhsa_wavefront_size32 1
		.amdhsa_uses_dynamic_stack 0
		.amdhsa_enable_private_segment 1
		.amdhsa_system_sgpr_workgroup_id_x 1
		.amdhsa_system_sgpr_workgroup_id_y 0
		.amdhsa_system_sgpr_workgroup_id_z 0
		.amdhsa_system_sgpr_workgroup_info 0
		.amdhsa_system_vgpr_workitem_id 2
		.amdhsa_next_free_vgpr 81
		.amdhsa_next_free_sgpr 49
		.amdhsa_reserve_vcc 1
		.amdhsa_float_round_mode_32 0
		.amdhsa_float_round_mode_16_64 0
		.amdhsa_float_denorm_mode_32 3
		.amdhsa_float_denorm_mode_16_64 3
		.amdhsa_fp16_overflow 0
		.amdhsa_workgroup_processor_mode 1
		.amdhsa_memory_ordered 1
		.amdhsa_forward_progress 1
		.amdhsa_inst_pref_size 172
		.amdhsa_round_robin_scheduling 0
		.amdhsa_exception_fp_ieee_invalid_op 0
		.amdhsa_exception_fp_denorm_src 0
		.amdhsa_exception_fp_ieee_div_zero 0
		.amdhsa_exception_fp_ieee_overflow 0
		.amdhsa_exception_fp_ieee_underflow 0
		.amdhsa_exception_fp_ieee_inexact 0
		.amdhsa_exception_int_div_zero 0
	.end_amdhsa_kernel
	.section	.text._ZN7rocprim17ROCPRIM_400000_NS6detail17trampoline_kernelINS0_14default_configENS1_35radix_sort_onesweep_config_selectorIjN6thrust23THRUST_200600_302600_NS5tupleIffNS6_9null_typeES8_S8_S8_S8_S8_S8_S8_EEEEZZNS1_29radix_sort_onesweep_iterationIS3_Lb0ENS6_6detail15normal_iteratorINS6_10device_ptrIjEEEESG_NSD_INSE_IS9_EEEESI_jNS0_19identity_decomposerENS1_16block_id_wrapperIjLb0EEEEE10hipError_tT1_PNSt15iterator_traitsISN_E10value_typeET2_T3_PNSO_IST_E10value_typeET4_T5_PSY_SZ_PNS1_23onesweep_lookback_stateEbbT6_jjT7_P12ihipStream_tbENKUlT_T0_SN_SS_E_clISG_PjSI_PS9_EEDaS16_S17_SN_SS_EUlS16_E_NS1_11comp_targetILNS1_3genE10ELNS1_11target_archE1201ELNS1_3gpuE5ELNS1_3repE0EEENS1_47radix_sort_onesweep_sort_config_static_selectorELNS0_4arch9wavefront6targetE0EEEvSN_,"axG",@progbits,_ZN7rocprim17ROCPRIM_400000_NS6detail17trampoline_kernelINS0_14default_configENS1_35radix_sort_onesweep_config_selectorIjN6thrust23THRUST_200600_302600_NS5tupleIffNS6_9null_typeES8_S8_S8_S8_S8_S8_S8_EEEEZZNS1_29radix_sort_onesweep_iterationIS3_Lb0ENS6_6detail15normal_iteratorINS6_10device_ptrIjEEEESG_NSD_INSE_IS9_EEEESI_jNS0_19identity_decomposerENS1_16block_id_wrapperIjLb0EEEEE10hipError_tT1_PNSt15iterator_traitsISN_E10value_typeET2_T3_PNSO_IST_E10value_typeET4_T5_PSY_SZ_PNS1_23onesweep_lookback_stateEbbT6_jjT7_P12ihipStream_tbENKUlT_T0_SN_SS_E_clISG_PjSI_PS9_EEDaS16_S17_SN_SS_EUlS16_E_NS1_11comp_targetILNS1_3genE10ELNS1_11target_archE1201ELNS1_3gpuE5ELNS1_3repE0EEENS1_47radix_sort_onesweep_sort_config_static_selectorELNS0_4arch9wavefront6targetE0EEEvSN_,comdat
.Lfunc_end217:
	.size	_ZN7rocprim17ROCPRIM_400000_NS6detail17trampoline_kernelINS0_14default_configENS1_35radix_sort_onesweep_config_selectorIjN6thrust23THRUST_200600_302600_NS5tupleIffNS6_9null_typeES8_S8_S8_S8_S8_S8_S8_EEEEZZNS1_29radix_sort_onesweep_iterationIS3_Lb0ENS6_6detail15normal_iteratorINS6_10device_ptrIjEEEESG_NSD_INSE_IS9_EEEESI_jNS0_19identity_decomposerENS1_16block_id_wrapperIjLb0EEEEE10hipError_tT1_PNSt15iterator_traitsISN_E10value_typeET2_T3_PNSO_IST_E10value_typeET4_T5_PSY_SZ_PNS1_23onesweep_lookback_stateEbbT6_jjT7_P12ihipStream_tbENKUlT_T0_SN_SS_E_clISG_PjSI_PS9_EEDaS16_S17_SN_SS_EUlS16_E_NS1_11comp_targetILNS1_3genE10ELNS1_11target_archE1201ELNS1_3gpuE5ELNS1_3repE0EEENS1_47radix_sort_onesweep_sort_config_static_selectorELNS0_4arch9wavefront6targetE0EEEvSN_, .Lfunc_end217-_ZN7rocprim17ROCPRIM_400000_NS6detail17trampoline_kernelINS0_14default_configENS1_35radix_sort_onesweep_config_selectorIjN6thrust23THRUST_200600_302600_NS5tupleIffNS6_9null_typeES8_S8_S8_S8_S8_S8_S8_EEEEZZNS1_29radix_sort_onesweep_iterationIS3_Lb0ENS6_6detail15normal_iteratorINS6_10device_ptrIjEEEESG_NSD_INSE_IS9_EEEESI_jNS0_19identity_decomposerENS1_16block_id_wrapperIjLb0EEEEE10hipError_tT1_PNSt15iterator_traitsISN_E10value_typeET2_T3_PNSO_IST_E10value_typeET4_T5_PSY_SZ_PNS1_23onesweep_lookback_stateEbbT6_jjT7_P12ihipStream_tbENKUlT_T0_SN_SS_E_clISG_PjSI_PS9_EEDaS16_S17_SN_SS_EUlS16_E_NS1_11comp_targetILNS1_3genE10ELNS1_11target_archE1201ELNS1_3gpuE5ELNS1_3repE0EEENS1_47radix_sort_onesweep_sort_config_static_selectorELNS0_4arch9wavefront6targetE0EEEvSN_
                                        ; -- End function
	.set _ZN7rocprim17ROCPRIM_400000_NS6detail17trampoline_kernelINS0_14default_configENS1_35radix_sort_onesweep_config_selectorIjN6thrust23THRUST_200600_302600_NS5tupleIffNS6_9null_typeES8_S8_S8_S8_S8_S8_S8_EEEEZZNS1_29radix_sort_onesweep_iterationIS3_Lb0ENS6_6detail15normal_iteratorINS6_10device_ptrIjEEEESG_NSD_INSE_IS9_EEEESI_jNS0_19identity_decomposerENS1_16block_id_wrapperIjLb0EEEEE10hipError_tT1_PNSt15iterator_traitsISN_E10value_typeET2_T3_PNSO_IST_E10value_typeET4_T5_PSY_SZ_PNS1_23onesweep_lookback_stateEbbT6_jjT7_P12ihipStream_tbENKUlT_T0_SN_SS_E_clISG_PjSI_PS9_EEDaS16_S17_SN_SS_EUlS16_E_NS1_11comp_targetILNS1_3genE10ELNS1_11target_archE1201ELNS1_3gpuE5ELNS1_3repE0EEENS1_47radix_sort_onesweep_sort_config_static_selectorELNS0_4arch9wavefront6targetE0EEEvSN_.num_vgpr, 81
	.set _ZN7rocprim17ROCPRIM_400000_NS6detail17trampoline_kernelINS0_14default_configENS1_35radix_sort_onesweep_config_selectorIjN6thrust23THRUST_200600_302600_NS5tupleIffNS6_9null_typeES8_S8_S8_S8_S8_S8_S8_EEEEZZNS1_29radix_sort_onesweep_iterationIS3_Lb0ENS6_6detail15normal_iteratorINS6_10device_ptrIjEEEESG_NSD_INSE_IS9_EEEESI_jNS0_19identity_decomposerENS1_16block_id_wrapperIjLb0EEEEE10hipError_tT1_PNSt15iterator_traitsISN_E10value_typeET2_T3_PNSO_IST_E10value_typeET4_T5_PSY_SZ_PNS1_23onesweep_lookback_stateEbbT6_jjT7_P12ihipStream_tbENKUlT_T0_SN_SS_E_clISG_PjSI_PS9_EEDaS16_S17_SN_SS_EUlS16_E_NS1_11comp_targetILNS1_3genE10ELNS1_11target_archE1201ELNS1_3gpuE5ELNS1_3repE0EEENS1_47radix_sort_onesweep_sort_config_static_selectorELNS0_4arch9wavefront6targetE0EEEvSN_.num_agpr, 0
	.set _ZN7rocprim17ROCPRIM_400000_NS6detail17trampoline_kernelINS0_14default_configENS1_35radix_sort_onesweep_config_selectorIjN6thrust23THRUST_200600_302600_NS5tupleIffNS6_9null_typeES8_S8_S8_S8_S8_S8_S8_EEEEZZNS1_29radix_sort_onesweep_iterationIS3_Lb0ENS6_6detail15normal_iteratorINS6_10device_ptrIjEEEESG_NSD_INSE_IS9_EEEESI_jNS0_19identity_decomposerENS1_16block_id_wrapperIjLb0EEEEE10hipError_tT1_PNSt15iterator_traitsISN_E10value_typeET2_T3_PNSO_IST_E10value_typeET4_T5_PSY_SZ_PNS1_23onesweep_lookback_stateEbbT6_jjT7_P12ihipStream_tbENKUlT_T0_SN_SS_E_clISG_PjSI_PS9_EEDaS16_S17_SN_SS_EUlS16_E_NS1_11comp_targetILNS1_3genE10ELNS1_11target_archE1201ELNS1_3gpuE5ELNS1_3repE0EEENS1_47radix_sort_onesweep_sort_config_static_selectorELNS0_4arch9wavefront6targetE0EEEvSN_.numbered_sgpr, 49
	.set _ZN7rocprim17ROCPRIM_400000_NS6detail17trampoline_kernelINS0_14default_configENS1_35radix_sort_onesweep_config_selectorIjN6thrust23THRUST_200600_302600_NS5tupleIffNS6_9null_typeES8_S8_S8_S8_S8_S8_S8_EEEEZZNS1_29radix_sort_onesweep_iterationIS3_Lb0ENS6_6detail15normal_iteratorINS6_10device_ptrIjEEEESG_NSD_INSE_IS9_EEEESI_jNS0_19identity_decomposerENS1_16block_id_wrapperIjLb0EEEEE10hipError_tT1_PNSt15iterator_traitsISN_E10value_typeET2_T3_PNSO_IST_E10value_typeET4_T5_PSY_SZ_PNS1_23onesweep_lookback_stateEbbT6_jjT7_P12ihipStream_tbENKUlT_T0_SN_SS_E_clISG_PjSI_PS9_EEDaS16_S17_SN_SS_EUlS16_E_NS1_11comp_targetILNS1_3genE10ELNS1_11target_archE1201ELNS1_3gpuE5ELNS1_3repE0EEENS1_47radix_sort_onesweep_sort_config_static_selectorELNS0_4arch9wavefront6targetE0EEEvSN_.num_named_barrier, 0
	.set _ZN7rocprim17ROCPRIM_400000_NS6detail17trampoline_kernelINS0_14default_configENS1_35radix_sort_onesweep_config_selectorIjN6thrust23THRUST_200600_302600_NS5tupleIffNS6_9null_typeES8_S8_S8_S8_S8_S8_S8_EEEEZZNS1_29radix_sort_onesweep_iterationIS3_Lb0ENS6_6detail15normal_iteratorINS6_10device_ptrIjEEEESG_NSD_INSE_IS9_EEEESI_jNS0_19identity_decomposerENS1_16block_id_wrapperIjLb0EEEEE10hipError_tT1_PNSt15iterator_traitsISN_E10value_typeET2_T3_PNSO_IST_E10value_typeET4_T5_PSY_SZ_PNS1_23onesweep_lookback_stateEbbT6_jjT7_P12ihipStream_tbENKUlT_T0_SN_SS_E_clISG_PjSI_PS9_EEDaS16_S17_SN_SS_EUlS16_E_NS1_11comp_targetILNS1_3genE10ELNS1_11target_archE1201ELNS1_3gpuE5ELNS1_3repE0EEENS1_47radix_sort_onesweep_sort_config_static_selectorELNS0_4arch9wavefront6targetE0EEEvSN_.private_seg_size, 80
	.set _ZN7rocprim17ROCPRIM_400000_NS6detail17trampoline_kernelINS0_14default_configENS1_35radix_sort_onesweep_config_selectorIjN6thrust23THRUST_200600_302600_NS5tupleIffNS6_9null_typeES8_S8_S8_S8_S8_S8_S8_EEEEZZNS1_29radix_sort_onesweep_iterationIS3_Lb0ENS6_6detail15normal_iteratorINS6_10device_ptrIjEEEESG_NSD_INSE_IS9_EEEESI_jNS0_19identity_decomposerENS1_16block_id_wrapperIjLb0EEEEE10hipError_tT1_PNSt15iterator_traitsISN_E10value_typeET2_T3_PNSO_IST_E10value_typeET4_T5_PSY_SZ_PNS1_23onesweep_lookback_stateEbbT6_jjT7_P12ihipStream_tbENKUlT_T0_SN_SS_E_clISG_PjSI_PS9_EEDaS16_S17_SN_SS_EUlS16_E_NS1_11comp_targetILNS1_3genE10ELNS1_11target_archE1201ELNS1_3gpuE5ELNS1_3repE0EEENS1_47radix_sort_onesweep_sort_config_static_selectorELNS0_4arch9wavefront6targetE0EEEvSN_.uses_vcc, 1
	.set _ZN7rocprim17ROCPRIM_400000_NS6detail17trampoline_kernelINS0_14default_configENS1_35radix_sort_onesweep_config_selectorIjN6thrust23THRUST_200600_302600_NS5tupleIffNS6_9null_typeES8_S8_S8_S8_S8_S8_S8_EEEEZZNS1_29radix_sort_onesweep_iterationIS3_Lb0ENS6_6detail15normal_iteratorINS6_10device_ptrIjEEEESG_NSD_INSE_IS9_EEEESI_jNS0_19identity_decomposerENS1_16block_id_wrapperIjLb0EEEEE10hipError_tT1_PNSt15iterator_traitsISN_E10value_typeET2_T3_PNSO_IST_E10value_typeET4_T5_PSY_SZ_PNS1_23onesweep_lookback_stateEbbT6_jjT7_P12ihipStream_tbENKUlT_T0_SN_SS_E_clISG_PjSI_PS9_EEDaS16_S17_SN_SS_EUlS16_E_NS1_11comp_targetILNS1_3genE10ELNS1_11target_archE1201ELNS1_3gpuE5ELNS1_3repE0EEENS1_47radix_sort_onesweep_sort_config_static_selectorELNS0_4arch9wavefront6targetE0EEEvSN_.uses_flat_scratch, 1
	.set _ZN7rocprim17ROCPRIM_400000_NS6detail17trampoline_kernelINS0_14default_configENS1_35radix_sort_onesweep_config_selectorIjN6thrust23THRUST_200600_302600_NS5tupleIffNS6_9null_typeES8_S8_S8_S8_S8_S8_S8_EEEEZZNS1_29radix_sort_onesweep_iterationIS3_Lb0ENS6_6detail15normal_iteratorINS6_10device_ptrIjEEEESG_NSD_INSE_IS9_EEEESI_jNS0_19identity_decomposerENS1_16block_id_wrapperIjLb0EEEEE10hipError_tT1_PNSt15iterator_traitsISN_E10value_typeET2_T3_PNSO_IST_E10value_typeET4_T5_PSY_SZ_PNS1_23onesweep_lookback_stateEbbT6_jjT7_P12ihipStream_tbENKUlT_T0_SN_SS_E_clISG_PjSI_PS9_EEDaS16_S17_SN_SS_EUlS16_E_NS1_11comp_targetILNS1_3genE10ELNS1_11target_archE1201ELNS1_3gpuE5ELNS1_3repE0EEENS1_47radix_sort_onesweep_sort_config_static_selectorELNS0_4arch9wavefront6targetE0EEEvSN_.has_dyn_sized_stack, 0
	.set _ZN7rocprim17ROCPRIM_400000_NS6detail17trampoline_kernelINS0_14default_configENS1_35radix_sort_onesweep_config_selectorIjN6thrust23THRUST_200600_302600_NS5tupleIffNS6_9null_typeES8_S8_S8_S8_S8_S8_S8_EEEEZZNS1_29radix_sort_onesweep_iterationIS3_Lb0ENS6_6detail15normal_iteratorINS6_10device_ptrIjEEEESG_NSD_INSE_IS9_EEEESI_jNS0_19identity_decomposerENS1_16block_id_wrapperIjLb0EEEEE10hipError_tT1_PNSt15iterator_traitsISN_E10value_typeET2_T3_PNSO_IST_E10value_typeET4_T5_PSY_SZ_PNS1_23onesweep_lookback_stateEbbT6_jjT7_P12ihipStream_tbENKUlT_T0_SN_SS_E_clISG_PjSI_PS9_EEDaS16_S17_SN_SS_EUlS16_E_NS1_11comp_targetILNS1_3genE10ELNS1_11target_archE1201ELNS1_3gpuE5ELNS1_3repE0EEENS1_47radix_sort_onesweep_sort_config_static_selectorELNS0_4arch9wavefront6targetE0EEEvSN_.has_recursion, 0
	.set _ZN7rocprim17ROCPRIM_400000_NS6detail17trampoline_kernelINS0_14default_configENS1_35radix_sort_onesweep_config_selectorIjN6thrust23THRUST_200600_302600_NS5tupleIffNS6_9null_typeES8_S8_S8_S8_S8_S8_S8_EEEEZZNS1_29radix_sort_onesweep_iterationIS3_Lb0ENS6_6detail15normal_iteratorINS6_10device_ptrIjEEEESG_NSD_INSE_IS9_EEEESI_jNS0_19identity_decomposerENS1_16block_id_wrapperIjLb0EEEEE10hipError_tT1_PNSt15iterator_traitsISN_E10value_typeET2_T3_PNSO_IST_E10value_typeET4_T5_PSY_SZ_PNS1_23onesweep_lookback_stateEbbT6_jjT7_P12ihipStream_tbENKUlT_T0_SN_SS_E_clISG_PjSI_PS9_EEDaS16_S17_SN_SS_EUlS16_E_NS1_11comp_targetILNS1_3genE10ELNS1_11target_archE1201ELNS1_3gpuE5ELNS1_3repE0EEENS1_47radix_sort_onesweep_sort_config_static_selectorELNS0_4arch9wavefront6targetE0EEEvSN_.has_indirect_call, 0
	.section	.AMDGPU.csdata,"",@progbits
; Kernel info:
; codeLenInByte = 21936
; TotalNumSgprs: 51
; NumVgprs: 81
; ScratchSize: 80
; MemoryBound: 0
; FloatMode: 240
; IeeeMode: 1
; LDSByteSize: 37000 bytes/workgroup (compile time only)
; SGPRBlocks: 0
; VGPRBlocks: 10
; NumSGPRsForWavesPerEU: 51
; NumVGPRsForWavesPerEU: 81
; Occupancy: 16
; WaveLimiterHint : 1
; COMPUTE_PGM_RSRC2:SCRATCH_EN: 1
; COMPUTE_PGM_RSRC2:USER_SGPR: 2
; COMPUTE_PGM_RSRC2:TRAP_HANDLER: 0
; COMPUTE_PGM_RSRC2:TGID_X_EN: 1
; COMPUTE_PGM_RSRC2:TGID_Y_EN: 0
; COMPUTE_PGM_RSRC2:TGID_Z_EN: 0
; COMPUTE_PGM_RSRC2:TIDIG_COMP_CNT: 2
	.section	.text._ZN7rocprim17ROCPRIM_400000_NS6detail17trampoline_kernelINS0_14default_configENS1_35radix_sort_onesweep_config_selectorIjN6thrust23THRUST_200600_302600_NS5tupleIffNS6_9null_typeES8_S8_S8_S8_S8_S8_S8_EEEEZZNS1_29radix_sort_onesweep_iterationIS3_Lb0ENS6_6detail15normal_iteratorINS6_10device_ptrIjEEEESG_NSD_INSE_IS9_EEEESI_jNS0_19identity_decomposerENS1_16block_id_wrapperIjLb0EEEEE10hipError_tT1_PNSt15iterator_traitsISN_E10value_typeET2_T3_PNSO_IST_E10value_typeET4_T5_PSY_SZ_PNS1_23onesweep_lookback_stateEbbT6_jjT7_P12ihipStream_tbENKUlT_T0_SN_SS_E_clISG_PjSI_PS9_EEDaS16_S17_SN_SS_EUlS16_E_NS1_11comp_targetILNS1_3genE9ELNS1_11target_archE1100ELNS1_3gpuE3ELNS1_3repE0EEENS1_47radix_sort_onesweep_sort_config_static_selectorELNS0_4arch9wavefront6targetE0EEEvSN_,"axG",@progbits,_ZN7rocprim17ROCPRIM_400000_NS6detail17trampoline_kernelINS0_14default_configENS1_35radix_sort_onesweep_config_selectorIjN6thrust23THRUST_200600_302600_NS5tupleIffNS6_9null_typeES8_S8_S8_S8_S8_S8_S8_EEEEZZNS1_29radix_sort_onesweep_iterationIS3_Lb0ENS6_6detail15normal_iteratorINS6_10device_ptrIjEEEESG_NSD_INSE_IS9_EEEESI_jNS0_19identity_decomposerENS1_16block_id_wrapperIjLb0EEEEE10hipError_tT1_PNSt15iterator_traitsISN_E10value_typeET2_T3_PNSO_IST_E10value_typeET4_T5_PSY_SZ_PNS1_23onesweep_lookback_stateEbbT6_jjT7_P12ihipStream_tbENKUlT_T0_SN_SS_E_clISG_PjSI_PS9_EEDaS16_S17_SN_SS_EUlS16_E_NS1_11comp_targetILNS1_3genE9ELNS1_11target_archE1100ELNS1_3gpuE3ELNS1_3repE0EEENS1_47radix_sort_onesweep_sort_config_static_selectorELNS0_4arch9wavefront6targetE0EEEvSN_,comdat
	.protected	_ZN7rocprim17ROCPRIM_400000_NS6detail17trampoline_kernelINS0_14default_configENS1_35radix_sort_onesweep_config_selectorIjN6thrust23THRUST_200600_302600_NS5tupleIffNS6_9null_typeES8_S8_S8_S8_S8_S8_S8_EEEEZZNS1_29radix_sort_onesweep_iterationIS3_Lb0ENS6_6detail15normal_iteratorINS6_10device_ptrIjEEEESG_NSD_INSE_IS9_EEEESI_jNS0_19identity_decomposerENS1_16block_id_wrapperIjLb0EEEEE10hipError_tT1_PNSt15iterator_traitsISN_E10value_typeET2_T3_PNSO_IST_E10value_typeET4_T5_PSY_SZ_PNS1_23onesweep_lookback_stateEbbT6_jjT7_P12ihipStream_tbENKUlT_T0_SN_SS_E_clISG_PjSI_PS9_EEDaS16_S17_SN_SS_EUlS16_E_NS1_11comp_targetILNS1_3genE9ELNS1_11target_archE1100ELNS1_3gpuE3ELNS1_3repE0EEENS1_47radix_sort_onesweep_sort_config_static_selectorELNS0_4arch9wavefront6targetE0EEEvSN_ ; -- Begin function _ZN7rocprim17ROCPRIM_400000_NS6detail17trampoline_kernelINS0_14default_configENS1_35radix_sort_onesweep_config_selectorIjN6thrust23THRUST_200600_302600_NS5tupleIffNS6_9null_typeES8_S8_S8_S8_S8_S8_S8_EEEEZZNS1_29radix_sort_onesweep_iterationIS3_Lb0ENS6_6detail15normal_iteratorINS6_10device_ptrIjEEEESG_NSD_INSE_IS9_EEEESI_jNS0_19identity_decomposerENS1_16block_id_wrapperIjLb0EEEEE10hipError_tT1_PNSt15iterator_traitsISN_E10value_typeET2_T3_PNSO_IST_E10value_typeET4_T5_PSY_SZ_PNS1_23onesweep_lookback_stateEbbT6_jjT7_P12ihipStream_tbENKUlT_T0_SN_SS_E_clISG_PjSI_PS9_EEDaS16_S17_SN_SS_EUlS16_E_NS1_11comp_targetILNS1_3genE9ELNS1_11target_archE1100ELNS1_3gpuE3ELNS1_3repE0EEENS1_47radix_sort_onesweep_sort_config_static_selectorELNS0_4arch9wavefront6targetE0EEEvSN_
	.globl	_ZN7rocprim17ROCPRIM_400000_NS6detail17trampoline_kernelINS0_14default_configENS1_35radix_sort_onesweep_config_selectorIjN6thrust23THRUST_200600_302600_NS5tupleIffNS6_9null_typeES8_S8_S8_S8_S8_S8_S8_EEEEZZNS1_29radix_sort_onesweep_iterationIS3_Lb0ENS6_6detail15normal_iteratorINS6_10device_ptrIjEEEESG_NSD_INSE_IS9_EEEESI_jNS0_19identity_decomposerENS1_16block_id_wrapperIjLb0EEEEE10hipError_tT1_PNSt15iterator_traitsISN_E10value_typeET2_T3_PNSO_IST_E10value_typeET4_T5_PSY_SZ_PNS1_23onesweep_lookback_stateEbbT6_jjT7_P12ihipStream_tbENKUlT_T0_SN_SS_E_clISG_PjSI_PS9_EEDaS16_S17_SN_SS_EUlS16_E_NS1_11comp_targetILNS1_3genE9ELNS1_11target_archE1100ELNS1_3gpuE3ELNS1_3repE0EEENS1_47radix_sort_onesweep_sort_config_static_selectorELNS0_4arch9wavefront6targetE0EEEvSN_
	.p2align	8
	.type	_ZN7rocprim17ROCPRIM_400000_NS6detail17trampoline_kernelINS0_14default_configENS1_35radix_sort_onesweep_config_selectorIjN6thrust23THRUST_200600_302600_NS5tupleIffNS6_9null_typeES8_S8_S8_S8_S8_S8_S8_EEEEZZNS1_29radix_sort_onesweep_iterationIS3_Lb0ENS6_6detail15normal_iteratorINS6_10device_ptrIjEEEESG_NSD_INSE_IS9_EEEESI_jNS0_19identity_decomposerENS1_16block_id_wrapperIjLb0EEEEE10hipError_tT1_PNSt15iterator_traitsISN_E10value_typeET2_T3_PNSO_IST_E10value_typeET4_T5_PSY_SZ_PNS1_23onesweep_lookback_stateEbbT6_jjT7_P12ihipStream_tbENKUlT_T0_SN_SS_E_clISG_PjSI_PS9_EEDaS16_S17_SN_SS_EUlS16_E_NS1_11comp_targetILNS1_3genE9ELNS1_11target_archE1100ELNS1_3gpuE3ELNS1_3repE0EEENS1_47radix_sort_onesweep_sort_config_static_selectorELNS0_4arch9wavefront6targetE0EEEvSN_,@function
_ZN7rocprim17ROCPRIM_400000_NS6detail17trampoline_kernelINS0_14default_configENS1_35radix_sort_onesweep_config_selectorIjN6thrust23THRUST_200600_302600_NS5tupleIffNS6_9null_typeES8_S8_S8_S8_S8_S8_S8_EEEEZZNS1_29radix_sort_onesweep_iterationIS3_Lb0ENS6_6detail15normal_iteratorINS6_10device_ptrIjEEEESG_NSD_INSE_IS9_EEEESI_jNS0_19identity_decomposerENS1_16block_id_wrapperIjLb0EEEEE10hipError_tT1_PNSt15iterator_traitsISN_E10value_typeET2_T3_PNSO_IST_E10value_typeET4_T5_PSY_SZ_PNS1_23onesweep_lookback_stateEbbT6_jjT7_P12ihipStream_tbENKUlT_T0_SN_SS_E_clISG_PjSI_PS9_EEDaS16_S17_SN_SS_EUlS16_E_NS1_11comp_targetILNS1_3genE9ELNS1_11target_archE1100ELNS1_3gpuE3ELNS1_3repE0EEENS1_47radix_sort_onesweep_sort_config_static_selectorELNS0_4arch9wavefront6targetE0EEEvSN_: ; @_ZN7rocprim17ROCPRIM_400000_NS6detail17trampoline_kernelINS0_14default_configENS1_35radix_sort_onesweep_config_selectorIjN6thrust23THRUST_200600_302600_NS5tupleIffNS6_9null_typeES8_S8_S8_S8_S8_S8_S8_EEEEZZNS1_29radix_sort_onesweep_iterationIS3_Lb0ENS6_6detail15normal_iteratorINS6_10device_ptrIjEEEESG_NSD_INSE_IS9_EEEESI_jNS0_19identity_decomposerENS1_16block_id_wrapperIjLb0EEEEE10hipError_tT1_PNSt15iterator_traitsISN_E10value_typeET2_T3_PNSO_IST_E10value_typeET4_T5_PSY_SZ_PNS1_23onesweep_lookback_stateEbbT6_jjT7_P12ihipStream_tbENKUlT_T0_SN_SS_E_clISG_PjSI_PS9_EEDaS16_S17_SN_SS_EUlS16_E_NS1_11comp_targetILNS1_3genE9ELNS1_11target_archE1100ELNS1_3gpuE3ELNS1_3repE0EEENS1_47radix_sort_onesweep_sort_config_static_selectorELNS0_4arch9wavefront6targetE0EEEvSN_
; %bb.0:
	.section	.rodata,"a",@progbits
	.p2align	6, 0x0
	.amdhsa_kernel _ZN7rocprim17ROCPRIM_400000_NS6detail17trampoline_kernelINS0_14default_configENS1_35radix_sort_onesweep_config_selectorIjN6thrust23THRUST_200600_302600_NS5tupleIffNS6_9null_typeES8_S8_S8_S8_S8_S8_S8_EEEEZZNS1_29radix_sort_onesweep_iterationIS3_Lb0ENS6_6detail15normal_iteratorINS6_10device_ptrIjEEEESG_NSD_INSE_IS9_EEEESI_jNS0_19identity_decomposerENS1_16block_id_wrapperIjLb0EEEEE10hipError_tT1_PNSt15iterator_traitsISN_E10value_typeET2_T3_PNSO_IST_E10value_typeET4_T5_PSY_SZ_PNS1_23onesweep_lookback_stateEbbT6_jjT7_P12ihipStream_tbENKUlT_T0_SN_SS_E_clISG_PjSI_PS9_EEDaS16_S17_SN_SS_EUlS16_E_NS1_11comp_targetILNS1_3genE9ELNS1_11target_archE1100ELNS1_3gpuE3ELNS1_3repE0EEENS1_47radix_sort_onesweep_sort_config_static_selectorELNS0_4arch9wavefront6targetE0EEEvSN_
		.amdhsa_group_segment_fixed_size 0
		.amdhsa_private_segment_fixed_size 0
		.amdhsa_kernarg_size 88
		.amdhsa_user_sgpr_count 2
		.amdhsa_user_sgpr_dispatch_ptr 0
		.amdhsa_user_sgpr_queue_ptr 0
		.amdhsa_user_sgpr_kernarg_segment_ptr 1
		.amdhsa_user_sgpr_dispatch_id 0
		.amdhsa_user_sgpr_private_segment_size 0
		.amdhsa_wavefront_size32 1
		.amdhsa_uses_dynamic_stack 0
		.amdhsa_enable_private_segment 0
		.amdhsa_system_sgpr_workgroup_id_x 1
		.amdhsa_system_sgpr_workgroup_id_y 0
		.amdhsa_system_sgpr_workgroup_id_z 0
		.amdhsa_system_sgpr_workgroup_info 0
		.amdhsa_system_vgpr_workitem_id 0
		.amdhsa_next_free_vgpr 1
		.amdhsa_next_free_sgpr 1
		.amdhsa_reserve_vcc 0
		.amdhsa_float_round_mode_32 0
		.amdhsa_float_round_mode_16_64 0
		.amdhsa_float_denorm_mode_32 3
		.amdhsa_float_denorm_mode_16_64 3
		.amdhsa_fp16_overflow 0
		.amdhsa_workgroup_processor_mode 1
		.amdhsa_memory_ordered 1
		.amdhsa_forward_progress 1
		.amdhsa_inst_pref_size 0
		.amdhsa_round_robin_scheduling 0
		.amdhsa_exception_fp_ieee_invalid_op 0
		.amdhsa_exception_fp_denorm_src 0
		.amdhsa_exception_fp_ieee_div_zero 0
		.amdhsa_exception_fp_ieee_overflow 0
		.amdhsa_exception_fp_ieee_underflow 0
		.amdhsa_exception_fp_ieee_inexact 0
		.amdhsa_exception_int_div_zero 0
	.end_amdhsa_kernel
	.section	.text._ZN7rocprim17ROCPRIM_400000_NS6detail17trampoline_kernelINS0_14default_configENS1_35radix_sort_onesweep_config_selectorIjN6thrust23THRUST_200600_302600_NS5tupleIffNS6_9null_typeES8_S8_S8_S8_S8_S8_S8_EEEEZZNS1_29radix_sort_onesweep_iterationIS3_Lb0ENS6_6detail15normal_iteratorINS6_10device_ptrIjEEEESG_NSD_INSE_IS9_EEEESI_jNS0_19identity_decomposerENS1_16block_id_wrapperIjLb0EEEEE10hipError_tT1_PNSt15iterator_traitsISN_E10value_typeET2_T3_PNSO_IST_E10value_typeET4_T5_PSY_SZ_PNS1_23onesweep_lookback_stateEbbT6_jjT7_P12ihipStream_tbENKUlT_T0_SN_SS_E_clISG_PjSI_PS9_EEDaS16_S17_SN_SS_EUlS16_E_NS1_11comp_targetILNS1_3genE9ELNS1_11target_archE1100ELNS1_3gpuE3ELNS1_3repE0EEENS1_47radix_sort_onesweep_sort_config_static_selectorELNS0_4arch9wavefront6targetE0EEEvSN_,"axG",@progbits,_ZN7rocprim17ROCPRIM_400000_NS6detail17trampoline_kernelINS0_14default_configENS1_35radix_sort_onesweep_config_selectorIjN6thrust23THRUST_200600_302600_NS5tupleIffNS6_9null_typeES8_S8_S8_S8_S8_S8_S8_EEEEZZNS1_29radix_sort_onesweep_iterationIS3_Lb0ENS6_6detail15normal_iteratorINS6_10device_ptrIjEEEESG_NSD_INSE_IS9_EEEESI_jNS0_19identity_decomposerENS1_16block_id_wrapperIjLb0EEEEE10hipError_tT1_PNSt15iterator_traitsISN_E10value_typeET2_T3_PNSO_IST_E10value_typeET4_T5_PSY_SZ_PNS1_23onesweep_lookback_stateEbbT6_jjT7_P12ihipStream_tbENKUlT_T0_SN_SS_E_clISG_PjSI_PS9_EEDaS16_S17_SN_SS_EUlS16_E_NS1_11comp_targetILNS1_3genE9ELNS1_11target_archE1100ELNS1_3gpuE3ELNS1_3repE0EEENS1_47radix_sort_onesweep_sort_config_static_selectorELNS0_4arch9wavefront6targetE0EEEvSN_,comdat
.Lfunc_end218:
	.size	_ZN7rocprim17ROCPRIM_400000_NS6detail17trampoline_kernelINS0_14default_configENS1_35radix_sort_onesweep_config_selectorIjN6thrust23THRUST_200600_302600_NS5tupleIffNS6_9null_typeES8_S8_S8_S8_S8_S8_S8_EEEEZZNS1_29radix_sort_onesweep_iterationIS3_Lb0ENS6_6detail15normal_iteratorINS6_10device_ptrIjEEEESG_NSD_INSE_IS9_EEEESI_jNS0_19identity_decomposerENS1_16block_id_wrapperIjLb0EEEEE10hipError_tT1_PNSt15iterator_traitsISN_E10value_typeET2_T3_PNSO_IST_E10value_typeET4_T5_PSY_SZ_PNS1_23onesweep_lookback_stateEbbT6_jjT7_P12ihipStream_tbENKUlT_T0_SN_SS_E_clISG_PjSI_PS9_EEDaS16_S17_SN_SS_EUlS16_E_NS1_11comp_targetILNS1_3genE9ELNS1_11target_archE1100ELNS1_3gpuE3ELNS1_3repE0EEENS1_47radix_sort_onesweep_sort_config_static_selectorELNS0_4arch9wavefront6targetE0EEEvSN_, .Lfunc_end218-_ZN7rocprim17ROCPRIM_400000_NS6detail17trampoline_kernelINS0_14default_configENS1_35radix_sort_onesweep_config_selectorIjN6thrust23THRUST_200600_302600_NS5tupleIffNS6_9null_typeES8_S8_S8_S8_S8_S8_S8_EEEEZZNS1_29radix_sort_onesweep_iterationIS3_Lb0ENS6_6detail15normal_iteratorINS6_10device_ptrIjEEEESG_NSD_INSE_IS9_EEEESI_jNS0_19identity_decomposerENS1_16block_id_wrapperIjLb0EEEEE10hipError_tT1_PNSt15iterator_traitsISN_E10value_typeET2_T3_PNSO_IST_E10value_typeET4_T5_PSY_SZ_PNS1_23onesweep_lookback_stateEbbT6_jjT7_P12ihipStream_tbENKUlT_T0_SN_SS_E_clISG_PjSI_PS9_EEDaS16_S17_SN_SS_EUlS16_E_NS1_11comp_targetILNS1_3genE9ELNS1_11target_archE1100ELNS1_3gpuE3ELNS1_3repE0EEENS1_47radix_sort_onesweep_sort_config_static_selectorELNS0_4arch9wavefront6targetE0EEEvSN_
                                        ; -- End function
	.set _ZN7rocprim17ROCPRIM_400000_NS6detail17trampoline_kernelINS0_14default_configENS1_35radix_sort_onesweep_config_selectorIjN6thrust23THRUST_200600_302600_NS5tupleIffNS6_9null_typeES8_S8_S8_S8_S8_S8_S8_EEEEZZNS1_29radix_sort_onesweep_iterationIS3_Lb0ENS6_6detail15normal_iteratorINS6_10device_ptrIjEEEESG_NSD_INSE_IS9_EEEESI_jNS0_19identity_decomposerENS1_16block_id_wrapperIjLb0EEEEE10hipError_tT1_PNSt15iterator_traitsISN_E10value_typeET2_T3_PNSO_IST_E10value_typeET4_T5_PSY_SZ_PNS1_23onesweep_lookback_stateEbbT6_jjT7_P12ihipStream_tbENKUlT_T0_SN_SS_E_clISG_PjSI_PS9_EEDaS16_S17_SN_SS_EUlS16_E_NS1_11comp_targetILNS1_3genE9ELNS1_11target_archE1100ELNS1_3gpuE3ELNS1_3repE0EEENS1_47radix_sort_onesweep_sort_config_static_selectorELNS0_4arch9wavefront6targetE0EEEvSN_.num_vgpr, 0
	.set _ZN7rocprim17ROCPRIM_400000_NS6detail17trampoline_kernelINS0_14default_configENS1_35radix_sort_onesweep_config_selectorIjN6thrust23THRUST_200600_302600_NS5tupleIffNS6_9null_typeES8_S8_S8_S8_S8_S8_S8_EEEEZZNS1_29radix_sort_onesweep_iterationIS3_Lb0ENS6_6detail15normal_iteratorINS6_10device_ptrIjEEEESG_NSD_INSE_IS9_EEEESI_jNS0_19identity_decomposerENS1_16block_id_wrapperIjLb0EEEEE10hipError_tT1_PNSt15iterator_traitsISN_E10value_typeET2_T3_PNSO_IST_E10value_typeET4_T5_PSY_SZ_PNS1_23onesweep_lookback_stateEbbT6_jjT7_P12ihipStream_tbENKUlT_T0_SN_SS_E_clISG_PjSI_PS9_EEDaS16_S17_SN_SS_EUlS16_E_NS1_11comp_targetILNS1_3genE9ELNS1_11target_archE1100ELNS1_3gpuE3ELNS1_3repE0EEENS1_47radix_sort_onesweep_sort_config_static_selectorELNS0_4arch9wavefront6targetE0EEEvSN_.num_agpr, 0
	.set _ZN7rocprim17ROCPRIM_400000_NS6detail17trampoline_kernelINS0_14default_configENS1_35radix_sort_onesweep_config_selectorIjN6thrust23THRUST_200600_302600_NS5tupleIffNS6_9null_typeES8_S8_S8_S8_S8_S8_S8_EEEEZZNS1_29radix_sort_onesweep_iterationIS3_Lb0ENS6_6detail15normal_iteratorINS6_10device_ptrIjEEEESG_NSD_INSE_IS9_EEEESI_jNS0_19identity_decomposerENS1_16block_id_wrapperIjLb0EEEEE10hipError_tT1_PNSt15iterator_traitsISN_E10value_typeET2_T3_PNSO_IST_E10value_typeET4_T5_PSY_SZ_PNS1_23onesweep_lookback_stateEbbT6_jjT7_P12ihipStream_tbENKUlT_T0_SN_SS_E_clISG_PjSI_PS9_EEDaS16_S17_SN_SS_EUlS16_E_NS1_11comp_targetILNS1_3genE9ELNS1_11target_archE1100ELNS1_3gpuE3ELNS1_3repE0EEENS1_47radix_sort_onesweep_sort_config_static_selectorELNS0_4arch9wavefront6targetE0EEEvSN_.numbered_sgpr, 0
	.set _ZN7rocprim17ROCPRIM_400000_NS6detail17trampoline_kernelINS0_14default_configENS1_35radix_sort_onesweep_config_selectorIjN6thrust23THRUST_200600_302600_NS5tupleIffNS6_9null_typeES8_S8_S8_S8_S8_S8_S8_EEEEZZNS1_29radix_sort_onesweep_iterationIS3_Lb0ENS6_6detail15normal_iteratorINS6_10device_ptrIjEEEESG_NSD_INSE_IS9_EEEESI_jNS0_19identity_decomposerENS1_16block_id_wrapperIjLb0EEEEE10hipError_tT1_PNSt15iterator_traitsISN_E10value_typeET2_T3_PNSO_IST_E10value_typeET4_T5_PSY_SZ_PNS1_23onesweep_lookback_stateEbbT6_jjT7_P12ihipStream_tbENKUlT_T0_SN_SS_E_clISG_PjSI_PS9_EEDaS16_S17_SN_SS_EUlS16_E_NS1_11comp_targetILNS1_3genE9ELNS1_11target_archE1100ELNS1_3gpuE3ELNS1_3repE0EEENS1_47radix_sort_onesweep_sort_config_static_selectorELNS0_4arch9wavefront6targetE0EEEvSN_.num_named_barrier, 0
	.set _ZN7rocprim17ROCPRIM_400000_NS6detail17trampoline_kernelINS0_14default_configENS1_35radix_sort_onesweep_config_selectorIjN6thrust23THRUST_200600_302600_NS5tupleIffNS6_9null_typeES8_S8_S8_S8_S8_S8_S8_EEEEZZNS1_29radix_sort_onesweep_iterationIS3_Lb0ENS6_6detail15normal_iteratorINS6_10device_ptrIjEEEESG_NSD_INSE_IS9_EEEESI_jNS0_19identity_decomposerENS1_16block_id_wrapperIjLb0EEEEE10hipError_tT1_PNSt15iterator_traitsISN_E10value_typeET2_T3_PNSO_IST_E10value_typeET4_T5_PSY_SZ_PNS1_23onesweep_lookback_stateEbbT6_jjT7_P12ihipStream_tbENKUlT_T0_SN_SS_E_clISG_PjSI_PS9_EEDaS16_S17_SN_SS_EUlS16_E_NS1_11comp_targetILNS1_3genE9ELNS1_11target_archE1100ELNS1_3gpuE3ELNS1_3repE0EEENS1_47radix_sort_onesweep_sort_config_static_selectorELNS0_4arch9wavefront6targetE0EEEvSN_.private_seg_size, 0
	.set _ZN7rocprim17ROCPRIM_400000_NS6detail17trampoline_kernelINS0_14default_configENS1_35radix_sort_onesweep_config_selectorIjN6thrust23THRUST_200600_302600_NS5tupleIffNS6_9null_typeES8_S8_S8_S8_S8_S8_S8_EEEEZZNS1_29radix_sort_onesweep_iterationIS3_Lb0ENS6_6detail15normal_iteratorINS6_10device_ptrIjEEEESG_NSD_INSE_IS9_EEEESI_jNS0_19identity_decomposerENS1_16block_id_wrapperIjLb0EEEEE10hipError_tT1_PNSt15iterator_traitsISN_E10value_typeET2_T3_PNSO_IST_E10value_typeET4_T5_PSY_SZ_PNS1_23onesweep_lookback_stateEbbT6_jjT7_P12ihipStream_tbENKUlT_T0_SN_SS_E_clISG_PjSI_PS9_EEDaS16_S17_SN_SS_EUlS16_E_NS1_11comp_targetILNS1_3genE9ELNS1_11target_archE1100ELNS1_3gpuE3ELNS1_3repE0EEENS1_47radix_sort_onesweep_sort_config_static_selectorELNS0_4arch9wavefront6targetE0EEEvSN_.uses_vcc, 0
	.set _ZN7rocprim17ROCPRIM_400000_NS6detail17trampoline_kernelINS0_14default_configENS1_35radix_sort_onesweep_config_selectorIjN6thrust23THRUST_200600_302600_NS5tupleIffNS6_9null_typeES8_S8_S8_S8_S8_S8_S8_EEEEZZNS1_29radix_sort_onesweep_iterationIS3_Lb0ENS6_6detail15normal_iteratorINS6_10device_ptrIjEEEESG_NSD_INSE_IS9_EEEESI_jNS0_19identity_decomposerENS1_16block_id_wrapperIjLb0EEEEE10hipError_tT1_PNSt15iterator_traitsISN_E10value_typeET2_T3_PNSO_IST_E10value_typeET4_T5_PSY_SZ_PNS1_23onesweep_lookback_stateEbbT6_jjT7_P12ihipStream_tbENKUlT_T0_SN_SS_E_clISG_PjSI_PS9_EEDaS16_S17_SN_SS_EUlS16_E_NS1_11comp_targetILNS1_3genE9ELNS1_11target_archE1100ELNS1_3gpuE3ELNS1_3repE0EEENS1_47radix_sort_onesweep_sort_config_static_selectorELNS0_4arch9wavefront6targetE0EEEvSN_.uses_flat_scratch, 0
	.set _ZN7rocprim17ROCPRIM_400000_NS6detail17trampoline_kernelINS0_14default_configENS1_35radix_sort_onesweep_config_selectorIjN6thrust23THRUST_200600_302600_NS5tupleIffNS6_9null_typeES8_S8_S8_S8_S8_S8_S8_EEEEZZNS1_29radix_sort_onesweep_iterationIS3_Lb0ENS6_6detail15normal_iteratorINS6_10device_ptrIjEEEESG_NSD_INSE_IS9_EEEESI_jNS0_19identity_decomposerENS1_16block_id_wrapperIjLb0EEEEE10hipError_tT1_PNSt15iterator_traitsISN_E10value_typeET2_T3_PNSO_IST_E10value_typeET4_T5_PSY_SZ_PNS1_23onesweep_lookback_stateEbbT6_jjT7_P12ihipStream_tbENKUlT_T0_SN_SS_E_clISG_PjSI_PS9_EEDaS16_S17_SN_SS_EUlS16_E_NS1_11comp_targetILNS1_3genE9ELNS1_11target_archE1100ELNS1_3gpuE3ELNS1_3repE0EEENS1_47radix_sort_onesweep_sort_config_static_selectorELNS0_4arch9wavefront6targetE0EEEvSN_.has_dyn_sized_stack, 0
	.set _ZN7rocprim17ROCPRIM_400000_NS6detail17trampoline_kernelINS0_14default_configENS1_35radix_sort_onesweep_config_selectorIjN6thrust23THRUST_200600_302600_NS5tupleIffNS6_9null_typeES8_S8_S8_S8_S8_S8_S8_EEEEZZNS1_29radix_sort_onesweep_iterationIS3_Lb0ENS6_6detail15normal_iteratorINS6_10device_ptrIjEEEESG_NSD_INSE_IS9_EEEESI_jNS0_19identity_decomposerENS1_16block_id_wrapperIjLb0EEEEE10hipError_tT1_PNSt15iterator_traitsISN_E10value_typeET2_T3_PNSO_IST_E10value_typeET4_T5_PSY_SZ_PNS1_23onesweep_lookback_stateEbbT6_jjT7_P12ihipStream_tbENKUlT_T0_SN_SS_E_clISG_PjSI_PS9_EEDaS16_S17_SN_SS_EUlS16_E_NS1_11comp_targetILNS1_3genE9ELNS1_11target_archE1100ELNS1_3gpuE3ELNS1_3repE0EEENS1_47radix_sort_onesweep_sort_config_static_selectorELNS0_4arch9wavefront6targetE0EEEvSN_.has_recursion, 0
	.set _ZN7rocprim17ROCPRIM_400000_NS6detail17trampoline_kernelINS0_14default_configENS1_35radix_sort_onesweep_config_selectorIjN6thrust23THRUST_200600_302600_NS5tupleIffNS6_9null_typeES8_S8_S8_S8_S8_S8_S8_EEEEZZNS1_29radix_sort_onesweep_iterationIS3_Lb0ENS6_6detail15normal_iteratorINS6_10device_ptrIjEEEESG_NSD_INSE_IS9_EEEESI_jNS0_19identity_decomposerENS1_16block_id_wrapperIjLb0EEEEE10hipError_tT1_PNSt15iterator_traitsISN_E10value_typeET2_T3_PNSO_IST_E10value_typeET4_T5_PSY_SZ_PNS1_23onesweep_lookback_stateEbbT6_jjT7_P12ihipStream_tbENKUlT_T0_SN_SS_E_clISG_PjSI_PS9_EEDaS16_S17_SN_SS_EUlS16_E_NS1_11comp_targetILNS1_3genE9ELNS1_11target_archE1100ELNS1_3gpuE3ELNS1_3repE0EEENS1_47radix_sort_onesweep_sort_config_static_selectorELNS0_4arch9wavefront6targetE0EEEvSN_.has_indirect_call, 0
	.section	.AMDGPU.csdata,"",@progbits
; Kernel info:
; codeLenInByte = 0
; TotalNumSgprs: 0
; NumVgprs: 0
; ScratchSize: 0
; MemoryBound: 0
; FloatMode: 240
; IeeeMode: 1
; LDSByteSize: 0 bytes/workgroup (compile time only)
; SGPRBlocks: 0
; VGPRBlocks: 0
; NumSGPRsForWavesPerEU: 1
; NumVGPRsForWavesPerEU: 1
; Occupancy: 16
; WaveLimiterHint : 0
; COMPUTE_PGM_RSRC2:SCRATCH_EN: 0
; COMPUTE_PGM_RSRC2:USER_SGPR: 2
; COMPUTE_PGM_RSRC2:TRAP_HANDLER: 0
; COMPUTE_PGM_RSRC2:TGID_X_EN: 1
; COMPUTE_PGM_RSRC2:TGID_Y_EN: 0
; COMPUTE_PGM_RSRC2:TGID_Z_EN: 0
; COMPUTE_PGM_RSRC2:TIDIG_COMP_CNT: 0
	.section	.text._ZN7rocprim17ROCPRIM_400000_NS6detail17trampoline_kernelINS0_14default_configENS1_35radix_sort_onesweep_config_selectorIjN6thrust23THRUST_200600_302600_NS5tupleIffNS6_9null_typeES8_S8_S8_S8_S8_S8_S8_EEEEZZNS1_29radix_sort_onesweep_iterationIS3_Lb0ENS6_6detail15normal_iteratorINS6_10device_ptrIjEEEESG_NSD_INSE_IS9_EEEESI_jNS0_19identity_decomposerENS1_16block_id_wrapperIjLb0EEEEE10hipError_tT1_PNSt15iterator_traitsISN_E10value_typeET2_T3_PNSO_IST_E10value_typeET4_T5_PSY_SZ_PNS1_23onesweep_lookback_stateEbbT6_jjT7_P12ihipStream_tbENKUlT_T0_SN_SS_E_clISG_PjSI_PS9_EEDaS16_S17_SN_SS_EUlS16_E_NS1_11comp_targetILNS1_3genE8ELNS1_11target_archE1030ELNS1_3gpuE2ELNS1_3repE0EEENS1_47radix_sort_onesweep_sort_config_static_selectorELNS0_4arch9wavefront6targetE0EEEvSN_,"axG",@progbits,_ZN7rocprim17ROCPRIM_400000_NS6detail17trampoline_kernelINS0_14default_configENS1_35radix_sort_onesweep_config_selectorIjN6thrust23THRUST_200600_302600_NS5tupleIffNS6_9null_typeES8_S8_S8_S8_S8_S8_S8_EEEEZZNS1_29radix_sort_onesweep_iterationIS3_Lb0ENS6_6detail15normal_iteratorINS6_10device_ptrIjEEEESG_NSD_INSE_IS9_EEEESI_jNS0_19identity_decomposerENS1_16block_id_wrapperIjLb0EEEEE10hipError_tT1_PNSt15iterator_traitsISN_E10value_typeET2_T3_PNSO_IST_E10value_typeET4_T5_PSY_SZ_PNS1_23onesweep_lookback_stateEbbT6_jjT7_P12ihipStream_tbENKUlT_T0_SN_SS_E_clISG_PjSI_PS9_EEDaS16_S17_SN_SS_EUlS16_E_NS1_11comp_targetILNS1_3genE8ELNS1_11target_archE1030ELNS1_3gpuE2ELNS1_3repE0EEENS1_47radix_sort_onesweep_sort_config_static_selectorELNS0_4arch9wavefront6targetE0EEEvSN_,comdat
	.protected	_ZN7rocprim17ROCPRIM_400000_NS6detail17trampoline_kernelINS0_14default_configENS1_35radix_sort_onesweep_config_selectorIjN6thrust23THRUST_200600_302600_NS5tupleIffNS6_9null_typeES8_S8_S8_S8_S8_S8_S8_EEEEZZNS1_29radix_sort_onesweep_iterationIS3_Lb0ENS6_6detail15normal_iteratorINS6_10device_ptrIjEEEESG_NSD_INSE_IS9_EEEESI_jNS0_19identity_decomposerENS1_16block_id_wrapperIjLb0EEEEE10hipError_tT1_PNSt15iterator_traitsISN_E10value_typeET2_T3_PNSO_IST_E10value_typeET4_T5_PSY_SZ_PNS1_23onesweep_lookback_stateEbbT6_jjT7_P12ihipStream_tbENKUlT_T0_SN_SS_E_clISG_PjSI_PS9_EEDaS16_S17_SN_SS_EUlS16_E_NS1_11comp_targetILNS1_3genE8ELNS1_11target_archE1030ELNS1_3gpuE2ELNS1_3repE0EEENS1_47radix_sort_onesweep_sort_config_static_selectorELNS0_4arch9wavefront6targetE0EEEvSN_ ; -- Begin function _ZN7rocprim17ROCPRIM_400000_NS6detail17trampoline_kernelINS0_14default_configENS1_35radix_sort_onesweep_config_selectorIjN6thrust23THRUST_200600_302600_NS5tupleIffNS6_9null_typeES8_S8_S8_S8_S8_S8_S8_EEEEZZNS1_29radix_sort_onesweep_iterationIS3_Lb0ENS6_6detail15normal_iteratorINS6_10device_ptrIjEEEESG_NSD_INSE_IS9_EEEESI_jNS0_19identity_decomposerENS1_16block_id_wrapperIjLb0EEEEE10hipError_tT1_PNSt15iterator_traitsISN_E10value_typeET2_T3_PNSO_IST_E10value_typeET4_T5_PSY_SZ_PNS1_23onesweep_lookback_stateEbbT6_jjT7_P12ihipStream_tbENKUlT_T0_SN_SS_E_clISG_PjSI_PS9_EEDaS16_S17_SN_SS_EUlS16_E_NS1_11comp_targetILNS1_3genE8ELNS1_11target_archE1030ELNS1_3gpuE2ELNS1_3repE0EEENS1_47radix_sort_onesweep_sort_config_static_selectorELNS0_4arch9wavefront6targetE0EEEvSN_
	.globl	_ZN7rocprim17ROCPRIM_400000_NS6detail17trampoline_kernelINS0_14default_configENS1_35radix_sort_onesweep_config_selectorIjN6thrust23THRUST_200600_302600_NS5tupleIffNS6_9null_typeES8_S8_S8_S8_S8_S8_S8_EEEEZZNS1_29radix_sort_onesweep_iterationIS3_Lb0ENS6_6detail15normal_iteratorINS6_10device_ptrIjEEEESG_NSD_INSE_IS9_EEEESI_jNS0_19identity_decomposerENS1_16block_id_wrapperIjLb0EEEEE10hipError_tT1_PNSt15iterator_traitsISN_E10value_typeET2_T3_PNSO_IST_E10value_typeET4_T5_PSY_SZ_PNS1_23onesweep_lookback_stateEbbT6_jjT7_P12ihipStream_tbENKUlT_T0_SN_SS_E_clISG_PjSI_PS9_EEDaS16_S17_SN_SS_EUlS16_E_NS1_11comp_targetILNS1_3genE8ELNS1_11target_archE1030ELNS1_3gpuE2ELNS1_3repE0EEENS1_47radix_sort_onesweep_sort_config_static_selectorELNS0_4arch9wavefront6targetE0EEEvSN_
	.p2align	8
	.type	_ZN7rocprim17ROCPRIM_400000_NS6detail17trampoline_kernelINS0_14default_configENS1_35radix_sort_onesweep_config_selectorIjN6thrust23THRUST_200600_302600_NS5tupleIffNS6_9null_typeES8_S8_S8_S8_S8_S8_S8_EEEEZZNS1_29radix_sort_onesweep_iterationIS3_Lb0ENS6_6detail15normal_iteratorINS6_10device_ptrIjEEEESG_NSD_INSE_IS9_EEEESI_jNS0_19identity_decomposerENS1_16block_id_wrapperIjLb0EEEEE10hipError_tT1_PNSt15iterator_traitsISN_E10value_typeET2_T3_PNSO_IST_E10value_typeET4_T5_PSY_SZ_PNS1_23onesweep_lookback_stateEbbT6_jjT7_P12ihipStream_tbENKUlT_T0_SN_SS_E_clISG_PjSI_PS9_EEDaS16_S17_SN_SS_EUlS16_E_NS1_11comp_targetILNS1_3genE8ELNS1_11target_archE1030ELNS1_3gpuE2ELNS1_3repE0EEENS1_47radix_sort_onesweep_sort_config_static_selectorELNS0_4arch9wavefront6targetE0EEEvSN_,@function
_ZN7rocprim17ROCPRIM_400000_NS6detail17trampoline_kernelINS0_14default_configENS1_35radix_sort_onesweep_config_selectorIjN6thrust23THRUST_200600_302600_NS5tupleIffNS6_9null_typeES8_S8_S8_S8_S8_S8_S8_EEEEZZNS1_29radix_sort_onesweep_iterationIS3_Lb0ENS6_6detail15normal_iteratorINS6_10device_ptrIjEEEESG_NSD_INSE_IS9_EEEESI_jNS0_19identity_decomposerENS1_16block_id_wrapperIjLb0EEEEE10hipError_tT1_PNSt15iterator_traitsISN_E10value_typeET2_T3_PNSO_IST_E10value_typeET4_T5_PSY_SZ_PNS1_23onesweep_lookback_stateEbbT6_jjT7_P12ihipStream_tbENKUlT_T0_SN_SS_E_clISG_PjSI_PS9_EEDaS16_S17_SN_SS_EUlS16_E_NS1_11comp_targetILNS1_3genE8ELNS1_11target_archE1030ELNS1_3gpuE2ELNS1_3repE0EEENS1_47radix_sort_onesweep_sort_config_static_selectorELNS0_4arch9wavefront6targetE0EEEvSN_: ; @_ZN7rocprim17ROCPRIM_400000_NS6detail17trampoline_kernelINS0_14default_configENS1_35radix_sort_onesweep_config_selectorIjN6thrust23THRUST_200600_302600_NS5tupleIffNS6_9null_typeES8_S8_S8_S8_S8_S8_S8_EEEEZZNS1_29radix_sort_onesweep_iterationIS3_Lb0ENS6_6detail15normal_iteratorINS6_10device_ptrIjEEEESG_NSD_INSE_IS9_EEEESI_jNS0_19identity_decomposerENS1_16block_id_wrapperIjLb0EEEEE10hipError_tT1_PNSt15iterator_traitsISN_E10value_typeET2_T3_PNSO_IST_E10value_typeET4_T5_PSY_SZ_PNS1_23onesweep_lookback_stateEbbT6_jjT7_P12ihipStream_tbENKUlT_T0_SN_SS_E_clISG_PjSI_PS9_EEDaS16_S17_SN_SS_EUlS16_E_NS1_11comp_targetILNS1_3genE8ELNS1_11target_archE1030ELNS1_3gpuE2ELNS1_3repE0EEENS1_47radix_sort_onesweep_sort_config_static_selectorELNS0_4arch9wavefront6targetE0EEEvSN_
; %bb.0:
	.section	.rodata,"a",@progbits
	.p2align	6, 0x0
	.amdhsa_kernel _ZN7rocprim17ROCPRIM_400000_NS6detail17trampoline_kernelINS0_14default_configENS1_35radix_sort_onesweep_config_selectorIjN6thrust23THRUST_200600_302600_NS5tupleIffNS6_9null_typeES8_S8_S8_S8_S8_S8_S8_EEEEZZNS1_29radix_sort_onesweep_iterationIS3_Lb0ENS6_6detail15normal_iteratorINS6_10device_ptrIjEEEESG_NSD_INSE_IS9_EEEESI_jNS0_19identity_decomposerENS1_16block_id_wrapperIjLb0EEEEE10hipError_tT1_PNSt15iterator_traitsISN_E10value_typeET2_T3_PNSO_IST_E10value_typeET4_T5_PSY_SZ_PNS1_23onesweep_lookback_stateEbbT6_jjT7_P12ihipStream_tbENKUlT_T0_SN_SS_E_clISG_PjSI_PS9_EEDaS16_S17_SN_SS_EUlS16_E_NS1_11comp_targetILNS1_3genE8ELNS1_11target_archE1030ELNS1_3gpuE2ELNS1_3repE0EEENS1_47radix_sort_onesweep_sort_config_static_selectorELNS0_4arch9wavefront6targetE0EEEvSN_
		.amdhsa_group_segment_fixed_size 0
		.amdhsa_private_segment_fixed_size 0
		.amdhsa_kernarg_size 88
		.amdhsa_user_sgpr_count 2
		.amdhsa_user_sgpr_dispatch_ptr 0
		.amdhsa_user_sgpr_queue_ptr 0
		.amdhsa_user_sgpr_kernarg_segment_ptr 1
		.amdhsa_user_sgpr_dispatch_id 0
		.amdhsa_user_sgpr_private_segment_size 0
		.amdhsa_wavefront_size32 1
		.amdhsa_uses_dynamic_stack 0
		.amdhsa_enable_private_segment 0
		.amdhsa_system_sgpr_workgroup_id_x 1
		.amdhsa_system_sgpr_workgroup_id_y 0
		.amdhsa_system_sgpr_workgroup_id_z 0
		.amdhsa_system_sgpr_workgroup_info 0
		.amdhsa_system_vgpr_workitem_id 0
		.amdhsa_next_free_vgpr 1
		.amdhsa_next_free_sgpr 1
		.amdhsa_reserve_vcc 0
		.amdhsa_float_round_mode_32 0
		.amdhsa_float_round_mode_16_64 0
		.amdhsa_float_denorm_mode_32 3
		.amdhsa_float_denorm_mode_16_64 3
		.amdhsa_fp16_overflow 0
		.amdhsa_workgroup_processor_mode 1
		.amdhsa_memory_ordered 1
		.amdhsa_forward_progress 1
		.amdhsa_inst_pref_size 0
		.amdhsa_round_robin_scheduling 0
		.amdhsa_exception_fp_ieee_invalid_op 0
		.amdhsa_exception_fp_denorm_src 0
		.amdhsa_exception_fp_ieee_div_zero 0
		.amdhsa_exception_fp_ieee_overflow 0
		.amdhsa_exception_fp_ieee_underflow 0
		.amdhsa_exception_fp_ieee_inexact 0
		.amdhsa_exception_int_div_zero 0
	.end_amdhsa_kernel
	.section	.text._ZN7rocprim17ROCPRIM_400000_NS6detail17trampoline_kernelINS0_14default_configENS1_35radix_sort_onesweep_config_selectorIjN6thrust23THRUST_200600_302600_NS5tupleIffNS6_9null_typeES8_S8_S8_S8_S8_S8_S8_EEEEZZNS1_29radix_sort_onesweep_iterationIS3_Lb0ENS6_6detail15normal_iteratorINS6_10device_ptrIjEEEESG_NSD_INSE_IS9_EEEESI_jNS0_19identity_decomposerENS1_16block_id_wrapperIjLb0EEEEE10hipError_tT1_PNSt15iterator_traitsISN_E10value_typeET2_T3_PNSO_IST_E10value_typeET4_T5_PSY_SZ_PNS1_23onesweep_lookback_stateEbbT6_jjT7_P12ihipStream_tbENKUlT_T0_SN_SS_E_clISG_PjSI_PS9_EEDaS16_S17_SN_SS_EUlS16_E_NS1_11comp_targetILNS1_3genE8ELNS1_11target_archE1030ELNS1_3gpuE2ELNS1_3repE0EEENS1_47radix_sort_onesweep_sort_config_static_selectorELNS0_4arch9wavefront6targetE0EEEvSN_,"axG",@progbits,_ZN7rocprim17ROCPRIM_400000_NS6detail17trampoline_kernelINS0_14default_configENS1_35radix_sort_onesweep_config_selectorIjN6thrust23THRUST_200600_302600_NS5tupleIffNS6_9null_typeES8_S8_S8_S8_S8_S8_S8_EEEEZZNS1_29radix_sort_onesweep_iterationIS3_Lb0ENS6_6detail15normal_iteratorINS6_10device_ptrIjEEEESG_NSD_INSE_IS9_EEEESI_jNS0_19identity_decomposerENS1_16block_id_wrapperIjLb0EEEEE10hipError_tT1_PNSt15iterator_traitsISN_E10value_typeET2_T3_PNSO_IST_E10value_typeET4_T5_PSY_SZ_PNS1_23onesweep_lookback_stateEbbT6_jjT7_P12ihipStream_tbENKUlT_T0_SN_SS_E_clISG_PjSI_PS9_EEDaS16_S17_SN_SS_EUlS16_E_NS1_11comp_targetILNS1_3genE8ELNS1_11target_archE1030ELNS1_3gpuE2ELNS1_3repE0EEENS1_47radix_sort_onesweep_sort_config_static_selectorELNS0_4arch9wavefront6targetE0EEEvSN_,comdat
.Lfunc_end219:
	.size	_ZN7rocprim17ROCPRIM_400000_NS6detail17trampoline_kernelINS0_14default_configENS1_35radix_sort_onesweep_config_selectorIjN6thrust23THRUST_200600_302600_NS5tupleIffNS6_9null_typeES8_S8_S8_S8_S8_S8_S8_EEEEZZNS1_29radix_sort_onesweep_iterationIS3_Lb0ENS6_6detail15normal_iteratorINS6_10device_ptrIjEEEESG_NSD_INSE_IS9_EEEESI_jNS0_19identity_decomposerENS1_16block_id_wrapperIjLb0EEEEE10hipError_tT1_PNSt15iterator_traitsISN_E10value_typeET2_T3_PNSO_IST_E10value_typeET4_T5_PSY_SZ_PNS1_23onesweep_lookback_stateEbbT6_jjT7_P12ihipStream_tbENKUlT_T0_SN_SS_E_clISG_PjSI_PS9_EEDaS16_S17_SN_SS_EUlS16_E_NS1_11comp_targetILNS1_3genE8ELNS1_11target_archE1030ELNS1_3gpuE2ELNS1_3repE0EEENS1_47radix_sort_onesweep_sort_config_static_selectorELNS0_4arch9wavefront6targetE0EEEvSN_, .Lfunc_end219-_ZN7rocprim17ROCPRIM_400000_NS6detail17trampoline_kernelINS0_14default_configENS1_35radix_sort_onesweep_config_selectorIjN6thrust23THRUST_200600_302600_NS5tupleIffNS6_9null_typeES8_S8_S8_S8_S8_S8_S8_EEEEZZNS1_29radix_sort_onesweep_iterationIS3_Lb0ENS6_6detail15normal_iteratorINS6_10device_ptrIjEEEESG_NSD_INSE_IS9_EEEESI_jNS0_19identity_decomposerENS1_16block_id_wrapperIjLb0EEEEE10hipError_tT1_PNSt15iterator_traitsISN_E10value_typeET2_T3_PNSO_IST_E10value_typeET4_T5_PSY_SZ_PNS1_23onesweep_lookback_stateEbbT6_jjT7_P12ihipStream_tbENKUlT_T0_SN_SS_E_clISG_PjSI_PS9_EEDaS16_S17_SN_SS_EUlS16_E_NS1_11comp_targetILNS1_3genE8ELNS1_11target_archE1030ELNS1_3gpuE2ELNS1_3repE0EEENS1_47radix_sort_onesweep_sort_config_static_selectorELNS0_4arch9wavefront6targetE0EEEvSN_
                                        ; -- End function
	.set _ZN7rocprim17ROCPRIM_400000_NS6detail17trampoline_kernelINS0_14default_configENS1_35radix_sort_onesweep_config_selectorIjN6thrust23THRUST_200600_302600_NS5tupleIffNS6_9null_typeES8_S8_S8_S8_S8_S8_S8_EEEEZZNS1_29radix_sort_onesweep_iterationIS3_Lb0ENS6_6detail15normal_iteratorINS6_10device_ptrIjEEEESG_NSD_INSE_IS9_EEEESI_jNS0_19identity_decomposerENS1_16block_id_wrapperIjLb0EEEEE10hipError_tT1_PNSt15iterator_traitsISN_E10value_typeET2_T3_PNSO_IST_E10value_typeET4_T5_PSY_SZ_PNS1_23onesweep_lookback_stateEbbT6_jjT7_P12ihipStream_tbENKUlT_T0_SN_SS_E_clISG_PjSI_PS9_EEDaS16_S17_SN_SS_EUlS16_E_NS1_11comp_targetILNS1_3genE8ELNS1_11target_archE1030ELNS1_3gpuE2ELNS1_3repE0EEENS1_47radix_sort_onesweep_sort_config_static_selectorELNS0_4arch9wavefront6targetE0EEEvSN_.num_vgpr, 0
	.set _ZN7rocprim17ROCPRIM_400000_NS6detail17trampoline_kernelINS0_14default_configENS1_35radix_sort_onesweep_config_selectorIjN6thrust23THRUST_200600_302600_NS5tupleIffNS6_9null_typeES8_S8_S8_S8_S8_S8_S8_EEEEZZNS1_29radix_sort_onesweep_iterationIS3_Lb0ENS6_6detail15normal_iteratorINS6_10device_ptrIjEEEESG_NSD_INSE_IS9_EEEESI_jNS0_19identity_decomposerENS1_16block_id_wrapperIjLb0EEEEE10hipError_tT1_PNSt15iterator_traitsISN_E10value_typeET2_T3_PNSO_IST_E10value_typeET4_T5_PSY_SZ_PNS1_23onesweep_lookback_stateEbbT6_jjT7_P12ihipStream_tbENKUlT_T0_SN_SS_E_clISG_PjSI_PS9_EEDaS16_S17_SN_SS_EUlS16_E_NS1_11comp_targetILNS1_3genE8ELNS1_11target_archE1030ELNS1_3gpuE2ELNS1_3repE0EEENS1_47radix_sort_onesweep_sort_config_static_selectorELNS0_4arch9wavefront6targetE0EEEvSN_.num_agpr, 0
	.set _ZN7rocprim17ROCPRIM_400000_NS6detail17trampoline_kernelINS0_14default_configENS1_35radix_sort_onesweep_config_selectorIjN6thrust23THRUST_200600_302600_NS5tupleIffNS6_9null_typeES8_S8_S8_S8_S8_S8_S8_EEEEZZNS1_29radix_sort_onesweep_iterationIS3_Lb0ENS6_6detail15normal_iteratorINS6_10device_ptrIjEEEESG_NSD_INSE_IS9_EEEESI_jNS0_19identity_decomposerENS1_16block_id_wrapperIjLb0EEEEE10hipError_tT1_PNSt15iterator_traitsISN_E10value_typeET2_T3_PNSO_IST_E10value_typeET4_T5_PSY_SZ_PNS1_23onesweep_lookback_stateEbbT6_jjT7_P12ihipStream_tbENKUlT_T0_SN_SS_E_clISG_PjSI_PS9_EEDaS16_S17_SN_SS_EUlS16_E_NS1_11comp_targetILNS1_3genE8ELNS1_11target_archE1030ELNS1_3gpuE2ELNS1_3repE0EEENS1_47radix_sort_onesweep_sort_config_static_selectorELNS0_4arch9wavefront6targetE0EEEvSN_.numbered_sgpr, 0
	.set _ZN7rocprim17ROCPRIM_400000_NS6detail17trampoline_kernelINS0_14default_configENS1_35radix_sort_onesweep_config_selectorIjN6thrust23THRUST_200600_302600_NS5tupleIffNS6_9null_typeES8_S8_S8_S8_S8_S8_S8_EEEEZZNS1_29radix_sort_onesweep_iterationIS3_Lb0ENS6_6detail15normal_iteratorINS6_10device_ptrIjEEEESG_NSD_INSE_IS9_EEEESI_jNS0_19identity_decomposerENS1_16block_id_wrapperIjLb0EEEEE10hipError_tT1_PNSt15iterator_traitsISN_E10value_typeET2_T3_PNSO_IST_E10value_typeET4_T5_PSY_SZ_PNS1_23onesweep_lookback_stateEbbT6_jjT7_P12ihipStream_tbENKUlT_T0_SN_SS_E_clISG_PjSI_PS9_EEDaS16_S17_SN_SS_EUlS16_E_NS1_11comp_targetILNS1_3genE8ELNS1_11target_archE1030ELNS1_3gpuE2ELNS1_3repE0EEENS1_47radix_sort_onesweep_sort_config_static_selectorELNS0_4arch9wavefront6targetE0EEEvSN_.num_named_barrier, 0
	.set _ZN7rocprim17ROCPRIM_400000_NS6detail17trampoline_kernelINS0_14default_configENS1_35radix_sort_onesweep_config_selectorIjN6thrust23THRUST_200600_302600_NS5tupleIffNS6_9null_typeES8_S8_S8_S8_S8_S8_S8_EEEEZZNS1_29radix_sort_onesweep_iterationIS3_Lb0ENS6_6detail15normal_iteratorINS6_10device_ptrIjEEEESG_NSD_INSE_IS9_EEEESI_jNS0_19identity_decomposerENS1_16block_id_wrapperIjLb0EEEEE10hipError_tT1_PNSt15iterator_traitsISN_E10value_typeET2_T3_PNSO_IST_E10value_typeET4_T5_PSY_SZ_PNS1_23onesweep_lookback_stateEbbT6_jjT7_P12ihipStream_tbENKUlT_T0_SN_SS_E_clISG_PjSI_PS9_EEDaS16_S17_SN_SS_EUlS16_E_NS1_11comp_targetILNS1_3genE8ELNS1_11target_archE1030ELNS1_3gpuE2ELNS1_3repE0EEENS1_47radix_sort_onesweep_sort_config_static_selectorELNS0_4arch9wavefront6targetE0EEEvSN_.private_seg_size, 0
	.set _ZN7rocprim17ROCPRIM_400000_NS6detail17trampoline_kernelINS0_14default_configENS1_35radix_sort_onesweep_config_selectorIjN6thrust23THRUST_200600_302600_NS5tupleIffNS6_9null_typeES8_S8_S8_S8_S8_S8_S8_EEEEZZNS1_29radix_sort_onesweep_iterationIS3_Lb0ENS6_6detail15normal_iteratorINS6_10device_ptrIjEEEESG_NSD_INSE_IS9_EEEESI_jNS0_19identity_decomposerENS1_16block_id_wrapperIjLb0EEEEE10hipError_tT1_PNSt15iterator_traitsISN_E10value_typeET2_T3_PNSO_IST_E10value_typeET4_T5_PSY_SZ_PNS1_23onesweep_lookback_stateEbbT6_jjT7_P12ihipStream_tbENKUlT_T0_SN_SS_E_clISG_PjSI_PS9_EEDaS16_S17_SN_SS_EUlS16_E_NS1_11comp_targetILNS1_3genE8ELNS1_11target_archE1030ELNS1_3gpuE2ELNS1_3repE0EEENS1_47radix_sort_onesweep_sort_config_static_selectorELNS0_4arch9wavefront6targetE0EEEvSN_.uses_vcc, 0
	.set _ZN7rocprim17ROCPRIM_400000_NS6detail17trampoline_kernelINS0_14default_configENS1_35radix_sort_onesweep_config_selectorIjN6thrust23THRUST_200600_302600_NS5tupleIffNS6_9null_typeES8_S8_S8_S8_S8_S8_S8_EEEEZZNS1_29radix_sort_onesweep_iterationIS3_Lb0ENS6_6detail15normal_iteratorINS6_10device_ptrIjEEEESG_NSD_INSE_IS9_EEEESI_jNS0_19identity_decomposerENS1_16block_id_wrapperIjLb0EEEEE10hipError_tT1_PNSt15iterator_traitsISN_E10value_typeET2_T3_PNSO_IST_E10value_typeET4_T5_PSY_SZ_PNS1_23onesweep_lookback_stateEbbT6_jjT7_P12ihipStream_tbENKUlT_T0_SN_SS_E_clISG_PjSI_PS9_EEDaS16_S17_SN_SS_EUlS16_E_NS1_11comp_targetILNS1_3genE8ELNS1_11target_archE1030ELNS1_3gpuE2ELNS1_3repE0EEENS1_47radix_sort_onesweep_sort_config_static_selectorELNS0_4arch9wavefront6targetE0EEEvSN_.uses_flat_scratch, 0
	.set _ZN7rocprim17ROCPRIM_400000_NS6detail17trampoline_kernelINS0_14default_configENS1_35radix_sort_onesweep_config_selectorIjN6thrust23THRUST_200600_302600_NS5tupleIffNS6_9null_typeES8_S8_S8_S8_S8_S8_S8_EEEEZZNS1_29radix_sort_onesweep_iterationIS3_Lb0ENS6_6detail15normal_iteratorINS6_10device_ptrIjEEEESG_NSD_INSE_IS9_EEEESI_jNS0_19identity_decomposerENS1_16block_id_wrapperIjLb0EEEEE10hipError_tT1_PNSt15iterator_traitsISN_E10value_typeET2_T3_PNSO_IST_E10value_typeET4_T5_PSY_SZ_PNS1_23onesweep_lookback_stateEbbT6_jjT7_P12ihipStream_tbENKUlT_T0_SN_SS_E_clISG_PjSI_PS9_EEDaS16_S17_SN_SS_EUlS16_E_NS1_11comp_targetILNS1_3genE8ELNS1_11target_archE1030ELNS1_3gpuE2ELNS1_3repE0EEENS1_47radix_sort_onesweep_sort_config_static_selectorELNS0_4arch9wavefront6targetE0EEEvSN_.has_dyn_sized_stack, 0
	.set _ZN7rocprim17ROCPRIM_400000_NS6detail17trampoline_kernelINS0_14default_configENS1_35radix_sort_onesweep_config_selectorIjN6thrust23THRUST_200600_302600_NS5tupleIffNS6_9null_typeES8_S8_S8_S8_S8_S8_S8_EEEEZZNS1_29radix_sort_onesweep_iterationIS3_Lb0ENS6_6detail15normal_iteratorINS6_10device_ptrIjEEEESG_NSD_INSE_IS9_EEEESI_jNS0_19identity_decomposerENS1_16block_id_wrapperIjLb0EEEEE10hipError_tT1_PNSt15iterator_traitsISN_E10value_typeET2_T3_PNSO_IST_E10value_typeET4_T5_PSY_SZ_PNS1_23onesweep_lookback_stateEbbT6_jjT7_P12ihipStream_tbENKUlT_T0_SN_SS_E_clISG_PjSI_PS9_EEDaS16_S17_SN_SS_EUlS16_E_NS1_11comp_targetILNS1_3genE8ELNS1_11target_archE1030ELNS1_3gpuE2ELNS1_3repE0EEENS1_47radix_sort_onesweep_sort_config_static_selectorELNS0_4arch9wavefront6targetE0EEEvSN_.has_recursion, 0
	.set _ZN7rocprim17ROCPRIM_400000_NS6detail17trampoline_kernelINS0_14default_configENS1_35radix_sort_onesweep_config_selectorIjN6thrust23THRUST_200600_302600_NS5tupleIffNS6_9null_typeES8_S8_S8_S8_S8_S8_S8_EEEEZZNS1_29radix_sort_onesweep_iterationIS3_Lb0ENS6_6detail15normal_iteratorINS6_10device_ptrIjEEEESG_NSD_INSE_IS9_EEEESI_jNS0_19identity_decomposerENS1_16block_id_wrapperIjLb0EEEEE10hipError_tT1_PNSt15iterator_traitsISN_E10value_typeET2_T3_PNSO_IST_E10value_typeET4_T5_PSY_SZ_PNS1_23onesweep_lookback_stateEbbT6_jjT7_P12ihipStream_tbENKUlT_T0_SN_SS_E_clISG_PjSI_PS9_EEDaS16_S17_SN_SS_EUlS16_E_NS1_11comp_targetILNS1_3genE8ELNS1_11target_archE1030ELNS1_3gpuE2ELNS1_3repE0EEENS1_47radix_sort_onesweep_sort_config_static_selectorELNS0_4arch9wavefront6targetE0EEEvSN_.has_indirect_call, 0
	.section	.AMDGPU.csdata,"",@progbits
; Kernel info:
; codeLenInByte = 0
; TotalNumSgprs: 0
; NumVgprs: 0
; ScratchSize: 0
; MemoryBound: 0
; FloatMode: 240
; IeeeMode: 1
; LDSByteSize: 0 bytes/workgroup (compile time only)
; SGPRBlocks: 0
; VGPRBlocks: 0
; NumSGPRsForWavesPerEU: 1
; NumVGPRsForWavesPerEU: 1
; Occupancy: 16
; WaveLimiterHint : 0
; COMPUTE_PGM_RSRC2:SCRATCH_EN: 0
; COMPUTE_PGM_RSRC2:USER_SGPR: 2
; COMPUTE_PGM_RSRC2:TRAP_HANDLER: 0
; COMPUTE_PGM_RSRC2:TGID_X_EN: 1
; COMPUTE_PGM_RSRC2:TGID_Y_EN: 0
; COMPUTE_PGM_RSRC2:TGID_Z_EN: 0
; COMPUTE_PGM_RSRC2:TIDIG_COMP_CNT: 0
	.section	.text._ZN7rocprim17ROCPRIM_400000_NS6detail17trampoline_kernelINS0_14default_configENS1_35radix_sort_onesweep_config_selectorIjN6thrust23THRUST_200600_302600_NS5tupleIffNS6_9null_typeES8_S8_S8_S8_S8_S8_S8_EEEEZZNS1_29radix_sort_onesweep_iterationIS3_Lb0ENS6_6detail15normal_iteratorINS6_10device_ptrIjEEEESG_NSD_INSE_IS9_EEEESI_jNS0_19identity_decomposerENS1_16block_id_wrapperIjLb0EEEEE10hipError_tT1_PNSt15iterator_traitsISN_E10value_typeET2_T3_PNSO_IST_E10value_typeET4_T5_PSY_SZ_PNS1_23onesweep_lookback_stateEbbT6_jjT7_P12ihipStream_tbENKUlT_T0_SN_SS_E_clIPjSG_PS9_SI_EEDaS16_S17_SN_SS_EUlS16_E_NS1_11comp_targetILNS1_3genE0ELNS1_11target_archE4294967295ELNS1_3gpuE0ELNS1_3repE0EEENS1_47radix_sort_onesweep_sort_config_static_selectorELNS0_4arch9wavefront6targetE0EEEvSN_,"axG",@progbits,_ZN7rocprim17ROCPRIM_400000_NS6detail17trampoline_kernelINS0_14default_configENS1_35radix_sort_onesweep_config_selectorIjN6thrust23THRUST_200600_302600_NS5tupleIffNS6_9null_typeES8_S8_S8_S8_S8_S8_S8_EEEEZZNS1_29radix_sort_onesweep_iterationIS3_Lb0ENS6_6detail15normal_iteratorINS6_10device_ptrIjEEEESG_NSD_INSE_IS9_EEEESI_jNS0_19identity_decomposerENS1_16block_id_wrapperIjLb0EEEEE10hipError_tT1_PNSt15iterator_traitsISN_E10value_typeET2_T3_PNSO_IST_E10value_typeET4_T5_PSY_SZ_PNS1_23onesweep_lookback_stateEbbT6_jjT7_P12ihipStream_tbENKUlT_T0_SN_SS_E_clIPjSG_PS9_SI_EEDaS16_S17_SN_SS_EUlS16_E_NS1_11comp_targetILNS1_3genE0ELNS1_11target_archE4294967295ELNS1_3gpuE0ELNS1_3repE0EEENS1_47radix_sort_onesweep_sort_config_static_selectorELNS0_4arch9wavefront6targetE0EEEvSN_,comdat
	.protected	_ZN7rocprim17ROCPRIM_400000_NS6detail17trampoline_kernelINS0_14default_configENS1_35radix_sort_onesweep_config_selectorIjN6thrust23THRUST_200600_302600_NS5tupleIffNS6_9null_typeES8_S8_S8_S8_S8_S8_S8_EEEEZZNS1_29radix_sort_onesweep_iterationIS3_Lb0ENS6_6detail15normal_iteratorINS6_10device_ptrIjEEEESG_NSD_INSE_IS9_EEEESI_jNS0_19identity_decomposerENS1_16block_id_wrapperIjLb0EEEEE10hipError_tT1_PNSt15iterator_traitsISN_E10value_typeET2_T3_PNSO_IST_E10value_typeET4_T5_PSY_SZ_PNS1_23onesweep_lookback_stateEbbT6_jjT7_P12ihipStream_tbENKUlT_T0_SN_SS_E_clIPjSG_PS9_SI_EEDaS16_S17_SN_SS_EUlS16_E_NS1_11comp_targetILNS1_3genE0ELNS1_11target_archE4294967295ELNS1_3gpuE0ELNS1_3repE0EEENS1_47radix_sort_onesweep_sort_config_static_selectorELNS0_4arch9wavefront6targetE0EEEvSN_ ; -- Begin function _ZN7rocprim17ROCPRIM_400000_NS6detail17trampoline_kernelINS0_14default_configENS1_35radix_sort_onesweep_config_selectorIjN6thrust23THRUST_200600_302600_NS5tupleIffNS6_9null_typeES8_S8_S8_S8_S8_S8_S8_EEEEZZNS1_29radix_sort_onesweep_iterationIS3_Lb0ENS6_6detail15normal_iteratorINS6_10device_ptrIjEEEESG_NSD_INSE_IS9_EEEESI_jNS0_19identity_decomposerENS1_16block_id_wrapperIjLb0EEEEE10hipError_tT1_PNSt15iterator_traitsISN_E10value_typeET2_T3_PNSO_IST_E10value_typeET4_T5_PSY_SZ_PNS1_23onesweep_lookback_stateEbbT6_jjT7_P12ihipStream_tbENKUlT_T0_SN_SS_E_clIPjSG_PS9_SI_EEDaS16_S17_SN_SS_EUlS16_E_NS1_11comp_targetILNS1_3genE0ELNS1_11target_archE4294967295ELNS1_3gpuE0ELNS1_3repE0EEENS1_47radix_sort_onesweep_sort_config_static_selectorELNS0_4arch9wavefront6targetE0EEEvSN_
	.globl	_ZN7rocprim17ROCPRIM_400000_NS6detail17trampoline_kernelINS0_14default_configENS1_35radix_sort_onesweep_config_selectorIjN6thrust23THRUST_200600_302600_NS5tupleIffNS6_9null_typeES8_S8_S8_S8_S8_S8_S8_EEEEZZNS1_29radix_sort_onesweep_iterationIS3_Lb0ENS6_6detail15normal_iteratorINS6_10device_ptrIjEEEESG_NSD_INSE_IS9_EEEESI_jNS0_19identity_decomposerENS1_16block_id_wrapperIjLb0EEEEE10hipError_tT1_PNSt15iterator_traitsISN_E10value_typeET2_T3_PNSO_IST_E10value_typeET4_T5_PSY_SZ_PNS1_23onesweep_lookback_stateEbbT6_jjT7_P12ihipStream_tbENKUlT_T0_SN_SS_E_clIPjSG_PS9_SI_EEDaS16_S17_SN_SS_EUlS16_E_NS1_11comp_targetILNS1_3genE0ELNS1_11target_archE4294967295ELNS1_3gpuE0ELNS1_3repE0EEENS1_47radix_sort_onesweep_sort_config_static_selectorELNS0_4arch9wavefront6targetE0EEEvSN_
	.p2align	8
	.type	_ZN7rocprim17ROCPRIM_400000_NS6detail17trampoline_kernelINS0_14default_configENS1_35radix_sort_onesweep_config_selectorIjN6thrust23THRUST_200600_302600_NS5tupleIffNS6_9null_typeES8_S8_S8_S8_S8_S8_S8_EEEEZZNS1_29radix_sort_onesweep_iterationIS3_Lb0ENS6_6detail15normal_iteratorINS6_10device_ptrIjEEEESG_NSD_INSE_IS9_EEEESI_jNS0_19identity_decomposerENS1_16block_id_wrapperIjLb0EEEEE10hipError_tT1_PNSt15iterator_traitsISN_E10value_typeET2_T3_PNSO_IST_E10value_typeET4_T5_PSY_SZ_PNS1_23onesweep_lookback_stateEbbT6_jjT7_P12ihipStream_tbENKUlT_T0_SN_SS_E_clIPjSG_PS9_SI_EEDaS16_S17_SN_SS_EUlS16_E_NS1_11comp_targetILNS1_3genE0ELNS1_11target_archE4294967295ELNS1_3gpuE0ELNS1_3repE0EEENS1_47radix_sort_onesweep_sort_config_static_selectorELNS0_4arch9wavefront6targetE0EEEvSN_,@function
_ZN7rocprim17ROCPRIM_400000_NS6detail17trampoline_kernelINS0_14default_configENS1_35radix_sort_onesweep_config_selectorIjN6thrust23THRUST_200600_302600_NS5tupleIffNS6_9null_typeES8_S8_S8_S8_S8_S8_S8_EEEEZZNS1_29radix_sort_onesweep_iterationIS3_Lb0ENS6_6detail15normal_iteratorINS6_10device_ptrIjEEEESG_NSD_INSE_IS9_EEEESI_jNS0_19identity_decomposerENS1_16block_id_wrapperIjLb0EEEEE10hipError_tT1_PNSt15iterator_traitsISN_E10value_typeET2_T3_PNSO_IST_E10value_typeET4_T5_PSY_SZ_PNS1_23onesweep_lookback_stateEbbT6_jjT7_P12ihipStream_tbENKUlT_T0_SN_SS_E_clIPjSG_PS9_SI_EEDaS16_S17_SN_SS_EUlS16_E_NS1_11comp_targetILNS1_3genE0ELNS1_11target_archE4294967295ELNS1_3gpuE0ELNS1_3repE0EEENS1_47radix_sort_onesweep_sort_config_static_selectorELNS0_4arch9wavefront6targetE0EEEvSN_: ; @_ZN7rocprim17ROCPRIM_400000_NS6detail17trampoline_kernelINS0_14default_configENS1_35radix_sort_onesweep_config_selectorIjN6thrust23THRUST_200600_302600_NS5tupleIffNS6_9null_typeES8_S8_S8_S8_S8_S8_S8_EEEEZZNS1_29radix_sort_onesweep_iterationIS3_Lb0ENS6_6detail15normal_iteratorINS6_10device_ptrIjEEEESG_NSD_INSE_IS9_EEEESI_jNS0_19identity_decomposerENS1_16block_id_wrapperIjLb0EEEEE10hipError_tT1_PNSt15iterator_traitsISN_E10value_typeET2_T3_PNSO_IST_E10value_typeET4_T5_PSY_SZ_PNS1_23onesweep_lookback_stateEbbT6_jjT7_P12ihipStream_tbENKUlT_T0_SN_SS_E_clIPjSG_PS9_SI_EEDaS16_S17_SN_SS_EUlS16_E_NS1_11comp_targetILNS1_3genE0ELNS1_11target_archE4294967295ELNS1_3gpuE0ELNS1_3repE0EEENS1_47radix_sort_onesweep_sort_config_static_selectorELNS0_4arch9wavefront6targetE0EEEvSN_
; %bb.0:
	.section	.rodata,"a",@progbits
	.p2align	6, 0x0
	.amdhsa_kernel _ZN7rocprim17ROCPRIM_400000_NS6detail17trampoline_kernelINS0_14default_configENS1_35radix_sort_onesweep_config_selectorIjN6thrust23THRUST_200600_302600_NS5tupleIffNS6_9null_typeES8_S8_S8_S8_S8_S8_S8_EEEEZZNS1_29radix_sort_onesweep_iterationIS3_Lb0ENS6_6detail15normal_iteratorINS6_10device_ptrIjEEEESG_NSD_INSE_IS9_EEEESI_jNS0_19identity_decomposerENS1_16block_id_wrapperIjLb0EEEEE10hipError_tT1_PNSt15iterator_traitsISN_E10value_typeET2_T3_PNSO_IST_E10value_typeET4_T5_PSY_SZ_PNS1_23onesweep_lookback_stateEbbT6_jjT7_P12ihipStream_tbENKUlT_T0_SN_SS_E_clIPjSG_PS9_SI_EEDaS16_S17_SN_SS_EUlS16_E_NS1_11comp_targetILNS1_3genE0ELNS1_11target_archE4294967295ELNS1_3gpuE0ELNS1_3repE0EEENS1_47radix_sort_onesweep_sort_config_static_selectorELNS0_4arch9wavefront6targetE0EEEvSN_
		.amdhsa_group_segment_fixed_size 0
		.amdhsa_private_segment_fixed_size 0
		.amdhsa_kernarg_size 88
		.amdhsa_user_sgpr_count 2
		.amdhsa_user_sgpr_dispatch_ptr 0
		.amdhsa_user_sgpr_queue_ptr 0
		.amdhsa_user_sgpr_kernarg_segment_ptr 1
		.amdhsa_user_sgpr_dispatch_id 0
		.amdhsa_user_sgpr_private_segment_size 0
		.amdhsa_wavefront_size32 1
		.amdhsa_uses_dynamic_stack 0
		.amdhsa_enable_private_segment 0
		.amdhsa_system_sgpr_workgroup_id_x 1
		.amdhsa_system_sgpr_workgroup_id_y 0
		.amdhsa_system_sgpr_workgroup_id_z 0
		.amdhsa_system_sgpr_workgroup_info 0
		.amdhsa_system_vgpr_workitem_id 0
		.amdhsa_next_free_vgpr 1
		.amdhsa_next_free_sgpr 1
		.amdhsa_reserve_vcc 0
		.amdhsa_float_round_mode_32 0
		.amdhsa_float_round_mode_16_64 0
		.amdhsa_float_denorm_mode_32 3
		.amdhsa_float_denorm_mode_16_64 3
		.amdhsa_fp16_overflow 0
		.amdhsa_workgroup_processor_mode 1
		.amdhsa_memory_ordered 1
		.amdhsa_forward_progress 1
		.amdhsa_inst_pref_size 0
		.amdhsa_round_robin_scheduling 0
		.amdhsa_exception_fp_ieee_invalid_op 0
		.amdhsa_exception_fp_denorm_src 0
		.amdhsa_exception_fp_ieee_div_zero 0
		.amdhsa_exception_fp_ieee_overflow 0
		.amdhsa_exception_fp_ieee_underflow 0
		.amdhsa_exception_fp_ieee_inexact 0
		.amdhsa_exception_int_div_zero 0
	.end_amdhsa_kernel
	.section	.text._ZN7rocprim17ROCPRIM_400000_NS6detail17trampoline_kernelINS0_14default_configENS1_35radix_sort_onesweep_config_selectorIjN6thrust23THRUST_200600_302600_NS5tupleIffNS6_9null_typeES8_S8_S8_S8_S8_S8_S8_EEEEZZNS1_29radix_sort_onesweep_iterationIS3_Lb0ENS6_6detail15normal_iteratorINS6_10device_ptrIjEEEESG_NSD_INSE_IS9_EEEESI_jNS0_19identity_decomposerENS1_16block_id_wrapperIjLb0EEEEE10hipError_tT1_PNSt15iterator_traitsISN_E10value_typeET2_T3_PNSO_IST_E10value_typeET4_T5_PSY_SZ_PNS1_23onesweep_lookback_stateEbbT6_jjT7_P12ihipStream_tbENKUlT_T0_SN_SS_E_clIPjSG_PS9_SI_EEDaS16_S17_SN_SS_EUlS16_E_NS1_11comp_targetILNS1_3genE0ELNS1_11target_archE4294967295ELNS1_3gpuE0ELNS1_3repE0EEENS1_47radix_sort_onesweep_sort_config_static_selectorELNS0_4arch9wavefront6targetE0EEEvSN_,"axG",@progbits,_ZN7rocprim17ROCPRIM_400000_NS6detail17trampoline_kernelINS0_14default_configENS1_35radix_sort_onesweep_config_selectorIjN6thrust23THRUST_200600_302600_NS5tupleIffNS6_9null_typeES8_S8_S8_S8_S8_S8_S8_EEEEZZNS1_29radix_sort_onesweep_iterationIS3_Lb0ENS6_6detail15normal_iteratorINS6_10device_ptrIjEEEESG_NSD_INSE_IS9_EEEESI_jNS0_19identity_decomposerENS1_16block_id_wrapperIjLb0EEEEE10hipError_tT1_PNSt15iterator_traitsISN_E10value_typeET2_T3_PNSO_IST_E10value_typeET4_T5_PSY_SZ_PNS1_23onesweep_lookback_stateEbbT6_jjT7_P12ihipStream_tbENKUlT_T0_SN_SS_E_clIPjSG_PS9_SI_EEDaS16_S17_SN_SS_EUlS16_E_NS1_11comp_targetILNS1_3genE0ELNS1_11target_archE4294967295ELNS1_3gpuE0ELNS1_3repE0EEENS1_47radix_sort_onesweep_sort_config_static_selectorELNS0_4arch9wavefront6targetE0EEEvSN_,comdat
.Lfunc_end220:
	.size	_ZN7rocprim17ROCPRIM_400000_NS6detail17trampoline_kernelINS0_14default_configENS1_35radix_sort_onesweep_config_selectorIjN6thrust23THRUST_200600_302600_NS5tupleIffNS6_9null_typeES8_S8_S8_S8_S8_S8_S8_EEEEZZNS1_29radix_sort_onesweep_iterationIS3_Lb0ENS6_6detail15normal_iteratorINS6_10device_ptrIjEEEESG_NSD_INSE_IS9_EEEESI_jNS0_19identity_decomposerENS1_16block_id_wrapperIjLb0EEEEE10hipError_tT1_PNSt15iterator_traitsISN_E10value_typeET2_T3_PNSO_IST_E10value_typeET4_T5_PSY_SZ_PNS1_23onesweep_lookback_stateEbbT6_jjT7_P12ihipStream_tbENKUlT_T0_SN_SS_E_clIPjSG_PS9_SI_EEDaS16_S17_SN_SS_EUlS16_E_NS1_11comp_targetILNS1_3genE0ELNS1_11target_archE4294967295ELNS1_3gpuE0ELNS1_3repE0EEENS1_47radix_sort_onesweep_sort_config_static_selectorELNS0_4arch9wavefront6targetE0EEEvSN_, .Lfunc_end220-_ZN7rocprim17ROCPRIM_400000_NS6detail17trampoline_kernelINS0_14default_configENS1_35radix_sort_onesweep_config_selectorIjN6thrust23THRUST_200600_302600_NS5tupleIffNS6_9null_typeES8_S8_S8_S8_S8_S8_S8_EEEEZZNS1_29radix_sort_onesweep_iterationIS3_Lb0ENS6_6detail15normal_iteratorINS6_10device_ptrIjEEEESG_NSD_INSE_IS9_EEEESI_jNS0_19identity_decomposerENS1_16block_id_wrapperIjLb0EEEEE10hipError_tT1_PNSt15iterator_traitsISN_E10value_typeET2_T3_PNSO_IST_E10value_typeET4_T5_PSY_SZ_PNS1_23onesweep_lookback_stateEbbT6_jjT7_P12ihipStream_tbENKUlT_T0_SN_SS_E_clIPjSG_PS9_SI_EEDaS16_S17_SN_SS_EUlS16_E_NS1_11comp_targetILNS1_3genE0ELNS1_11target_archE4294967295ELNS1_3gpuE0ELNS1_3repE0EEENS1_47radix_sort_onesweep_sort_config_static_selectorELNS0_4arch9wavefront6targetE0EEEvSN_
                                        ; -- End function
	.set _ZN7rocprim17ROCPRIM_400000_NS6detail17trampoline_kernelINS0_14default_configENS1_35radix_sort_onesweep_config_selectorIjN6thrust23THRUST_200600_302600_NS5tupleIffNS6_9null_typeES8_S8_S8_S8_S8_S8_S8_EEEEZZNS1_29radix_sort_onesweep_iterationIS3_Lb0ENS6_6detail15normal_iteratorINS6_10device_ptrIjEEEESG_NSD_INSE_IS9_EEEESI_jNS0_19identity_decomposerENS1_16block_id_wrapperIjLb0EEEEE10hipError_tT1_PNSt15iterator_traitsISN_E10value_typeET2_T3_PNSO_IST_E10value_typeET4_T5_PSY_SZ_PNS1_23onesweep_lookback_stateEbbT6_jjT7_P12ihipStream_tbENKUlT_T0_SN_SS_E_clIPjSG_PS9_SI_EEDaS16_S17_SN_SS_EUlS16_E_NS1_11comp_targetILNS1_3genE0ELNS1_11target_archE4294967295ELNS1_3gpuE0ELNS1_3repE0EEENS1_47radix_sort_onesweep_sort_config_static_selectorELNS0_4arch9wavefront6targetE0EEEvSN_.num_vgpr, 0
	.set _ZN7rocprim17ROCPRIM_400000_NS6detail17trampoline_kernelINS0_14default_configENS1_35radix_sort_onesweep_config_selectorIjN6thrust23THRUST_200600_302600_NS5tupleIffNS6_9null_typeES8_S8_S8_S8_S8_S8_S8_EEEEZZNS1_29radix_sort_onesweep_iterationIS3_Lb0ENS6_6detail15normal_iteratorINS6_10device_ptrIjEEEESG_NSD_INSE_IS9_EEEESI_jNS0_19identity_decomposerENS1_16block_id_wrapperIjLb0EEEEE10hipError_tT1_PNSt15iterator_traitsISN_E10value_typeET2_T3_PNSO_IST_E10value_typeET4_T5_PSY_SZ_PNS1_23onesweep_lookback_stateEbbT6_jjT7_P12ihipStream_tbENKUlT_T0_SN_SS_E_clIPjSG_PS9_SI_EEDaS16_S17_SN_SS_EUlS16_E_NS1_11comp_targetILNS1_3genE0ELNS1_11target_archE4294967295ELNS1_3gpuE0ELNS1_3repE0EEENS1_47radix_sort_onesweep_sort_config_static_selectorELNS0_4arch9wavefront6targetE0EEEvSN_.num_agpr, 0
	.set _ZN7rocprim17ROCPRIM_400000_NS6detail17trampoline_kernelINS0_14default_configENS1_35radix_sort_onesweep_config_selectorIjN6thrust23THRUST_200600_302600_NS5tupleIffNS6_9null_typeES8_S8_S8_S8_S8_S8_S8_EEEEZZNS1_29radix_sort_onesweep_iterationIS3_Lb0ENS6_6detail15normal_iteratorINS6_10device_ptrIjEEEESG_NSD_INSE_IS9_EEEESI_jNS0_19identity_decomposerENS1_16block_id_wrapperIjLb0EEEEE10hipError_tT1_PNSt15iterator_traitsISN_E10value_typeET2_T3_PNSO_IST_E10value_typeET4_T5_PSY_SZ_PNS1_23onesweep_lookback_stateEbbT6_jjT7_P12ihipStream_tbENKUlT_T0_SN_SS_E_clIPjSG_PS9_SI_EEDaS16_S17_SN_SS_EUlS16_E_NS1_11comp_targetILNS1_3genE0ELNS1_11target_archE4294967295ELNS1_3gpuE0ELNS1_3repE0EEENS1_47radix_sort_onesweep_sort_config_static_selectorELNS0_4arch9wavefront6targetE0EEEvSN_.numbered_sgpr, 0
	.set _ZN7rocprim17ROCPRIM_400000_NS6detail17trampoline_kernelINS0_14default_configENS1_35radix_sort_onesweep_config_selectorIjN6thrust23THRUST_200600_302600_NS5tupleIffNS6_9null_typeES8_S8_S8_S8_S8_S8_S8_EEEEZZNS1_29radix_sort_onesweep_iterationIS3_Lb0ENS6_6detail15normal_iteratorINS6_10device_ptrIjEEEESG_NSD_INSE_IS9_EEEESI_jNS0_19identity_decomposerENS1_16block_id_wrapperIjLb0EEEEE10hipError_tT1_PNSt15iterator_traitsISN_E10value_typeET2_T3_PNSO_IST_E10value_typeET4_T5_PSY_SZ_PNS1_23onesweep_lookback_stateEbbT6_jjT7_P12ihipStream_tbENKUlT_T0_SN_SS_E_clIPjSG_PS9_SI_EEDaS16_S17_SN_SS_EUlS16_E_NS1_11comp_targetILNS1_3genE0ELNS1_11target_archE4294967295ELNS1_3gpuE0ELNS1_3repE0EEENS1_47radix_sort_onesweep_sort_config_static_selectorELNS0_4arch9wavefront6targetE0EEEvSN_.num_named_barrier, 0
	.set _ZN7rocprim17ROCPRIM_400000_NS6detail17trampoline_kernelINS0_14default_configENS1_35radix_sort_onesweep_config_selectorIjN6thrust23THRUST_200600_302600_NS5tupleIffNS6_9null_typeES8_S8_S8_S8_S8_S8_S8_EEEEZZNS1_29radix_sort_onesweep_iterationIS3_Lb0ENS6_6detail15normal_iteratorINS6_10device_ptrIjEEEESG_NSD_INSE_IS9_EEEESI_jNS0_19identity_decomposerENS1_16block_id_wrapperIjLb0EEEEE10hipError_tT1_PNSt15iterator_traitsISN_E10value_typeET2_T3_PNSO_IST_E10value_typeET4_T5_PSY_SZ_PNS1_23onesweep_lookback_stateEbbT6_jjT7_P12ihipStream_tbENKUlT_T0_SN_SS_E_clIPjSG_PS9_SI_EEDaS16_S17_SN_SS_EUlS16_E_NS1_11comp_targetILNS1_3genE0ELNS1_11target_archE4294967295ELNS1_3gpuE0ELNS1_3repE0EEENS1_47radix_sort_onesweep_sort_config_static_selectorELNS0_4arch9wavefront6targetE0EEEvSN_.private_seg_size, 0
	.set _ZN7rocprim17ROCPRIM_400000_NS6detail17trampoline_kernelINS0_14default_configENS1_35radix_sort_onesweep_config_selectorIjN6thrust23THRUST_200600_302600_NS5tupleIffNS6_9null_typeES8_S8_S8_S8_S8_S8_S8_EEEEZZNS1_29radix_sort_onesweep_iterationIS3_Lb0ENS6_6detail15normal_iteratorINS6_10device_ptrIjEEEESG_NSD_INSE_IS9_EEEESI_jNS0_19identity_decomposerENS1_16block_id_wrapperIjLb0EEEEE10hipError_tT1_PNSt15iterator_traitsISN_E10value_typeET2_T3_PNSO_IST_E10value_typeET4_T5_PSY_SZ_PNS1_23onesweep_lookback_stateEbbT6_jjT7_P12ihipStream_tbENKUlT_T0_SN_SS_E_clIPjSG_PS9_SI_EEDaS16_S17_SN_SS_EUlS16_E_NS1_11comp_targetILNS1_3genE0ELNS1_11target_archE4294967295ELNS1_3gpuE0ELNS1_3repE0EEENS1_47radix_sort_onesweep_sort_config_static_selectorELNS0_4arch9wavefront6targetE0EEEvSN_.uses_vcc, 0
	.set _ZN7rocprim17ROCPRIM_400000_NS6detail17trampoline_kernelINS0_14default_configENS1_35radix_sort_onesweep_config_selectorIjN6thrust23THRUST_200600_302600_NS5tupleIffNS6_9null_typeES8_S8_S8_S8_S8_S8_S8_EEEEZZNS1_29radix_sort_onesweep_iterationIS3_Lb0ENS6_6detail15normal_iteratorINS6_10device_ptrIjEEEESG_NSD_INSE_IS9_EEEESI_jNS0_19identity_decomposerENS1_16block_id_wrapperIjLb0EEEEE10hipError_tT1_PNSt15iterator_traitsISN_E10value_typeET2_T3_PNSO_IST_E10value_typeET4_T5_PSY_SZ_PNS1_23onesweep_lookback_stateEbbT6_jjT7_P12ihipStream_tbENKUlT_T0_SN_SS_E_clIPjSG_PS9_SI_EEDaS16_S17_SN_SS_EUlS16_E_NS1_11comp_targetILNS1_3genE0ELNS1_11target_archE4294967295ELNS1_3gpuE0ELNS1_3repE0EEENS1_47radix_sort_onesweep_sort_config_static_selectorELNS0_4arch9wavefront6targetE0EEEvSN_.uses_flat_scratch, 0
	.set _ZN7rocprim17ROCPRIM_400000_NS6detail17trampoline_kernelINS0_14default_configENS1_35radix_sort_onesweep_config_selectorIjN6thrust23THRUST_200600_302600_NS5tupleIffNS6_9null_typeES8_S8_S8_S8_S8_S8_S8_EEEEZZNS1_29radix_sort_onesweep_iterationIS3_Lb0ENS6_6detail15normal_iteratorINS6_10device_ptrIjEEEESG_NSD_INSE_IS9_EEEESI_jNS0_19identity_decomposerENS1_16block_id_wrapperIjLb0EEEEE10hipError_tT1_PNSt15iterator_traitsISN_E10value_typeET2_T3_PNSO_IST_E10value_typeET4_T5_PSY_SZ_PNS1_23onesweep_lookback_stateEbbT6_jjT7_P12ihipStream_tbENKUlT_T0_SN_SS_E_clIPjSG_PS9_SI_EEDaS16_S17_SN_SS_EUlS16_E_NS1_11comp_targetILNS1_3genE0ELNS1_11target_archE4294967295ELNS1_3gpuE0ELNS1_3repE0EEENS1_47radix_sort_onesweep_sort_config_static_selectorELNS0_4arch9wavefront6targetE0EEEvSN_.has_dyn_sized_stack, 0
	.set _ZN7rocprim17ROCPRIM_400000_NS6detail17trampoline_kernelINS0_14default_configENS1_35radix_sort_onesweep_config_selectorIjN6thrust23THRUST_200600_302600_NS5tupleIffNS6_9null_typeES8_S8_S8_S8_S8_S8_S8_EEEEZZNS1_29radix_sort_onesweep_iterationIS3_Lb0ENS6_6detail15normal_iteratorINS6_10device_ptrIjEEEESG_NSD_INSE_IS9_EEEESI_jNS0_19identity_decomposerENS1_16block_id_wrapperIjLb0EEEEE10hipError_tT1_PNSt15iterator_traitsISN_E10value_typeET2_T3_PNSO_IST_E10value_typeET4_T5_PSY_SZ_PNS1_23onesweep_lookback_stateEbbT6_jjT7_P12ihipStream_tbENKUlT_T0_SN_SS_E_clIPjSG_PS9_SI_EEDaS16_S17_SN_SS_EUlS16_E_NS1_11comp_targetILNS1_3genE0ELNS1_11target_archE4294967295ELNS1_3gpuE0ELNS1_3repE0EEENS1_47radix_sort_onesweep_sort_config_static_selectorELNS0_4arch9wavefront6targetE0EEEvSN_.has_recursion, 0
	.set _ZN7rocprim17ROCPRIM_400000_NS6detail17trampoline_kernelINS0_14default_configENS1_35radix_sort_onesweep_config_selectorIjN6thrust23THRUST_200600_302600_NS5tupleIffNS6_9null_typeES8_S8_S8_S8_S8_S8_S8_EEEEZZNS1_29radix_sort_onesweep_iterationIS3_Lb0ENS6_6detail15normal_iteratorINS6_10device_ptrIjEEEESG_NSD_INSE_IS9_EEEESI_jNS0_19identity_decomposerENS1_16block_id_wrapperIjLb0EEEEE10hipError_tT1_PNSt15iterator_traitsISN_E10value_typeET2_T3_PNSO_IST_E10value_typeET4_T5_PSY_SZ_PNS1_23onesweep_lookback_stateEbbT6_jjT7_P12ihipStream_tbENKUlT_T0_SN_SS_E_clIPjSG_PS9_SI_EEDaS16_S17_SN_SS_EUlS16_E_NS1_11comp_targetILNS1_3genE0ELNS1_11target_archE4294967295ELNS1_3gpuE0ELNS1_3repE0EEENS1_47radix_sort_onesweep_sort_config_static_selectorELNS0_4arch9wavefront6targetE0EEEvSN_.has_indirect_call, 0
	.section	.AMDGPU.csdata,"",@progbits
; Kernel info:
; codeLenInByte = 0
; TotalNumSgprs: 0
; NumVgprs: 0
; ScratchSize: 0
; MemoryBound: 0
; FloatMode: 240
; IeeeMode: 1
; LDSByteSize: 0 bytes/workgroup (compile time only)
; SGPRBlocks: 0
; VGPRBlocks: 0
; NumSGPRsForWavesPerEU: 1
; NumVGPRsForWavesPerEU: 1
; Occupancy: 16
; WaveLimiterHint : 0
; COMPUTE_PGM_RSRC2:SCRATCH_EN: 0
; COMPUTE_PGM_RSRC2:USER_SGPR: 2
; COMPUTE_PGM_RSRC2:TRAP_HANDLER: 0
; COMPUTE_PGM_RSRC2:TGID_X_EN: 1
; COMPUTE_PGM_RSRC2:TGID_Y_EN: 0
; COMPUTE_PGM_RSRC2:TGID_Z_EN: 0
; COMPUTE_PGM_RSRC2:TIDIG_COMP_CNT: 0
	.section	.text._ZN7rocprim17ROCPRIM_400000_NS6detail17trampoline_kernelINS0_14default_configENS1_35radix_sort_onesweep_config_selectorIjN6thrust23THRUST_200600_302600_NS5tupleIffNS6_9null_typeES8_S8_S8_S8_S8_S8_S8_EEEEZZNS1_29radix_sort_onesweep_iterationIS3_Lb0ENS6_6detail15normal_iteratorINS6_10device_ptrIjEEEESG_NSD_INSE_IS9_EEEESI_jNS0_19identity_decomposerENS1_16block_id_wrapperIjLb0EEEEE10hipError_tT1_PNSt15iterator_traitsISN_E10value_typeET2_T3_PNSO_IST_E10value_typeET4_T5_PSY_SZ_PNS1_23onesweep_lookback_stateEbbT6_jjT7_P12ihipStream_tbENKUlT_T0_SN_SS_E_clIPjSG_PS9_SI_EEDaS16_S17_SN_SS_EUlS16_E_NS1_11comp_targetILNS1_3genE6ELNS1_11target_archE950ELNS1_3gpuE13ELNS1_3repE0EEENS1_47radix_sort_onesweep_sort_config_static_selectorELNS0_4arch9wavefront6targetE0EEEvSN_,"axG",@progbits,_ZN7rocprim17ROCPRIM_400000_NS6detail17trampoline_kernelINS0_14default_configENS1_35radix_sort_onesweep_config_selectorIjN6thrust23THRUST_200600_302600_NS5tupleIffNS6_9null_typeES8_S8_S8_S8_S8_S8_S8_EEEEZZNS1_29radix_sort_onesweep_iterationIS3_Lb0ENS6_6detail15normal_iteratorINS6_10device_ptrIjEEEESG_NSD_INSE_IS9_EEEESI_jNS0_19identity_decomposerENS1_16block_id_wrapperIjLb0EEEEE10hipError_tT1_PNSt15iterator_traitsISN_E10value_typeET2_T3_PNSO_IST_E10value_typeET4_T5_PSY_SZ_PNS1_23onesweep_lookback_stateEbbT6_jjT7_P12ihipStream_tbENKUlT_T0_SN_SS_E_clIPjSG_PS9_SI_EEDaS16_S17_SN_SS_EUlS16_E_NS1_11comp_targetILNS1_3genE6ELNS1_11target_archE950ELNS1_3gpuE13ELNS1_3repE0EEENS1_47radix_sort_onesweep_sort_config_static_selectorELNS0_4arch9wavefront6targetE0EEEvSN_,comdat
	.protected	_ZN7rocprim17ROCPRIM_400000_NS6detail17trampoline_kernelINS0_14default_configENS1_35radix_sort_onesweep_config_selectorIjN6thrust23THRUST_200600_302600_NS5tupleIffNS6_9null_typeES8_S8_S8_S8_S8_S8_S8_EEEEZZNS1_29radix_sort_onesweep_iterationIS3_Lb0ENS6_6detail15normal_iteratorINS6_10device_ptrIjEEEESG_NSD_INSE_IS9_EEEESI_jNS0_19identity_decomposerENS1_16block_id_wrapperIjLb0EEEEE10hipError_tT1_PNSt15iterator_traitsISN_E10value_typeET2_T3_PNSO_IST_E10value_typeET4_T5_PSY_SZ_PNS1_23onesweep_lookback_stateEbbT6_jjT7_P12ihipStream_tbENKUlT_T0_SN_SS_E_clIPjSG_PS9_SI_EEDaS16_S17_SN_SS_EUlS16_E_NS1_11comp_targetILNS1_3genE6ELNS1_11target_archE950ELNS1_3gpuE13ELNS1_3repE0EEENS1_47radix_sort_onesweep_sort_config_static_selectorELNS0_4arch9wavefront6targetE0EEEvSN_ ; -- Begin function _ZN7rocprim17ROCPRIM_400000_NS6detail17trampoline_kernelINS0_14default_configENS1_35radix_sort_onesweep_config_selectorIjN6thrust23THRUST_200600_302600_NS5tupleIffNS6_9null_typeES8_S8_S8_S8_S8_S8_S8_EEEEZZNS1_29radix_sort_onesweep_iterationIS3_Lb0ENS6_6detail15normal_iteratorINS6_10device_ptrIjEEEESG_NSD_INSE_IS9_EEEESI_jNS0_19identity_decomposerENS1_16block_id_wrapperIjLb0EEEEE10hipError_tT1_PNSt15iterator_traitsISN_E10value_typeET2_T3_PNSO_IST_E10value_typeET4_T5_PSY_SZ_PNS1_23onesweep_lookback_stateEbbT6_jjT7_P12ihipStream_tbENKUlT_T0_SN_SS_E_clIPjSG_PS9_SI_EEDaS16_S17_SN_SS_EUlS16_E_NS1_11comp_targetILNS1_3genE6ELNS1_11target_archE950ELNS1_3gpuE13ELNS1_3repE0EEENS1_47radix_sort_onesweep_sort_config_static_selectorELNS0_4arch9wavefront6targetE0EEEvSN_
	.globl	_ZN7rocprim17ROCPRIM_400000_NS6detail17trampoline_kernelINS0_14default_configENS1_35radix_sort_onesweep_config_selectorIjN6thrust23THRUST_200600_302600_NS5tupleIffNS6_9null_typeES8_S8_S8_S8_S8_S8_S8_EEEEZZNS1_29radix_sort_onesweep_iterationIS3_Lb0ENS6_6detail15normal_iteratorINS6_10device_ptrIjEEEESG_NSD_INSE_IS9_EEEESI_jNS0_19identity_decomposerENS1_16block_id_wrapperIjLb0EEEEE10hipError_tT1_PNSt15iterator_traitsISN_E10value_typeET2_T3_PNSO_IST_E10value_typeET4_T5_PSY_SZ_PNS1_23onesweep_lookback_stateEbbT6_jjT7_P12ihipStream_tbENKUlT_T0_SN_SS_E_clIPjSG_PS9_SI_EEDaS16_S17_SN_SS_EUlS16_E_NS1_11comp_targetILNS1_3genE6ELNS1_11target_archE950ELNS1_3gpuE13ELNS1_3repE0EEENS1_47radix_sort_onesweep_sort_config_static_selectorELNS0_4arch9wavefront6targetE0EEEvSN_
	.p2align	8
	.type	_ZN7rocprim17ROCPRIM_400000_NS6detail17trampoline_kernelINS0_14default_configENS1_35radix_sort_onesweep_config_selectorIjN6thrust23THRUST_200600_302600_NS5tupleIffNS6_9null_typeES8_S8_S8_S8_S8_S8_S8_EEEEZZNS1_29radix_sort_onesweep_iterationIS3_Lb0ENS6_6detail15normal_iteratorINS6_10device_ptrIjEEEESG_NSD_INSE_IS9_EEEESI_jNS0_19identity_decomposerENS1_16block_id_wrapperIjLb0EEEEE10hipError_tT1_PNSt15iterator_traitsISN_E10value_typeET2_T3_PNSO_IST_E10value_typeET4_T5_PSY_SZ_PNS1_23onesweep_lookback_stateEbbT6_jjT7_P12ihipStream_tbENKUlT_T0_SN_SS_E_clIPjSG_PS9_SI_EEDaS16_S17_SN_SS_EUlS16_E_NS1_11comp_targetILNS1_3genE6ELNS1_11target_archE950ELNS1_3gpuE13ELNS1_3repE0EEENS1_47radix_sort_onesweep_sort_config_static_selectorELNS0_4arch9wavefront6targetE0EEEvSN_,@function
_ZN7rocprim17ROCPRIM_400000_NS6detail17trampoline_kernelINS0_14default_configENS1_35radix_sort_onesweep_config_selectorIjN6thrust23THRUST_200600_302600_NS5tupleIffNS6_9null_typeES8_S8_S8_S8_S8_S8_S8_EEEEZZNS1_29radix_sort_onesweep_iterationIS3_Lb0ENS6_6detail15normal_iteratorINS6_10device_ptrIjEEEESG_NSD_INSE_IS9_EEEESI_jNS0_19identity_decomposerENS1_16block_id_wrapperIjLb0EEEEE10hipError_tT1_PNSt15iterator_traitsISN_E10value_typeET2_T3_PNSO_IST_E10value_typeET4_T5_PSY_SZ_PNS1_23onesweep_lookback_stateEbbT6_jjT7_P12ihipStream_tbENKUlT_T0_SN_SS_E_clIPjSG_PS9_SI_EEDaS16_S17_SN_SS_EUlS16_E_NS1_11comp_targetILNS1_3genE6ELNS1_11target_archE950ELNS1_3gpuE13ELNS1_3repE0EEENS1_47radix_sort_onesweep_sort_config_static_selectorELNS0_4arch9wavefront6targetE0EEEvSN_: ; @_ZN7rocprim17ROCPRIM_400000_NS6detail17trampoline_kernelINS0_14default_configENS1_35radix_sort_onesweep_config_selectorIjN6thrust23THRUST_200600_302600_NS5tupleIffNS6_9null_typeES8_S8_S8_S8_S8_S8_S8_EEEEZZNS1_29radix_sort_onesweep_iterationIS3_Lb0ENS6_6detail15normal_iteratorINS6_10device_ptrIjEEEESG_NSD_INSE_IS9_EEEESI_jNS0_19identity_decomposerENS1_16block_id_wrapperIjLb0EEEEE10hipError_tT1_PNSt15iterator_traitsISN_E10value_typeET2_T3_PNSO_IST_E10value_typeET4_T5_PSY_SZ_PNS1_23onesweep_lookback_stateEbbT6_jjT7_P12ihipStream_tbENKUlT_T0_SN_SS_E_clIPjSG_PS9_SI_EEDaS16_S17_SN_SS_EUlS16_E_NS1_11comp_targetILNS1_3genE6ELNS1_11target_archE950ELNS1_3gpuE13ELNS1_3repE0EEENS1_47radix_sort_onesweep_sort_config_static_selectorELNS0_4arch9wavefront6targetE0EEEvSN_
; %bb.0:
	.section	.rodata,"a",@progbits
	.p2align	6, 0x0
	.amdhsa_kernel _ZN7rocprim17ROCPRIM_400000_NS6detail17trampoline_kernelINS0_14default_configENS1_35radix_sort_onesweep_config_selectorIjN6thrust23THRUST_200600_302600_NS5tupleIffNS6_9null_typeES8_S8_S8_S8_S8_S8_S8_EEEEZZNS1_29radix_sort_onesweep_iterationIS3_Lb0ENS6_6detail15normal_iteratorINS6_10device_ptrIjEEEESG_NSD_INSE_IS9_EEEESI_jNS0_19identity_decomposerENS1_16block_id_wrapperIjLb0EEEEE10hipError_tT1_PNSt15iterator_traitsISN_E10value_typeET2_T3_PNSO_IST_E10value_typeET4_T5_PSY_SZ_PNS1_23onesweep_lookback_stateEbbT6_jjT7_P12ihipStream_tbENKUlT_T0_SN_SS_E_clIPjSG_PS9_SI_EEDaS16_S17_SN_SS_EUlS16_E_NS1_11comp_targetILNS1_3genE6ELNS1_11target_archE950ELNS1_3gpuE13ELNS1_3repE0EEENS1_47radix_sort_onesweep_sort_config_static_selectorELNS0_4arch9wavefront6targetE0EEEvSN_
		.amdhsa_group_segment_fixed_size 0
		.amdhsa_private_segment_fixed_size 0
		.amdhsa_kernarg_size 88
		.amdhsa_user_sgpr_count 2
		.amdhsa_user_sgpr_dispatch_ptr 0
		.amdhsa_user_sgpr_queue_ptr 0
		.amdhsa_user_sgpr_kernarg_segment_ptr 1
		.amdhsa_user_sgpr_dispatch_id 0
		.amdhsa_user_sgpr_private_segment_size 0
		.amdhsa_wavefront_size32 1
		.amdhsa_uses_dynamic_stack 0
		.amdhsa_enable_private_segment 0
		.amdhsa_system_sgpr_workgroup_id_x 1
		.amdhsa_system_sgpr_workgroup_id_y 0
		.amdhsa_system_sgpr_workgroup_id_z 0
		.amdhsa_system_sgpr_workgroup_info 0
		.amdhsa_system_vgpr_workitem_id 0
		.amdhsa_next_free_vgpr 1
		.amdhsa_next_free_sgpr 1
		.amdhsa_reserve_vcc 0
		.amdhsa_float_round_mode_32 0
		.amdhsa_float_round_mode_16_64 0
		.amdhsa_float_denorm_mode_32 3
		.amdhsa_float_denorm_mode_16_64 3
		.amdhsa_fp16_overflow 0
		.amdhsa_workgroup_processor_mode 1
		.amdhsa_memory_ordered 1
		.amdhsa_forward_progress 1
		.amdhsa_inst_pref_size 0
		.amdhsa_round_robin_scheduling 0
		.amdhsa_exception_fp_ieee_invalid_op 0
		.amdhsa_exception_fp_denorm_src 0
		.amdhsa_exception_fp_ieee_div_zero 0
		.amdhsa_exception_fp_ieee_overflow 0
		.amdhsa_exception_fp_ieee_underflow 0
		.amdhsa_exception_fp_ieee_inexact 0
		.amdhsa_exception_int_div_zero 0
	.end_amdhsa_kernel
	.section	.text._ZN7rocprim17ROCPRIM_400000_NS6detail17trampoline_kernelINS0_14default_configENS1_35radix_sort_onesweep_config_selectorIjN6thrust23THRUST_200600_302600_NS5tupleIffNS6_9null_typeES8_S8_S8_S8_S8_S8_S8_EEEEZZNS1_29radix_sort_onesweep_iterationIS3_Lb0ENS6_6detail15normal_iteratorINS6_10device_ptrIjEEEESG_NSD_INSE_IS9_EEEESI_jNS0_19identity_decomposerENS1_16block_id_wrapperIjLb0EEEEE10hipError_tT1_PNSt15iterator_traitsISN_E10value_typeET2_T3_PNSO_IST_E10value_typeET4_T5_PSY_SZ_PNS1_23onesweep_lookback_stateEbbT6_jjT7_P12ihipStream_tbENKUlT_T0_SN_SS_E_clIPjSG_PS9_SI_EEDaS16_S17_SN_SS_EUlS16_E_NS1_11comp_targetILNS1_3genE6ELNS1_11target_archE950ELNS1_3gpuE13ELNS1_3repE0EEENS1_47radix_sort_onesweep_sort_config_static_selectorELNS0_4arch9wavefront6targetE0EEEvSN_,"axG",@progbits,_ZN7rocprim17ROCPRIM_400000_NS6detail17trampoline_kernelINS0_14default_configENS1_35radix_sort_onesweep_config_selectorIjN6thrust23THRUST_200600_302600_NS5tupleIffNS6_9null_typeES8_S8_S8_S8_S8_S8_S8_EEEEZZNS1_29radix_sort_onesweep_iterationIS3_Lb0ENS6_6detail15normal_iteratorINS6_10device_ptrIjEEEESG_NSD_INSE_IS9_EEEESI_jNS0_19identity_decomposerENS1_16block_id_wrapperIjLb0EEEEE10hipError_tT1_PNSt15iterator_traitsISN_E10value_typeET2_T3_PNSO_IST_E10value_typeET4_T5_PSY_SZ_PNS1_23onesweep_lookback_stateEbbT6_jjT7_P12ihipStream_tbENKUlT_T0_SN_SS_E_clIPjSG_PS9_SI_EEDaS16_S17_SN_SS_EUlS16_E_NS1_11comp_targetILNS1_3genE6ELNS1_11target_archE950ELNS1_3gpuE13ELNS1_3repE0EEENS1_47radix_sort_onesweep_sort_config_static_selectorELNS0_4arch9wavefront6targetE0EEEvSN_,comdat
.Lfunc_end221:
	.size	_ZN7rocprim17ROCPRIM_400000_NS6detail17trampoline_kernelINS0_14default_configENS1_35radix_sort_onesweep_config_selectorIjN6thrust23THRUST_200600_302600_NS5tupleIffNS6_9null_typeES8_S8_S8_S8_S8_S8_S8_EEEEZZNS1_29radix_sort_onesweep_iterationIS3_Lb0ENS6_6detail15normal_iteratorINS6_10device_ptrIjEEEESG_NSD_INSE_IS9_EEEESI_jNS0_19identity_decomposerENS1_16block_id_wrapperIjLb0EEEEE10hipError_tT1_PNSt15iterator_traitsISN_E10value_typeET2_T3_PNSO_IST_E10value_typeET4_T5_PSY_SZ_PNS1_23onesweep_lookback_stateEbbT6_jjT7_P12ihipStream_tbENKUlT_T0_SN_SS_E_clIPjSG_PS9_SI_EEDaS16_S17_SN_SS_EUlS16_E_NS1_11comp_targetILNS1_3genE6ELNS1_11target_archE950ELNS1_3gpuE13ELNS1_3repE0EEENS1_47radix_sort_onesweep_sort_config_static_selectorELNS0_4arch9wavefront6targetE0EEEvSN_, .Lfunc_end221-_ZN7rocprim17ROCPRIM_400000_NS6detail17trampoline_kernelINS0_14default_configENS1_35radix_sort_onesweep_config_selectorIjN6thrust23THRUST_200600_302600_NS5tupleIffNS6_9null_typeES8_S8_S8_S8_S8_S8_S8_EEEEZZNS1_29radix_sort_onesweep_iterationIS3_Lb0ENS6_6detail15normal_iteratorINS6_10device_ptrIjEEEESG_NSD_INSE_IS9_EEEESI_jNS0_19identity_decomposerENS1_16block_id_wrapperIjLb0EEEEE10hipError_tT1_PNSt15iterator_traitsISN_E10value_typeET2_T3_PNSO_IST_E10value_typeET4_T5_PSY_SZ_PNS1_23onesweep_lookback_stateEbbT6_jjT7_P12ihipStream_tbENKUlT_T0_SN_SS_E_clIPjSG_PS9_SI_EEDaS16_S17_SN_SS_EUlS16_E_NS1_11comp_targetILNS1_3genE6ELNS1_11target_archE950ELNS1_3gpuE13ELNS1_3repE0EEENS1_47radix_sort_onesweep_sort_config_static_selectorELNS0_4arch9wavefront6targetE0EEEvSN_
                                        ; -- End function
	.set _ZN7rocprim17ROCPRIM_400000_NS6detail17trampoline_kernelINS0_14default_configENS1_35radix_sort_onesweep_config_selectorIjN6thrust23THRUST_200600_302600_NS5tupleIffNS6_9null_typeES8_S8_S8_S8_S8_S8_S8_EEEEZZNS1_29radix_sort_onesweep_iterationIS3_Lb0ENS6_6detail15normal_iteratorINS6_10device_ptrIjEEEESG_NSD_INSE_IS9_EEEESI_jNS0_19identity_decomposerENS1_16block_id_wrapperIjLb0EEEEE10hipError_tT1_PNSt15iterator_traitsISN_E10value_typeET2_T3_PNSO_IST_E10value_typeET4_T5_PSY_SZ_PNS1_23onesweep_lookback_stateEbbT6_jjT7_P12ihipStream_tbENKUlT_T0_SN_SS_E_clIPjSG_PS9_SI_EEDaS16_S17_SN_SS_EUlS16_E_NS1_11comp_targetILNS1_3genE6ELNS1_11target_archE950ELNS1_3gpuE13ELNS1_3repE0EEENS1_47radix_sort_onesweep_sort_config_static_selectorELNS0_4arch9wavefront6targetE0EEEvSN_.num_vgpr, 0
	.set _ZN7rocprim17ROCPRIM_400000_NS6detail17trampoline_kernelINS0_14default_configENS1_35radix_sort_onesweep_config_selectorIjN6thrust23THRUST_200600_302600_NS5tupleIffNS6_9null_typeES8_S8_S8_S8_S8_S8_S8_EEEEZZNS1_29radix_sort_onesweep_iterationIS3_Lb0ENS6_6detail15normal_iteratorINS6_10device_ptrIjEEEESG_NSD_INSE_IS9_EEEESI_jNS0_19identity_decomposerENS1_16block_id_wrapperIjLb0EEEEE10hipError_tT1_PNSt15iterator_traitsISN_E10value_typeET2_T3_PNSO_IST_E10value_typeET4_T5_PSY_SZ_PNS1_23onesweep_lookback_stateEbbT6_jjT7_P12ihipStream_tbENKUlT_T0_SN_SS_E_clIPjSG_PS9_SI_EEDaS16_S17_SN_SS_EUlS16_E_NS1_11comp_targetILNS1_3genE6ELNS1_11target_archE950ELNS1_3gpuE13ELNS1_3repE0EEENS1_47radix_sort_onesweep_sort_config_static_selectorELNS0_4arch9wavefront6targetE0EEEvSN_.num_agpr, 0
	.set _ZN7rocprim17ROCPRIM_400000_NS6detail17trampoline_kernelINS0_14default_configENS1_35radix_sort_onesweep_config_selectorIjN6thrust23THRUST_200600_302600_NS5tupleIffNS6_9null_typeES8_S8_S8_S8_S8_S8_S8_EEEEZZNS1_29radix_sort_onesweep_iterationIS3_Lb0ENS6_6detail15normal_iteratorINS6_10device_ptrIjEEEESG_NSD_INSE_IS9_EEEESI_jNS0_19identity_decomposerENS1_16block_id_wrapperIjLb0EEEEE10hipError_tT1_PNSt15iterator_traitsISN_E10value_typeET2_T3_PNSO_IST_E10value_typeET4_T5_PSY_SZ_PNS1_23onesweep_lookback_stateEbbT6_jjT7_P12ihipStream_tbENKUlT_T0_SN_SS_E_clIPjSG_PS9_SI_EEDaS16_S17_SN_SS_EUlS16_E_NS1_11comp_targetILNS1_3genE6ELNS1_11target_archE950ELNS1_3gpuE13ELNS1_3repE0EEENS1_47radix_sort_onesweep_sort_config_static_selectorELNS0_4arch9wavefront6targetE0EEEvSN_.numbered_sgpr, 0
	.set _ZN7rocprim17ROCPRIM_400000_NS6detail17trampoline_kernelINS0_14default_configENS1_35radix_sort_onesweep_config_selectorIjN6thrust23THRUST_200600_302600_NS5tupleIffNS6_9null_typeES8_S8_S8_S8_S8_S8_S8_EEEEZZNS1_29radix_sort_onesweep_iterationIS3_Lb0ENS6_6detail15normal_iteratorINS6_10device_ptrIjEEEESG_NSD_INSE_IS9_EEEESI_jNS0_19identity_decomposerENS1_16block_id_wrapperIjLb0EEEEE10hipError_tT1_PNSt15iterator_traitsISN_E10value_typeET2_T3_PNSO_IST_E10value_typeET4_T5_PSY_SZ_PNS1_23onesweep_lookback_stateEbbT6_jjT7_P12ihipStream_tbENKUlT_T0_SN_SS_E_clIPjSG_PS9_SI_EEDaS16_S17_SN_SS_EUlS16_E_NS1_11comp_targetILNS1_3genE6ELNS1_11target_archE950ELNS1_3gpuE13ELNS1_3repE0EEENS1_47radix_sort_onesweep_sort_config_static_selectorELNS0_4arch9wavefront6targetE0EEEvSN_.num_named_barrier, 0
	.set _ZN7rocprim17ROCPRIM_400000_NS6detail17trampoline_kernelINS0_14default_configENS1_35radix_sort_onesweep_config_selectorIjN6thrust23THRUST_200600_302600_NS5tupleIffNS6_9null_typeES8_S8_S8_S8_S8_S8_S8_EEEEZZNS1_29radix_sort_onesweep_iterationIS3_Lb0ENS6_6detail15normal_iteratorINS6_10device_ptrIjEEEESG_NSD_INSE_IS9_EEEESI_jNS0_19identity_decomposerENS1_16block_id_wrapperIjLb0EEEEE10hipError_tT1_PNSt15iterator_traitsISN_E10value_typeET2_T3_PNSO_IST_E10value_typeET4_T5_PSY_SZ_PNS1_23onesweep_lookback_stateEbbT6_jjT7_P12ihipStream_tbENKUlT_T0_SN_SS_E_clIPjSG_PS9_SI_EEDaS16_S17_SN_SS_EUlS16_E_NS1_11comp_targetILNS1_3genE6ELNS1_11target_archE950ELNS1_3gpuE13ELNS1_3repE0EEENS1_47radix_sort_onesweep_sort_config_static_selectorELNS0_4arch9wavefront6targetE0EEEvSN_.private_seg_size, 0
	.set _ZN7rocprim17ROCPRIM_400000_NS6detail17trampoline_kernelINS0_14default_configENS1_35radix_sort_onesweep_config_selectorIjN6thrust23THRUST_200600_302600_NS5tupleIffNS6_9null_typeES8_S8_S8_S8_S8_S8_S8_EEEEZZNS1_29radix_sort_onesweep_iterationIS3_Lb0ENS6_6detail15normal_iteratorINS6_10device_ptrIjEEEESG_NSD_INSE_IS9_EEEESI_jNS0_19identity_decomposerENS1_16block_id_wrapperIjLb0EEEEE10hipError_tT1_PNSt15iterator_traitsISN_E10value_typeET2_T3_PNSO_IST_E10value_typeET4_T5_PSY_SZ_PNS1_23onesweep_lookback_stateEbbT6_jjT7_P12ihipStream_tbENKUlT_T0_SN_SS_E_clIPjSG_PS9_SI_EEDaS16_S17_SN_SS_EUlS16_E_NS1_11comp_targetILNS1_3genE6ELNS1_11target_archE950ELNS1_3gpuE13ELNS1_3repE0EEENS1_47radix_sort_onesweep_sort_config_static_selectorELNS0_4arch9wavefront6targetE0EEEvSN_.uses_vcc, 0
	.set _ZN7rocprim17ROCPRIM_400000_NS6detail17trampoline_kernelINS0_14default_configENS1_35radix_sort_onesweep_config_selectorIjN6thrust23THRUST_200600_302600_NS5tupleIffNS6_9null_typeES8_S8_S8_S8_S8_S8_S8_EEEEZZNS1_29radix_sort_onesweep_iterationIS3_Lb0ENS6_6detail15normal_iteratorINS6_10device_ptrIjEEEESG_NSD_INSE_IS9_EEEESI_jNS0_19identity_decomposerENS1_16block_id_wrapperIjLb0EEEEE10hipError_tT1_PNSt15iterator_traitsISN_E10value_typeET2_T3_PNSO_IST_E10value_typeET4_T5_PSY_SZ_PNS1_23onesweep_lookback_stateEbbT6_jjT7_P12ihipStream_tbENKUlT_T0_SN_SS_E_clIPjSG_PS9_SI_EEDaS16_S17_SN_SS_EUlS16_E_NS1_11comp_targetILNS1_3genE6ELNS1_11target_archE950ELNS1_3gpuE13ELNS1_3repE0EEENS1_47radix_sort_onesweep_sort_config_static_selectorELNS0_4arch9wavefront6targetE0EEEvSN_.uses_flat_scratch, 0
	.set _ZN7rocprim17ROCPRIM_400000_NS6detail17trampoline_kernelINS0_14default_configENS1_35radix_sort_onesweep_config_selectorIjN6thrust23THRUST_200600_302600_NS5tupleIffNS6_9null_typeES8_S8_S8_S8_S8_S8_S8_EEEEZZNS1_29radix_sort_onesweep_iterationIS3_Lb0ENS6_6detail15normal_iteratorINS6_10device_ptrIjEEEESG_NSD_INSE_IS9_EEEESI_jNS0_19identity_decomposerENS1_16block_id_wrapperIjLb0EEEEE10hipError_tT1_PNSt15iterator_traitsISN_E10value_typeET2_T3_PNSO_IST_E10value_typeET4_T5_PSY_SZ_PNS1_23onesweep_lookback_stateEbbT6_jjT7_P12ihipStream_tbENKUlT_T0_SN_SS_E_clIPjSG_PS9_SI_EEDaS16_S17_SN_SS_EUlS16_E_NS1_11comp_targetILNS1_3genE6ELNS1_11target_archE950ELNS1_3gpuE13ELNS1_3repE0EEENS1_47radix_sort_onesweep_sort_config_static_selectorELNS0_4arch9wavefront6targetE0EEEvSN_.has_dyn_sized_stack, 0
	.set _ZN7rocprim17ROCPRIM_400000_NS6detail17trampoline_kernelINS0_14default_configENS1_35radix_sort_onesweep_config_selectorIjN6thrust23THRUST_200600_302600_NS5tupleIffNS6_9null_typeES8_S8_S8_S8_S8_S8_S8_EEEEZZNS1_29radix_sort_onesweep_iterationIS3_Lb0ENS6_6detail15normal_iteratorINS6_10device_ptrIjEEEESG_NSD_INSE_IS9_EEEESI_jNS0_19identity_decomposerENS1_16block_id_wrapperIjLb0EEEEE10hipError_tT1_PNSt15iterator_traitsISN_E10value_typeET2_T3_PNSO_IST_E10value_typeET4_T5_PSY_SZ_PNS1_23onesweep_lookback_stateEbbT6_jjT7_P12ihipStream_tbENKUlT_T0_SN_SS_E_clIPjSG_PS9_SI_EEDaS16_S17_SN_SS_EUlS16_E_NS1_11comp_targetILNS1_3genE6ELNS1_11target_archE950ELNS1_3gpuE13ELNS1_3repE0EEENS1_47radix_sort_onesweep_sort_config_static_selectorELNS0_4arch9wavefront6targetE0EEEvSN_.has_recursion, 0
	.set _ZN7rocprim17ROCPRIM_400000_NS6detail17trampoline_kernelINS0_14default_configENS1_35radix_sort_onesweep_config_selectorIjN6thrust23THRUST_200600_302600_NS5tupleIffNS6_9null_typeES8_S8_S8_S8_S8_S8_S8_EEEEZZNS1_29radix_sort_onesweep_iterationIS3_Lb0ENS6_6detail15normal_iteratorINS6_10device_ptrIjEEEESG_NSD_INSE_IS9_EEEESI_jNS0_19identity_decomposerENS1_16block_id_wrapperIjLb0EEEEE10hipError_tT1_PNSt15iterator_traitsISN_E10value_typeET2_T3_PNSO_IST_E10value_typeET4_T5_PSY_SZ_PNS1_23onesweep_lookback_stateEbbT6_jjT7_P12ihipStream_tbENKUlT_T0_SN_SS_E_clIPjSG_PS9_SI_EEDaS16_S17_SN_SS_EUlS16_E_NS1_11comp_targetILNS1_3genE6ELNS1_11target_archE950ELNS1_3gpuE13ELNS1_3repE0EEENS1_47radix_sort_onesweep_sort_config_static_selectorELNS0_4arch9wavefront6targetE0EEEvSN_.has_indirect_call, 0
	.section	.AMDGPU.csdata,"",@progbits
; Kernel info:
; codeLenInByte = 0
; TotalNumSgprs: 0
; NumVgprs: 0
; ScratchSize: 0
; MemoryBound: 0
; FloatMode: 240
; IeeeMode: 1
; LDSByteSize: 0 bytes/workgroup (compile time only)
; SGPRBlocks: 0
; VGPRBlocks: 0
; NumSGPRsForWavesPerEU: 1
; NumVGPRsForWavesPerEU: 1
; Occupancy: 16
; WaveLimiterHint : 0
; COMPUTE_PGM_RSRC2:SCRATCH_EN: 0
; COMPUTE_PGM_RSRC2:USER_SGPR: 2
; COMPUTE_PGM_RSRC2:TRAP_HANDLER: 0
; COMPUTE_PGM_RSRC2:TGID_X_EN: 1
; COMPUTE_PGM_RSRC2:TGID_Y_EN: 0
; COMPUTE_PGM_RSRC2:TGID_Z_EN: 0
; COMPUTE_PGM_RSRC2:TIDIG_COMP_CNT: 0
	.section	.text._ZN7rocprim17ROCPRIM_400000_NS6detail17trampoline_kernelINS0_14default_configENS1_35radix_sort_onesweep_config_selectorIjN6thrust23THRUST_200600_302600_NS5tupleIffNS6_9null_typeES8_S8_S8_S8_S8_S8_S8_EEEEZZNS1_29radix_sort_onesweep_iterationIS3_Lb0ENS6_6detail15normal_iteratorINS6_10device_ptrIjEEEESG_NSD_INSE_IS9_EEEESI_jNS0_19identity_decomposerENS1_16block_id_wrapperIjLb0EEEEE10hipError_tT1_PNSt15iterator_traitsISN_E10value_typeET2_T3_PNSO_IST_E10value_typeET4_T5_PSY_SZ_PNS1_23onesweep_lookback_stateEbbT6_jjT7_P12ihipStream_tbENKUlT_T0_SN_SS_E_clIPjSG_PS9_SI_EEDaS16_S17_SN_SS_EUlS16_E_NS1_11comp_targetILNS1_3genE5ELNS1_11target_archE942ELNS1_3gpuE9ELNS1_3repE0EEENS1_47radix_sort_onesweep_sort_config_static_selectorELNS0_4arch9wavefront6targetE0EEEvSN_,"axG",@progbits,_ZN7rocprim17ROCPRIM_400000_NS6detail17trampoline_kernelINS0_14default_configENS1_35radix_sort_onesweep_config_selectorIjN6thrust23THRUST_200600_302600_NS5tupleIffNS6_9null_typeES8_S8_S8_S8_S8_S8_S8_EEEEZZNS1_29radix_sort_onesweep_iterationIS3_Lb0ENS6_6detail15normal_iteratorINS6_10device_ptrIjEEEESG_NSD_INSE_IS9_EEEESI_jNS0_19identity_decomposerENS1_16block_id_wrapperIjLb0EEEEE10hipError_tT1_PNSt15iterator_traitsISN_E10value_typeET2_T3_PNSO_IST_E10value_typeET4_T5_PSY_SZ_PNS1_23onesweep_lookback_stateEbbT6_jjT7_P12ihipStream_tbENKUlT_T0_SN_SS_E_clIPjSG_PS9_SI_EEDaS16_S17_SN_SS_EUlS16_E_NS1_11comp_targetILNS1_3genE5ELNS1_11target_archE942ELNS1_3gpuE9ELNS1_3repE0EEENS1_47radix_sort_onesweep_sort_config_static_selectorELNS0_4arch9wavefront6targetE0EEEvSN_,comdat
	.protected	_ZN7rocprim17ROCPRIM_400000_NS6detail17trampoline_kernelINS0_14default_configENS1_35radix_sort_onesweep_config_selectorIjN6thrust23THRUST_200600_302600_NS5tupleIffNS6_9null_typeES8_S8_S8_S8_S8_S8_S8_EEEEZZNS1_29radix_sort_onesweep_iterationIS3_Lb0ENS6_6detail15normal_iteratorINS6_10device_ptrIjEEEESG_NSD_INSE_IS9_EEEESI_jNS0_19identity_decomposerENS1_16block_id_wrapperIjLb0EEEEE10hipError_tT1_PNSt15iterator_traitsISN_E10value_typeET2_T3_PNSO_IST_E10value_typeET4_T5_PSY_SZ_PNS1_23onesweep_lookback_stateEbbT6_jjT7_P12ihipStream_tbENKUlT_T0_SN_SS_E_clIPjSG_PS9_SI_EEDaS16_S17_SN_SS_EUlS16_E_NS1_11comp_targetILNS1_3genE5ELNS1_11target_archE942ELNS1_3gpuE9ELNS1_3repE0EEENS1_47radix_sort_onesweep_sort_config_static_selectorELNS0_4arch9wavefront6targetE0EEEvSN_ ; -- Begin function _ZN7rocprim17ROCPRIM_400000_NS6detail17trampoline_kernelINS0_14default_configENS1_35radix_sort_onesweep_config_selectorIjN6thrust23THRUST_200600_302600_NS5tupleIffNS6_9null_typeES8_S8_S8_S8_S8_S8_S8_EEEEZZNS1_29radix_sort_onesweep_iterationIS3_Lb0ENS6_6detail15normal_iteratorINS6_10device_ptrIjEEEESG_NSD_INSE_IS9_EEEESI_jNS0_19identity_decomposerENS1_16block_id_wrapperIjLb0EEEEE10hipError_tT1_PNSt15iterator_traitsISN_E10value_typeET2_T3_PNSO_IST_E10value_typeET4_T5_PSY_SZ_PNS1_23onesweep_lookback_stateEbbT6_jjT7_P12ihipStream_tbENKUlT_T0_SN_SS_E_clIPjSG_PS9_SI_EEDaS16_S17_SN_SS_EUlS16_E_NS1_11comp_targetILNS1_3genE5ELNS1_11target_archE942ELNS1_3gpuE9ELNS1_3repE0EEENS1_47radix_sort_onesweep_sort_config_static_selectorELNS0_4arch9wavefront6targetE0EEEvSN_
	.globl	_ZN7rocprim17ROCPRIM_400000_NS6detail17trampoline_kernelINS0_14default_configENS1_35radix_sort_onesweep_config_selectorIjN6thrust23THRUST_200600_302600_NS5tupleIffNS6_9null_typeES8_S8_S8_S8_S8_S8_S8_EEEEZZNS1_29radix_sort_onesweep_iterationIS3_Lb0ENS6_6detail15normal_iteratorINS6_10device_ptrIjEEEESG_NSD_INSE_IS9_EEEESI_jNS0_19identity_decomposerENS1_16block_id_wrapperIjLb0EEEEE10hipError_tT1_PNSt15iterator_traitsISN_E10value_typeET2_T3_PNSO_IST_E10value_typeET4_T5_PSY_SZ_PNS1_23onesweep_lookback_stateEbbT6_jjT7_P12ihipStream_tbENKUlT_T0_SN_SS_E_clIPjSG_PS9_SI_EEDaS16_S17_SN_SS_EUlS16_E_NS1_11comp_targetILNS1_3genE5ELNS1_11target_archE942ELNS1_3gpuE9ELNS1_3repE0EEENS1_47radix_sort_onesweep_sort_config_static_selectorELNS0_4arch9wavefront6targetE0EEEvSN_
	.p2align	8
	.type	_ZN7rocprim17ROCPRIM_400000_NS6detail17trampoline_kernelINS0_14default_configENS1_35radix_sort_onesweep_config_selectorIjN6thrust23THRUST_200600_302600_NS5tupleIffNS6_9null_typeES8_S8_S8_S8_S8_S8_S8_EEEEZZNS1_29radix_sort_onesweep_iterationIS3_Lb0ENS6_6detail15normal_iteratorINS6_10device_ptrIjEEEESG_NSD_INSE_IS9_EEEESI_jNS0_19identity_decomposerENS1_16block_id_wrapperIjLb0EEEEE10hipError_tT1_PNSt15iterator_traitsISN_E10value_typeET2_T3_PNSO_IST_E10value_typeET4_T5_PSY_SZ_PNS1_23onesweep_lookback_stateEbbT6_jjT7_P12ihipStream_tbENKUlT_T0_SN_SS_E_clIPjSG_PS9_SI_EEDaS16_S17_SN_SS_EUlS16_E_NS1_11comp_targetILNS1_3genE5ELNS1_11target_archE942ELNS1_3gpuE9ELNS1_3repE0EEENS1_47radix_sort_onesweep_sort_config_static_selectorELNS0_4arch9wavefront6targetE0EEEvSN_,@function
_ZN7rocprim17ROCPRIM_400000_NS6detail17trampoline_kernelINS0_14default_configENS1_35radix_sort_onesweep_config_selectorIjN6thrust23THRUST_200600_302600_NS5tupleIffNS6_9null_typeES8_S8_S8_S8_S8_S8_S8_EEEEZZNS1_29radix_sort_onesweep_iterationIS3_Lb0ENS6_6detail15normal_iteratorINS6_10device_ptrIjEEEESG_NSD_INSE_IS9_EEEESI_jNS0_19identity_decomposerENS1_16block_id_wrapperIjLb0EEEEE10hipError_tT1_PNSt15iterator_traitsISN_E10value_typeET2_T3_PNSO_IST_E10value_typeET4_T5_PSY_SZ_PNS1_23onesweep_lookback_stateEbbT6_jjT7_P12ihipStream_tbENKUlT_T0_SN_SS_E_clIPjSG_PS9_SI_EEDaS16_S17_SN_SS_EUlS16_E_NS1_11comp_targetILNS1_3genE5ELNS1_11target_archE942ELNS1_3gpuE9ELNS1_3repE0EEENS1_47radix_sort_onesweep_sort_config_static_selectorELNS0_4arch9wavefront6targetE0EEEvSN_: ; @_ZN7rocprim17ROCPRIM_400000_NS6detail17trampoline_kernelINS0_14default_configENS1_35radix_sort_onesweep_config_selectorIjN6thrust23THRUST_200600_302600_NS5tupleIffNS6_9null_typeES8_S8_S8_S8_S8_S8_S8_EEEEZZNS1_29radix_sort_onesweep_iterationIS3_Lb0ENS6_6detail15normal_iteratorINS6_10device_ptrIjEEEESG_NSD_INSE_IS9_EEEESI_jNS0_19identity_decomposerENS1_16block_id_wrapperIjLb0EEEEE10hipError_tT1_PNSt15iterator_traitsISN_E10value_typeET2_T3_PNSO_IST_E10value_typeET4_T5_PSY_SZ_PNS1_23onesweep_lookback_stateEbbT6_jjT7_P12ihipStream_tbENKUlT_T0_SN_SS_E_clIPjSG_PS9_SI_EEDaS16_S17_SN_SS_EUlS16_E_NS1_11comp_targetILNS1_3genE5ELNS1_11target_archE942ELNS1_3gpuE9ELNS1_3repE0EEENS1_47radix_sort_onesweep_sort_config_static_selectorELNS0_4arch9wavefront6targetE0EEEvSN_
; %bb.0:
	.section	.rodata,"a",@progbits
	.p2align	6, 0x0
	.amdhsa_kernel _ZN7rocprim17ROCPRIM_400000_NS6detail17trampoline_kernelINS0_14default_configENS1_35radix_sort_onesweep_config_selectorIjN6thrust23THRUST_200600_302600_NS5tupleIffNS6_9null_typeES8_S8_S8_S8_S8_S8_S8_EEEEZZNS1_29radix_sort_onesweep_iterationIS3_Lb0ENS6_6detail15normal_iteratorINS6_10device_ptrIjEEEESG_NSD_INSE_IS9_EEEESI_jNS0_19identity_decomposerENS1_16block_id_wrapperIjLb0EEEEE10hipError_tT1_PNSt15iterator_traitsISN_E10value_typeET2_T3_PNSO_IST_E10value_typeET4_T5_PSY_SZ_PNS1_23onesweep_lookback_stateEbbT6_jjT7_P12ihipStream_tbENKUlT_T0_SN_SS_E_clIPjSG_PS9_SI_EEDaS16_S17_SN_SS_EUlS16_E_NS1_11comp_targetILNS1_3genE5ELNS1_11target_archE942ELNS1_3gpuE9ELNS1_3repE0EEENS1_47radix_sort_onesweep_sort_config_static_selectorELNS0_4arch9wavefront6targetE0EEEvSN_
		.amdhsa_group_segment_fixed_size 0
		.amdhsa_private_segment_fixed_size 0
		.amdhsa_kernarg_size 88
		.amdhsa_user_sgpr_count 2
		.amdhsa_user_sgpr_dispatch_ptr 0
		.amdhsa_user_sgpr_queue_ptr 0
		.amdhsa_user_sgpr_kernarg_segment_ptr 1
		.amdhsa_user_sgpr_dispatch_id 0
		.amdhsa_user_sgpr_private_segment_size 0
		.amdhsa_wavefront_size32 1
		.amdhsa_uses_dynamic_stack 0
		.amdhsa_enable_private_segment 0
		.amdhsa_system_sgpr_workgroup_id_x 1
		.amdhsa_system_sgpr_workgroup_id_y 0
		.amdhsa_system_sgpr_workgroup_id_z 0
		.amdhsa_system_sgpr_workgroup_info 0
		.amdhsa_system_vgpr_workitem_id 0
		.amdhsa_next_free_vgpr 1
		.amdhsa_next_free_sgpr 1
		.amdhsa_reserve_vcc 0
		.amdhsa_float_round_mode_32 0
		.amdhsa_float_round_mode_16_64 0
		.amdhsa_float_denorm_mode_32 3
		.amdhsa_float_denorm_mode_16_64 3
		.amdhsa_fp16_overflow 0
		.amdhsa_workgroup_processor_mode 1
		.amdhsa_memory_ordered 1
		.amdhsa_forward_progress 1
		.amdhsa_inst_pref_size 0
		.amdhsa_round_robin_scheduling 0
		.amdhsa_exception_fp_ieee_invalid_op 0
		.amdhsa_exception_fp_denorm_src 0
		.amdhsa_exception_fp_ieee_div_zero 0
		.amdhsa_exception_fp_ieee_overflow 0
		.amdhsa_exception_fp_ieee_underflow 0
		.amdhsa_exception_fp_ieee_inexact 0
		.amdhsa_exception_int_div_zero 0
	.end_amdhsa_kernel
	.section	.text._ZN7rocprim17ROCPRIM_400000_NS6detail17trampoline_kernelINS0_14default_configENS1_35radix_sort_onesweep_config_selectorIjN6thrust23THRUST_200600_302600_NS5tupleIffNS6_9null_typeES8_S8_S8_S8_S8_S8_S8_EEEEZZNS1_29radix_sort_onesweep_iterationIS3_Lb0ENS6_6detail15normal_iteratorINS6_10device_ptrIjEEEESG_NSD_INSE_IS9_EEEESI_jNS0_19identity_decomposerENS1_16block_id_wrapperIjLb0EEEEE10hipError_tT1_PNSt15iterator_traitsISN_E10value_typeET2_T3_PNSO_IST_E10value_typeET4_T5_PSY_SZ_PNS1_23onesweep_lookback_stateEbbT6_jjT7_P12ihipStream_tbENKUlT_T0_SN_SS_E_clIPjSG_PS9_SI_EEDaS16_S17_SN_SS_EUlS16_E_NS1_11comp_targetILNS1_3genE5ELNS1_11target_archE942ELNS1_3gpuE9ELNS1_3repE0EEENS1_47radix_sort_onesweep_sort_config_static_selectorELNS0_4arch9wavefront6targetE0EEEvSN_,"axG",@progbits,_ZN7rocprim17ROCPRIM_400000_NS6detail17trampoline_kernelINS0_14default_configENS1_35radix_sort_onesweep_config_selectorIjN6thrust23THRUST_200600_302600_NS5tupleIffNS6_9null_typeES8_S8_S8_S8_S8_S8_S8_EEEEZZNS1_29radix_sort_onesweep_iterationIS3_Lb0ENS6_6detail15normal_iteratorINS6_10device_ptrIjEEEESG_NSD_INSE_IS9_EEEESI_jNS0_19identity_decomposerENS1_16block_id_wrapperIjLb0EEEEE10hipError_tT1_PNSt15iterator_traitsISN_E10value_typeET2_T3_PNSO_IST_E10value_typeET4_T5_PSY_SZ_PNS1_23onesweep_lookback_stateEbbT6_jjT7_P12ihipStream_tbENKUlT_T0_SN_SS_E_clIPjSG_PS9_SI_EEDaS16_S17_SN_SS_EUlS16_E_NS1_11comp_targetILNS1_3genE5ELNS1_11target_archE942ELNS1_3gpuE9ELNS1_3repE0EEENS1_47radix_sort_onesweep_sort_config_static_selectorELNS0_4arch9wavefront6targetE0EEEvSN_,comdat
.Lfunc_end222:
	.size	_ZN7rocprim17ROCPRIM_400000_NS6detail17trampoline_kernelINS0_14default_configENS1_35radix_sort_onesweep_config_selectorIjN6thrust23THRUST_200600_302600_NS5tupleIffNS6_9null_typeES8_S8_S8_S8_S8_S8_S8_EEEEZZNS1_29radix_sort_onesweep_iterationIS3_Lb0ENS6_6detail15normal_iteratorINS6_10device_ptrIjEEEESG_NSD_INSE_IS9_EEEESI_jNS0_19identity_decomposerENS1_16block_id_wrapperIjLb0EEEEE10hipError_tT1_PNSt15iterator_traitsISN_E10value_typeET2_T3_PNSO_IST_E10value_typeET4_T5_PSY_SZ_PNS1_23onesweep_lookback_stateEbbT6_jjT7_P12ihipStream_tbENKUlT_T0_SN_SS_E_clIPjSG_PS9_SI_EEDaS16_S17_SN_SS_EUlS16_E_NS1_11comp_targetILNS1_3genE5ELNS1_11target_archE942ELNS1_3gpuE9ELNS1_3repE0EEENS1_47radix_sort_onesweep_sort_config_static_selectorELNS0_4arch9wavefront6targetE0EEEvSN_, .Lfunc_end222-_ZN7rocprim17ROCPRIM_400000_NS6detail17trampoline_kernelINS0_14default_configENS1_35radix_sort_onesweep_config_selectorIjN6thrust23THRUST_200600_302600_NS5tupleIffNS6_9null_typeES8_S8_S8_S8_S8_S8_S8_EEEEZZNS1_29radix_sort_onesweep_iterationIS3_Lb0ENS6_6detail15normal_iteratorINS6_10device_ptrIjEEEESG_NSD_INSE_IS9_EEEESI_jNS0_19identity_decomposerENS1_16block_id_wrapperIjLb0EEEEE10hipError_tT1_PNSt15iterator_traitsISN_E10value_typeET2_T3_PNSO_IST_E10value_typeET4_T5_PSY_SZ_PNS1_23onesweep_lookback_stateEbbT6_jjT7_P12ihipStream_tbENKUlT_T0_SN_SS_E_clIPjSG_PS9_SI_EEDaS16_S17_SN_SS_EUlS16_E_NS1_11comp_targetILNS1_3genE5ELNS1_11target_archE942ELNS1_3gpuE9ELNS1_3repE0EEENS1_47radix_sort_onesweep_sort_config_static_selectorELNS0_4arch9wavefront6targetE0EEEvSN_
                                        ; -- End function
	.set _ZN7rocprim17ROCPRIM_400000_NS6detail17trampoline_kernelINS0_14default_configENS1_35radix_sort_onesweep_config_selectorIjN6thrust23THRUST_200600_302600_NS5tupleIffNS6_9null_typeES8_S8_S8_S8_S8_S8_S8_EEEEZZNS1_29radix_sort_onesweep_iterationIS3_Lb0ENS6_6detail15normal_iteratorINS6_10device_ptrIjEEEESG_NSD_INSE_IS9_EEEESI_jNS0_19identity_decomposerENS1_16block_id_wrapperIjLb0EEEEE10hipError_tT1_PNSt15iterator_traitsISN_E10value_typeET2_T3_PNSO_IST_E10value_typeET4_T5_PSY_SZ_PNS1_23onesweep_lookback_stateEbbT6_jjT7_P12ihipStream_tbENKUlT_T0_SN_SS_E_clIPjSG_PS9_SI_EEDaS16_S17_SN_SS_EUlS16_E_NS1_11comp_targetILNS1_3genE5ELNS1_11target_archE942ELNS1_3gpuE9ELNS1_3repE0EEENS1_47radix_sort_onesweep_sort_config_static_selectorELNS0_4arch9wavefront6targetE0EEEvSN_.num_vgpr, 0
	.set _ZN7rocprim17ROCPRIM_400000_NS6detail17trampoline_kernelINS0_14default_configENS1_35radix_sort_onesweep_config_selectorIjN6thrust23THRUST_200600_302600_NS5tupleIffNS6_9null_typeES8_S8_S8_S8_S8_S8_S8_EEEEZZNS1_29radix_sort_onesweep_iterationIS3_Lb0ENS6_6detail15normal_iteratorINS6_10device_ptrIjEEEESG_NSD_INSE_IS9_EEEESI_jNS0_19identity_decomposerENS1_16block_id_wrapperIjLb0EEEEE10hipError_tT1_PNSt15iterator_traitsISN_E10value_typeET2_T3_PNSO_IST_E10value_typeET4_T5_PSY_SZ_PNS1_23onesweep_lookback_stateEbbT6_jjT7_P12ihipStream_tbENKUlT_T0_SN_SS_E_clIPjSG_PS9_SI_EEDaS16_S17_SN_SS_EUlS16_E_NS1_11comp_targetILNS1_3genE5ELNS1_11target_archE942ELNS1_3gpuE9ELNS1_3repE0EEENS1_47radix_sort_onesweep_sort_config_static_selectorELNS0_4arch9wavefront6targetE0EEEvSN_.num_agpr, 0
	.set _ZN7rocprim17ROCPRIM_400000_NS6detail17trampoline_kernelINS0_14default_configENS1_35radix_sort_onesweep_config_selectorIjN6thrust23THRUST_200600_302600_NS5tupleIffNS6_9null_typeES8_S8_S8_S8_S8_S8_S8_EEEEZZNS1_29radix_sort_onesweep_iterationIS3_Lb0ENS6_6detail15normal_iteratorINS6_10device_ptrIjEEEESG_NSD_INSE_IS9_EEEESI_jNS0_19identity_decomposerENS1_16block_id_wrapperIjLb0EEEEE10hipError_tT1_PNSt15iterator_traitsISN_E10value_typeET2_T3_PNSO_IST_E10value_typeET4_T5_PSY_SZ_PNS1_23onesweep_lookback_stateEbbT6_jjT7_P12ihipStream_tbENKUlT_T0_SN_SS_E_clIPjSG_PS9_SI_EEDaS16_S17_SN_SS_EUlS16_E_NS1_11comp_targetILNS1_3genE5ELNS1_11target_archE942ELNS1_3gpuE9ELNS1_3repE0EEENS1_47radix_sort_onesweep_sort_config_static_selectorELNS0_4arch9wavefront6targetE0EEEvSN_.numbered_sgpr, 0
	.set _ZN7rocprim17ROCPRIM_400000_NS6detail17trampoline_kernelINS0_14default_configENS1_35radix_sort_onesweep_config_selectorIjN6thrust23THRUST_200600_302600_NS5tupleIffNS6_9null_typeES8_S8_S8_S8_S8_S8_S8_EEEEZZNS1_29radix_sort_onesweep_iterationIS3_Lb0ENS6_6detail15normal_iteratorINS6_10device_ptrIjEEEESG_NSD_INSE_IS9_EEEESI_jNS0_19identity_decomposerENS1_16block_id_wrapperIjLb0EEEEE10hipError_tT1_PNSt15iterator_traitsISN_E10value_typeET2_T3_PNSO_IST_E10value_typeET4_T5_PSY_SZ_PNS1_23onesweep_lookback_stateEbbT6_jjT7_P12ihipStream_tbENKUlT_T0_SN_SS_E_clIPjSG_PS9_SI_EEDaS16_S17_SN_SS_EUlS16_E_NS1_11comp_targetILNS1_3genE5ELNS1_11target_archE942ELNS1_3gpuE9ELNS1_3repE0EEENS1_47radix_sort_onesweep_sort_config_static_selectorELNS0_4arch9wavefront6targetE0EEEvSN_.num_named_barrier, 0
	.set _ZN7rocprim17ROCPRIM_400000_NS6detail17trampoline_kernelINS0_14default_configENS1_35radix_sort_onesweep_config_selectorIjN6thrust23THRUST_200600_302600_NS5tupleIffNS6_9null_typeES8_S8_S8_S8_S8_S8_S8_EEEEZZNS1_29radix_sort_onesweep_iterationIS3_Lb0ENS6_6detail15normal_iteratorINS6_10device_ptrIjEEEESG_NSD_INSE_IS9_EEEESI_jNS0_19identity_decomposerENS1_16block_id_wrapperIjLb0EEEEE10hipError_tT1_PNSt15iterator_traitsISN_E10value_typeET2_T3_PNSO_IST_E10value_typeET4_T5_PSY_SZ_PNS1_23onesweep_lookback_stateEbbT6_jjT7_P12ihipStream_tbENKUlT_T0_SN_SS_E_clIPjSG_PS9_SI_EEDaS16_S17_SN_SS_EUlS16_E_NS1_11comp_targetILNS1_3genE5ELNS1_11target_archE942ELNS1_3gpuE9ELNS1_3repE0EEENS1_47radix_sort_onesweep_sort_config_static_selectorELNS0_4arch9wavefront6targetE0EEEvSN_.private_seg_size, 0
	.set _ZN7rocprim17ROCPRIM_400000_NS6detail17trampoline_kernelINS0_14default_configENS1_35radix_sort_onesweep_config_selectorIjN6thrust23THRUST_200600_302600_NS5tupleIffNS6_9null_typeES8_S8_S8_S8_S8_S8_S8_EEEEZZNS1_29radix_sort_onesweep_iterationIS3_Lb0ENS6_6detail15normal_iteratorINS6_10device_ptrIjEEEESG_NSD_INSE_IS9_EEEESI_jNS0_19identity_decomposerENS1_16block_id_wrapperIjLb0EEEEE10hipError_tT1_PNSt15iterator_traitsISN_E10value_typeET2_T3_PNSO_IST_E10value_typeET4_T5_PSY_SZ_PNS1_23onesweep_lookback_stateEbbT6_jjT7_P12ihipStream_tbENKUlT_T0_SN_SS_E_clIPjSG_PS9_SI_EEDaS16_S17_SN_SS_EUlS16_E_NS1_11comp_targetILNS1_3genE5ELNS1_11target_archE942ELNS1_3gpuE9ELNS1_3repE0EEENS1_47radix_sort_onesweep_sort_config_static_selectorELNS0_4arch9wavefront6targetE0EEEvSN_.uses_vcc, 0
	.set _ZN7rocprim17ROCPRIM_400000_NS6detail17trampoline_kernelINS0_14default_configENS1_35radix_sort_onesweep_config_selectorIjN6thrust23THRUST_200600_302600_NS5tupleIffNS6_9null_typeES8_S8_S8_S8_S8_S8_S8_EEEEZZNS1_29radix_sort_onesweep_iterationIS3_Lb0ENS6_6detail15normal_iteratorINS6_10device_ptrIjEEEESG_NSD_INSE_IS9_EEEESI_jNS0_19identity_decomposerENS1_16block_id_wrapperIjLb0EEEEE10hipError_tT1_PNSt15iterator_traitsISN_E10value_typeET2_T3_PNSO_IST_E10value_typeET4_T5_PSY_SZ_PNS1_23onesweep_lookback_stateEbbT6_jjT7_P12ihipStream_tbENKUlT_T0_SN_SS_E_clIPjSG_PS9_SI_EEDaS16_S17_SN_SS_EUlS16_E_NS1_11comp_targetILNS1_3genE5ELNS1_11target_archE942ELNS1_3gpuE9ELNS1_3repE0EEENS1_47radix_sort_onesweep_sort_config_static_selectorELNS0_4arch9wavefront6targetE0EEEvSN_.uses_flat_scratch, 0
	.set _ZN7rocprim17ROCPRIM_400000_NS6detail17trampoline_kernelINS0_14default_configENS1_35radix_sort_onesweep_config_selectorIjN6thrust23THRUST_200600_302600_NS5tupleIffNS6_9null_typeES8_S8_S8_S8_S8_S8_S8_EEEEZZNS1_29radix_sort_onesweep_iterationIS3_Lb0ENS6_6detail15normal_iteratorINS6_10device_ptrIjEEEESG_NSD_INSE_IS9_EEEESI_jNS0_19identity_decomposerENS1_16block_id_wrapperIjLb0EEEEE10hipError_tT1_PNSt15iterator_traitsISN_E10value_typeET2_T3_PNSO_IST_E10value_typeET4_T5_PSY_SZ_PNS1_23onesweep_lookback_stateEbbT6_jjT7_P12ihipStream_tbENKUlT_T0_SN_SS_E_clIPjSG_PS9_SI_EEDaS16_S17_SN_SS_EUlS16_E_NS1_11comp_targetILNS1_3genE5ELNS1_11target_archE942ELNS1_3gpuE9ELNS1_3repE0EEENS1_47radix_sort_onesweep_sort_config_static_selectorELNS0_4arch9wavefront6targetE0EEEvSN_.has_dyn_sized_stack, 0
	.set _ZN7rocprim17ROCPRIM_400000_NS6detail17trampoline_kernelINS0_14default_configENS1_35radix_sort_onesweep_config_selectorIjN6thrust23THRUST_200600_302600_NS5tupleIffNS6_9null_typeES8_S8_S8_S8_S8_S8_S8_EEEEZZNS1_29radix_sort_onesweep_iterationIS3_Lb0ENS6_6detail15normal_iteratorINS6_10device_ptrIjEEEESG_NSD_INSE_IS9_EEEESI_jNS0_19identity_decomposerENS1_16block_id_wrapperIjLb0EEEEE10hipError_tT1_PNSt15iterator_traitsISN_E10value_typeET2_T3_PNSO_IST_E10value_typeET4_T5_PSY_SZ_PNS1_23onesweep_lookback_stateEbbT6_jjT7_P12ihipStream_tbENKUlT_T0_SN_SS_E_clIPjSG_PS9_SI_EEDaS16_S17_SN_SS_EUlS16_E_NS1_11comp_targetILNS1_3genE5ELNS1_11target_archE942ELNS1_3gpuE9ELNS1_3repE0EEENS1_47radix_sort_onesweep_sort_config_static_selectorELNS0_4arch9wavefront6targetE0EEEvSN_.has_recursion, 0
	.set _ZN7rocprim17ROCPRIM_400000_NS6detail17trampoline_kernelINS0_14default_configENS1_35radix_sort_onesweep_config_selectorIjN6thrust23THRUST_200600_302600_NS5tupleIffNS6_9null_typeES8_S8_S8_S8_S8_S8_S8_EEEEZZNS1_29radix_sort_onesweep_iterationIS3_Lb0ENS6_6detail15normal_iteratorINS6_10device_ptrIjEEEESG_NSD_INSE_IS9_EEEESI_jNS0_19identity_decomposerENS1_16block_id_wrapperIjLb0EEEEE10hipError_tT1_PNSt15iterator_traitsISN_E10value_typeET2_T3_PNSO_IST_E10value_typeET4_T5_PSY_SZ_PNS1_23onesweep_lookback_stateEbbT6_jjT7_P12ihipStream_tbENKUlT_T0_SN_SS_E_clIPjSG_PS9_SI_EEDaS16_S17_SN_SS_EUlS16_E_NS1_11comp_targetILNS1_3genE5ELNS1_11target_archE942ELNS1_3gpuE9ELNS1_3repE0EEENS1_47radix_sort_onesweep_sort_config_static_selectorELNS0_4arch9wavefront6targetE0EEEvSN_.has_indirect_call, 0
	.section	.AMDGPU.csdata,"",@progbits
; Kernel info:
; codeLenInByte = 0
; TotalNumSgprs: 0
; NumVgprs: 0
; ScratchSize: 0
; MemoryBound: 0
; FloatMode: 240
; IeeeMode: 1
; LDSByteSize: 0 bytes/workgroup (compile time only)
; SGPRBlocks: 0
; VGPRBlocks: 0
; NumSGPRsForWavesPerEU: 1
; NumVGPRsForWavesPerEU: 1
; Occupancy: 16
; WaveLimiterHint : 0
; COMPUTE_PGM_RSRC2:SCRATCH_EN: 0
; COMPUTE_PGM_RSRC2:USER_SGPR: 2
; COMPUTE_PGM_RSRC2:TRAP_HANDLER: 0
; COMPUTE_PGM_RSRC2:TGID_X_EN: 1
; COMPUTE_PGM_RSRC2:TGID_Y_EN: 0
; COMPUTE_PGM_RSRC2:TGID_Z_EN: 0
; COMPUTE_PGM_RSRC2:TIDIG_COMP_CNT: 0
	.section	.text._ZN7rocprim17ROCPRIM_400000_NS6detail17trampoline_kernelINS0_14default_configENS1_35radix_sort_onesweep_config_selectorIjN6thrust23THRUST_200600_302600_NS5tupleIffNS6_9null_typeES8_S8_S8_S8_S8_S8_S8_EEEEZZNS1_29radix_sort_onesweep_iterationIS3_Lb0ENS6_6detail15normal_iteratorINS6_10device_ptrIjEEEESG_NSD_INSE_IS9_EEEESI_jNS0_19identity_decomposerENS1_16block_id_wrapperIjLb0EEEEE10hipError_tT1_PNSt15iterator_traitsISN_E10value_typeET2_T3_PNSO_IST_E10value_typeET4_T5_PSY_SZ_PNS1_23onesweep_lookback_stateEbbT6_jjT7_P12ihipStream_tbENKUlT_T0_SN_SS_E_clIPjSG_PS9_SI_EEDaS16_S17_SN_SS_EUlS16_E_NS1_11comp_targetILNS1_3genE2ELNS1_11target_archE906ELNS1_3gpuE6ELNS1_3repE0EEENS1_47radix_sort_onesweep_sort_config_static_selectorELNS0_4arch9wavefront6targetE0EEEvSN_,"axG",@progbits,_ZN7rocprim17ROCPRIM_400000_NS6detail17trampoline_kernelINS0_14default_configENS1_35radix_sort_onesweep_config_selectorIjN6thrust23THRUST_200600_302600_NS5tupleIffNS6_9null_typeES8_S8_S8_S8_S8_S8_S8_EEEEZZNS1_29radix_sort_onesweep_iterationIS3_Lb0ENS6_6detail15normal_iteratorINS6_10device_ptrIjEEEESG_NSD_INSE_IS9_EEEESI_jNS0_19identity_decomposerENS1_16block_id_wrapperIjLb0EEEEE10hipError_tT1_PNSt15iterator_traitsISN_E10value_typeET2_T3_PNSO_IST_E10value_typeET4_T5_PSY_SZ_PNS1_23onesweep_lookback_stateEbbT6_jjT7_P12ihipStream_tbENKUlT_T0_SN_SS_E_clIPjSG_PS9_SI_EEDaS16_S17_SN_SS_EUlS16_E_NS1_11comp_targetILNS1_3genE2ELNS1_11target_archE906ELNS1_3gpuE6ELNS1_3repE0EEENS1_47radix_sort_onesweep_sort_config_static_selectorELNS0_4arch9wavefront6targetE0EEEvSN_,comdat
	.protected	_ZN7rocprim17ROCPRIM_400000_NS6detail17trampoline_kernelINS0_14default_configENS1_35radix_sort_onesweep_config_selectorIjN6thrust23THRUST_200600_302600_NS5tupleIffNS6_9null_typeES8_S8_S8_S8_S8_S8_S8_EEEEZZNS1_29radix_sort_onesweep_iterationIS3_Lb0ENS6_6detail15normal_iteratorINS6_10device_ptrIjEEEESG_NSD_INSE_IS9_EEEESI_jNS0_19identity_decomposerENS1_16block_id_wrapperIjLb0EEEEE10hipError_tT1_PNSt15iterator_traitsISN_E10value_typeET2_T3_PNSO_IST_E10value_typeET4_T5_PSY_SZ_PNS1_23onesweep_lookback_stateEbbT6_jjT7_P12ihipStream_tbENKUlT_T0_SN_SS_E_clIPjSG_PS9_SI_EEDaS16_S17_SN_SS_EUlS16_E_NS1_11comp_targetILNS1_3genE2ELNS1_11target_archE906ELNS1_3gpuE6ELNS1_3repE0EEENS1_47radix_sort_onesweep_sort_config_static_selectorELNS0_4arch9wavefront6targetE0EEEvSN_ ; -- Begin function _ZN7rocprim17ROCPRIM_400000_NS6detail17trampoline_kernelINS0_14default_configENS1_35radix_sort_onesweep_config_selectorIjN6thrust23THRUST_200600_302600_NS5tupleIffNS6_9null_typeES8_S8_S8_S8_S8_S8_S8_EEEEZZNS1_29radix_sort_onesweep_iterationIS3_Lb0ENS6_6detail15normal_iteratorINS6_10device_ptrIjEEEESG_NSD_INSE_IS9_EEEESI_jNS0_19identity_decomposerENS1_16block_id_wrapperIjLb0EEEEE10hipError_tT1_PNSt15iterator_traitsISN_E10value_typeET2_T3_PNSO_IST_E10value_typeET4_T5_PSY_SZ_PNS1_23onesweep_lookback_stateEbbT6_jjT7_P12ihipStream_tbENKUlT_T0_SN_SS_E_clIPjSG_PS9_SI_EEDaS16_S17_SN_SS_EUlS16_E_NS1_11comp_targetILNS1_3genE2ELNS1_11target_archE906ELNS1_3gpuE6ELNS1_3repE0EEENS1_47radix_sort_onesweep_sort_config_static_selectorELNS0_4arch9wavefront6targetE0EEEvSN_
	.globl	_ZN7rocprim17ROCPRIM_400000_NS6detail17trampoline_kernelINS0_14default_configENS1_35radix_sort_onesweep_config_selectorIjN6thrust23THRUST_200600_302600_NS5tupleIffNS6_9null_typeES8_S8_S8_S8_S8_S8_S8_EEEEZZNS1_29radix_sort_onesweep_iterationIS3_Lb0ENS6_6detail15normal_iteratorINS6_10device_ptrIjEEEESG_NSD_INSE_IS9_EEEESI_jNS0_19identity_decomposerENS1_16block_id_wrapperIjLb0EEEEE10hipError_tT1_PNSt15iterator_traitsISN_E10value_typeET2_T3_PNSO_IST_E10value_typeET4_T5_PSY_SZ_PNS1_23onesweep_lookback_stateEbbT6_jjT7_P12ihipStream_tbENKUlT_T0_SN_SS_E_clIPjSG_PS9_SI_EEDaS16_S17_SN_SS_EUlS16_E_NS1_11comp_targetILNS1_3genE2ELNS1_11target_archE906ELNS1_3gpuE6ELNS1_3repE0EEENS1_47radix_sort_onesweep_sort_config_static_selectorELNS0_4arch9wavefront6targetE0EEEvSN_
	.p2align	8
	.type	_ZN7rocprim17ROCPRIM_400000_NS6detail17trampoline_kernelINS0_14default_configENS1_35radix_sort_onesweep_config_selectorIjN6thrust23THRUST_200600_302600_NS5tupleIffNS6_9null_typeES8_S8_S8_S8_S8_S8_S8_EEEEZZNS1_29radix_sort_onesweep_iterationIS3_Lb0ENS6_6detail15normal_iteratorINS6_10device_ptrIjEEEESG_NSD_INSE_IS9_EEEESI_jNS0_19identity_decomposerENS1_16block_id_wrapperIjLb0EEEEE10hipError_tT1_PNSt15iterator_traitsISN_E10value_typeET2_T3_PNSO_IST_E10value_typeET4_T5_PSY_SZ_PNS1_23onesweep_lookback_stateEbbT6_jjT7_P12ihipStream_tbENKUlT_T0_SN_SS_E_clIPjSG_PS9_SI_EEDaS16_S17_SN_SS_EUlS16_E_NS1_11comp_targetILNS1_3genE2ELNS1_11target_archE906ELNS1_3gpuE6ELNS1_3repE0EEENS1_47radix_sort_onesweep_sort_config_static_selectorELNS0_4arch9wavefront6targetE0EEEvSN_,@function
_ZN7rocprim17ROCPRIM_400000_NS6detail17trampoline_kernelINS0_14default_configENS1_35radix_sort_onesweep_config_selectorIjN6thrust23THRUST_200600_302600_NS5tupleIffNS6_9null_typeES8_S8_S8_S8_S8_S8_S8_EEEEZZNS1_29radix_sort_onesweep_iterationIS3_Lb0ENS6_6detail15normal_iteratorINS6_10device_ptrIjEEEESG_NSD_INSE_IS9_EEEESI_jNS0_19identity_decomposerENS1_16block_id_wrapperIjLb0EEEEE10hipError_tT1_PNSt15iterator_traitsISN_E10value_typeET2_T3_PNSO_IST_E10value_typeET4_T5_PSY_SZ_PNS1_23onesweep_lookback_stateEbbT6_jjT7_P12ihipStream_tbENKUlT_T0_SN_SS_E_clIPjSG_PS9_SI_EEDaS16_S17_SN_SS_EUlS16_E_NS1_11comp_targetILNS1_3genE2ELNS1_11target_archE906ELNS1_3gpuE6ELNS1_3repE0EEENS1_47radix_sort_onesweep_sort_config_static_selectorELNS0_4arch9wavefront6targetE0EEEvSN_: ; @_ZN7rocprim17ROCPRIM_400000_NS6detail17trampoline_kernelINS0_14default_configENS1_35radix_sort_onesweep_config_selectorIjN6thrust23THRUST_200600_302600_NS5tupleIffNS6_9null_typeES8_S8_S8_S8_S8_S8_S8_EEEEZZNS1_29radix_sort_onesweep_iterationIS3_Lb0ENS6_6detail15normal_iteratorINS6_10device_ptrIjEEEESG_NSD_INSE_IS9_EEEESI_jNS0_19identity_decomposerENS1_16block_id_wrapperIjLb0EEEEE10hipError_tT1_PNSt15iterator_traitsISN_E10value_typeET2_T3_PNSO_IST_E10value_typeET4_T5_PSY_SZ_PNS1_23onesweep_lookback_stateEbbT6_jjT7_P12ihipStream_tbENKUlT_T0_SN_SS_E_clIPjSG_PS9_SI_EEDaS16_S17_SN_SS_EUlS16_E_NS1_11comp_targetILNS1_3genE2ELNS1_11target_archE906ELNS1_3gpuE6ELNS1_3repE0EEENS1_47radix_sort_onesweep_sort_config_static_selectorELNS0_4arch9wavefront6targetE0EEEvSN_
; %bb.0:
	.section	.rodata,"a",@progbits
	.p2align	6, 0x0
	.amdhsa_kernel _ZN7rocprim17ROCPRIM_400000_NS6detail17trampoline_kernelINS0_14default_configENS1_35radix_sort_onesweep_config_selectorIjN6thrust23THRUST_200600_302600_NS5tupleIffNS6_9null_typeES8_S8_S8_S8_S8_S8_S8_EEEEZZNS1_29radix_sort_onesweep_iterationIS3_Lb0ENS6_6detail15normal_iteratorINS6_10device_ptrIjEEEESG_NSD_INSE_IS9_EEEESI_jNS0_19identity_decomposerENS1_16block_id_wrapperIjLb0EEEEE10hipError_tT1_PNSt15iterator_traitsISN_E10value_typeET2_T3_PNSO_IST_E10value_typeET4_T5_PSY_SZ_PNS1_23onesweep_lookback_stateEbbT6_jjT7_P12ihipStream_tbENKUlT_T0_SN_SS_E_clIPjSG_PS9_SI_EEDaS16_S17_SN_SS_EUlS16_E_NS1_11comp_targetILNS1_3genE2ELNS1_11target_archE906ELNS1_3gpuE6ELNS1_3repE0EEENS1_47radix_sort_onesweep_sort_config_static_selectorELNS0_4arch9wavefront6targetE0EEEvSN_
		.amdhsa_group_segment_fixed_size 0
		.amdhsa_private_segment_fixed_size 0
		.amdhsa_kernarg_size 88
		.amdhsa_user_sgpr_count 2
		.amdhsa_user_sgpr_dispatch_ptr 0
		.amdhsa_user_sgpr_queue_ptr 0
		.amdhsa_user_sgpr_kernarg_segment_ptr 1
		.amdhsa_user_sgpr_dispatch_id 0
		.amdhsa_user_sgpr_private_segment_size 0
		.amdhsa_wavefront_size32 1
		.amdhsa_uses_dynamic_stack 0
		.amdhsa_enable_private_segment 0
		.amdhsa_system_sgpr_workgroup_id_x 1
		.amdhsa_system_sgpr_workgroup_id_y 0
		.amdhsa_system_sgpr_workgroup_id_z 0
		.amdhsa_system_sgpr_workgroup_info 0
		.amdhsa_system_vgpr_workitem_id 0
		.amdhsa_next_free_vgpr 1
		.amdhsa_next_free_sgpr 1
		.amdhsa_reserve_vcc 0
		.amdhsa_float_round_mode_32 0
		.amdhsa_float_round_mode_16_64 0
		.amdhsa_float_denorm_mode_32 3
		.amdhsa_float_denorm_mode_16_64 3
		.amdhsa_fp16_overflow 0
		.amdhsa_workgroup_processor_mode 1
		.amdhsa_memory_ordered 1
		.amdhsa_forward_progress 1
		.amdhsa_inst_pref_size 0
		.amdhsa_round_robin_scheduling 0
		.amdhsa_exception_fp_ieee_invalid_op 0
		.amdhsa_exception_fp_denorm_src 0
		.amdhsa_exception_fp_ieee_div_zero 0
		.amdhsa_exception_fp_ieee_overflow 0
		.amdhsa_exception_fp_ieee_underflow 0
		.amdhsa_exception_fp_ieee_inexact 0
		.amdhsa_exception_int_div_zero 0
	.end_amdhsa_kernel
	.section	.text._ZN7rocprim17ROCPRIM_400000_NS6detail17trampoline_kernelINS0_14default_configENS1_35radix_sort_onesweep_config_selectorIjN6thrust23THRUST_200600_302600_NS5tupleIffNS6_9null_typeES8_S8_S8_S8_S8_S8_S8_EEEEZZNS1_29radix_sort_onesweep_iterationIS3_Lb0ENS6_6detail15normal_iteratorINS6_10device_ptrIjEEEESG_NSD_INSE_IS9_EEEESI_jNS0_19identity_decomposerENS1_16block_id_wrapperIjLb0EEEEE10hipError_tT1_PNSt15iterator_traitsISN_E10value_typeET2_T3_PNSO_IST_E10value_typeET4_T5_PSY_SZ_PNS1_23onesweep_lookback_stateEbbT6_jjT7_P12ihipStream_tbENKUlT_T0_SN_SS_E_clIPjSG_PS9_SI_EEDaS16_S17_SN_SS_EUlS16_E_NS1_11comp_targetILNS1_3genE2ELNS1_11target_archE906ELNS1_3gpuE6ELNS1_3repE0EEENS1_47radix_sort_onesweep_sort_config_static_selectorELNS0_4arch9wavefront6targetE0EEEvSN_,"axG",@progbits,_ZN7rocprim17ROCPRIM_400000_NS6detail17trampoline_kernelINS0_14default_configENS1_35radix_sort_onesweep_config_selectorIjN6thrust23THRUST_200600_302600_NS5tupleIffNS6_9null_typeES8_S8_S8_S8_S8_S8_S8_EEEEZZNS1_29radix_sort_onesweep_iterationIS3_Lb0ENS6_6detail15normal_iteratorINS6_10device_ptrIjEEEESG_NSD_INSE_IS9_EEEESI_jNS0_19identity_decomposerENS1_16block_id_wrapperIjLb0EEEEE10hipError_tT1_PNSt15iterator_traitsISN_E10value_typeET2_T3_PNSO_IST_E10value_typeET4_T5_PSY_SZ_PNS1_23onesweep_lookback_stateEbbT6_jjT7_P12ihipStream_tbENKUlT_T0_SN_SS_E_clIPjSG_PS9_SI_EEDaS16_S17_SN_SS_EUlS16_E_NS1_11comp_targetILNS1_3genE2ELNS1_11target_archE906ELNS1_3gpuE6ELNS1_3repE0EEENS1_47radix_sort_onesweep_sort_config_static_selectorELNS0_4arch9wavefront6targetE0EEEvSN_,comdat
.Lfunc_end223:
	.size	_ZN7rocprim17ROCPRIM_400000_NS6detail17trampoline_kernelINS0_14default_configENS1_35radix_sort_onesweep_config_selectorIjN6thrust23THRUST_200600_302600_NS5tupleIffNS6_9null_typeES8_S8_S8_S8_S8_S8_S8_EEEEZZNS1_29radix_sort_onesweep_iterationIS3_Lb0ENS6_6detail15normal_iteratorINS6_10device_ptrIjEEEESG_NSD_INSE_IS9_EEEESI_jNS0_19identity_decomposerENS1_16block_id_wrapperIjLb0EEEEE10hipError_tT1_PNSt15iterator_traitsISN_E10value_typeET2_T3_PNSO_IST_E10value_typeET4_T5_PSY_SZ_PNS1_23onesweep_lookback_stateEbbT6_jjT7_P12ihipStream_tbENKUlT_T0_SN_SS_E_clIPjSG_PS9_SI_EEDaS16_S17_SN_SS_EUlS16_E_NS1_11comp_targetILNS1_3genE2ELNS1_11target_archE906ELNS1_3gpuE6ELNS1_3repE0EEENS1_47radix_sort_onesweep_sort_config_static_selectorELNS0_4arch9wavefront6targetE0EEEvSN_, .Lfunc_end223-_ZN7rocprim17ROCPRIM_400000_NS6detail17trampoline_kernelINS0_14default_configENS1_35radix_sort_onesweep_config_selectorIjN6thrust23THRUST_200600_302600_NS5tupleIffNS6_9null_typeES8_S8_S8_S8_S8_S8_S8_EEEEZZNS1_29radix_sort_onesweep_iterationIS3_Lb0ENS6_6detail15normal_iteratorINS6_10device_ptrIjEEEESG_NSD_INSE_IS9_EEEESI_jNS0_19identity_decomposerENS1_16block_id_wrapperIjLb0EEEEE10hipError_tT1_PNSt15iterator_traitsISN_E10value_typeET2_T3_PNSO_IST_E10value_typeET4_T5_PSY_SZ_PNS1_23onesweep_lookback_stateEbbT6_jjT7_P12ihipStream_tbENKUlT_T0_SN_SS_E_clIPjSG_PS9_SI_EEDaS16_S17_SN_SS_EUlS16_E_NS1_11comp_targetILNS1_3genE2ELNS1_11target_archE906ELNS1_3gpuE6ELNS1_3repE0EEENS1_47radix_sort_onesweep_sort_config_static_selectorELNS0_4arch9wavefront6targetE0EEEvSN_
                                        ; -- End function
	.set _ZN7rocprim17ROCPRIM_400000_NS6detail17trampoline_kernelINS0_14default_configENS1_35radix_sort_onesweep_config_selectorIjN6thrust23THRUST_200600_302600_NS5tupleIffNS6_9null_typeES8_S8_S8_S8_S8_S8_S8_EEEEZZNS1_29radix_sort_onesweep_iterationIS3_Lb0ENS6_6detail15normal_iteratorINS6_10device_ptrIjEEEESG_NSD_INSE_IS9_EEEESI_jNS0_19identity_decomposerENS1_16block_id_wrapperIjLb0EEEEE10hipError_tT1_PNSt15iterator_traitsISN_E10value_typeET2_T3_PNSO_IST_E10value_typeET4_T5_PSY_SZ_PNS1_23onesweep_lookback_stateEbbT6_jjT7_P12ihipStream_tbENKUlT_T0_SN_SS_E_clIPjSG_PS9_SI_EEDaS16_S17_SN_SS_EUlS16_E_NS1_11comp_targetILNS1_3genE2ELNS1_11target_archE906ELNS1_3gpuE6ELNS1_3repE0EEENS1_47radix_sort_onesweep_sort_config_static_selectorELNS0_4arch9wavefront6targetE0EEEvSN_.num_vgpr, 0
	.set _ZN7rocprim17ROCPRIM_400000_NS6detail17trampoline_kernelINS0_14default_configENS1_35radix_sort_onesweep_config_selectorIjN6thrust23THRUST_200600_302600_NS5tupleIffNS6_9null_typeES8_S8_S8_S8_S8_S8_S8_EEEEZZNS1_29radix_sort_onesweep_iterationIS3_Lb0ENS6_6detail15normal_iteratorINS6_10device_ptrIjEEEESG_NSD_INSE_IS9_EEEESI_jNS0_19identity_decomposerENS1_16block_id_wrapperIjLb0EEEEE10hipError_tT1_PNSt15iterator_traitsISN_E10value_typeET2_T3_PNSO_IST_E10value_typeET4_T5_PSY_SZ_PNS1_23onesweep_lookback_stateEbbT6_jjT7_P12ihipStream_tbENKUlT_T0_SN_SS_E_clIPjSG_PS9_SI_EEDaS16_S17_SN_SS_EUlS16_E_NS1_11comp_targetILNS1_3genE2ELNS1_11target_archE906ELNS1_3gpuE6ELNS1_3repE0EEENS1_47radix_sort_onesweep_sort_config_static_selectorELNS0_4arch9wavefront6targetE0EEEvSN_.num_agpr, 0
	.set _ZN7rocprim17ROCPRIM_400000_NS6detail17trampoline_kernelINS0_14default_configENS1_35radix_sort_onesweep_config_selectorIjN6thrust23THRUST_200600_302600_NS5tupleIffNS6_9null_typeES8_S8_S8_S8_S8_S8_S8_EEEEZZNS1_29radix_sort_onesweep_iterationIS3_Lb0ENS6_6detail15normal_iteratorINS6_10device_ptrIjEEEESG_NSD_INSE_IS9_EEEESI_jNS0_19identity_decomposerENS1_16block_id_wrapperIjLb0EEEEE10hipError_tT1_PNSt15iterator_traitsISN_E10value_typeET2_T3_PNSO_IST_E10value_typeET4_T5_PSY_SZ_PNS1_23onesweep_lookback_stateEbbT6_jjT7_P12ihipStream_tbENKUlT_T0_SN_SS_E_clIPjSG_PS9_SI_EEDaS16_S17_SN_SS_EUlS16_E_NS1_11comp_targetILNS1_3genE2ELNS1_11target_archE906ELNS1_3gpuE6ELNS1_3repE0EEENS1_47radix_sort_onesweep_sort_config_static_selectorELNS0_4arch9wavefront6targetE0EEEvSN_.numbered_sgpr, 0
	.set _ZN7rocprim17ROCPRIM_400000_NS6detail17trampoline_kernelINS0_14default_configENS1_35radix_sort_onesweep_config_selectorIjN6thrust23THRUST_200600_302600_NS5tupleIffNS6_9null_typeES8_S8_S8_S8_S8_S8_S8_EEEEZZNS1_29radix_sort_onesweep_iterationIS3_Lb0ENS6_6detail15normal_iteratorINS6_10device_ptrIjEEEESG_NSD_INSE_IS9_EEEESI_jNS0_19identity_decomposerENS1_16block_id_wrapperIjLb0EEEEE10hipError_tT1_PNSt15iterator_traitsISN_E10value_typeET2_T3_PNSO_IST_E10value_typeET4_T5_PSY_SZ_PNS1_23onesweep_lookback_stateEbbT6_jjT7_P12ihipStream_tbENKUlT_T0_SN_SS_E_clIPjSG_PS9_SI_EEDaS16_S17_SN_SS_EUlS16_E_NS1_11comp_targetILNS1_3genE2ELNS1_11target_archE906ELNS1_3gpuE6ELNS1_3repE0EEENS1_47radix_sort_onesweep_sort_config_static_selectorELNS0_4arch9wavefront6targetE0EEEvSN_.num_named_barrier, 0
	.set _ZN7rocprim17ROCPRIM_400000_NS6detail17trampoline_kernelINS0_14default_configENS1_35radix_sort_onesweep_config_selectorIjN6thrust23THRUST_200600_302600_NS5tupleIffNS6_9null_typeES8_S8_S8_S8_S8_S8_S8_EEEEZZNS1_29radix_sort_onesweep_iterationIS3_Lb0ENS6_6detail15normal_iteratorINS6_10device_ptrIjEEEESG_NSD_INSE_IS9_EEEESI_jNS0_19identity_decomposerENS1_16block_id_wrapperIjLb0EEEEE10hipError_tT1_PNSt15iterator_traitsISN_E10value_typeET2_T3_PNSO_IST_E10value_typeET4_T5_PSY_SZ_PNS1_23onesweep_lookback_stateEbbT6_jjT7_P12ihipStream_tbENKUlT_T0_SN_SS_E_clIPjSG_PS9_SI_EEDaS16_S17_SN_SS_EUlS16_E_NS1_11comp_targetILNS1_3genE2ELNS1_11target_archE906ELNS1_3gpuE6ELNS1_3repE0EEENS1_47radix_sort_onesweep_sort_config_static_selectorELNS0_4arch9wavefront6targetE0EEEvSN_.private_seg_size, 0
	.set _ZN7rocprim17ROCPRIM_400000_NS6detail17trampoline_kernelINS0_14default_configENS1_35radix_sort_onesweep_config_selectorIjN6thrust23THRUST_200600_302600_NS5tupleIffNS6_9null_typeES8_S8_S8_S8_S8_S8_S8_EEEEZZNS1_29radix_sort_onesweep_iterationIS3_Lb0ENS6_6detail15normal_iteratorINS6_10device_ptrIjEEEESG_NSD_INSE_IS9_EEEESI_jNS0_19identity_decomposerENS1_16block_id_wrapperIjLb0EEEEE10hipError_tT1_PNSt15iterator_traitsISN_E10value_typeET2_T3_PNSO_IST_E10value_typeET4_T5_PSY_SZ_PNS1_23onesweep_lookback_stateEbbT6_jjT7_P12ihipStream_tbENKUlT_T0_SN_SS_E_clIPjSG_PS9_SI_EEDaS16_S17_SN_SS_EUlS16_E_NS1_11comp_targetILNS1_3genE2ELNS1_11target_archE906ELNS1_3gpuE6ELNS1_3repE0EEENS1_47radix_sort_onesweep_sort_config_static_selectorELNS0_4arch9wavefront6targetE0EEEvSN_.uses_vcc, 0
	.set _ZN7rocprim17ROCPRIM_400000_NS6detail17trampoline_kernelINS0_14default_configENS1_35radix_sort_onesweep_config_selectorIjN6thrust23THRUST_200600_302600_NS5tupleIffNS6_9null_typeES8_S8_S8_S8_S8_S8_S8_EEEEZZNS1_29radix_sort_onesweep_iterationIS3_Lb0ENS6_6detail15normal_iteratorINS6_10device_ptrIjEEEESG_NSD_INSE_IS9_EEEESI_jNS0_19identity_decomposerENS1_16block_id_wrapperIjLb0EEEEE10hipError_tT1_PNSt15iterator_traitsISN_E10value_typeET2_T3_PNSO_IST_E10value_typeET4_T5_PSY_SZ_PNS1_23onesweep_lookback_stateEbbT6_jjT7_P12ihipStream_tbENKUlT_T0_SN_SS_E_clIPjSG_PS9_SI_EEDaS16_S17_SN_SS_EUlS16_E_NS1_11comp_targetILNS1_3genE2ELNS1_11target_archE906ELNS1_3gpuE6ELNS1_3repE0EEENS1_47radix_sort_onesweep_sort_config_static_selectorELNS0_4arch9wavefront6targetE0EEEvSN_.uses_flat_scratch, 0
	.set _ZN7rocprim17ROCPRIM_400000_NS6detail17trampoline_kernelINS0_14default_configENS1_35radix_sort_onesweep_config_selectorIjN6thrust23THRUST_200600_302600_NS5tupleIffNS6_9null_typeES8_S8_S8_S8_S8_S8_S8_EEEEZZNS1_29radix_sort_onesweep_iterationIS3_Lb0ENS6_6detail15normal_iteratorINS6_10device_ptrIjEEEESG_NSD_INSE_IS9_EEEESI_jNS0_19identity_decomposerENS1_16block_id_wrapperIjLb0EEEEE10hipError_tT1_PNSt15iterator_traitsISN_E10value_typeET2_T3_PNSO_IST_E10value_typeET4_T5_PSY_SZ_PNS1_23onesweep_lookback_stateEbbT6_jjT7_P12ihipStream_tbENKUlT_T0_SN_SS_E_clIPjSG_PS9_SI_EEDaS16_S17_SN_SS_EUlS16_E_NS1_11comp_targetILNS1_3genE2ELNS1_11target_archE906ELNS1_3gpuE6ELNS1_3repE0EEENS1_47radix_sort_onesweep_sort_config_static_selectorELNS0_4arch9wavefront6targetE0EEEvSN_.has_dyn_sized_stack, 0
	.set _ZN7rocprim17ROCPRIM_400000_NS6detail17trampoline_kernelINS0_14default_configENS1_35radix_sort_onesweep_config_selectorIjN6thrust23THRUST_200600_302600_NS5tupleIffNS6_9null_typeES8_S8_S8_S8_S8_S8_S8_EEEEZZNS1_29radix_sort_onesweep_iterationIS3_Lb0ENS6_6detail15normal_iteratorINS6_10device_ptrIjEEEESG_NSD_INSE_IS9_EEEESI_jNS0_19identity_decomposerENS1_16block_id_wrapperIjLb0EEEEE10hipError_tT1_PNSt15iterator_traitsISN_E10value_typeET2_T3_PNSO_IST_E10value_typeET4_T5_PSY_SZ_PNS1_23onesweep_lookback_stateEbbT6_jjT7_P12ihipStream_tbENKUlT_T0_SN_SS_E_clIPjSG_PS9_SI_EEDaS16_S17_SN_SS_EUlS16_E_NS1_11comp_targetILNS1_3genE2ELNS1_11target_archE906ELNS1_3gpuE6ELNS1_3repE0EEENS1_47radix_sort_onesweep_sort_config_static_selectorELNS0_4arch9wavefront6targetE0EEEvSN_.has_recursion, 0
	.set _ZN7rocprim17ROCPRIM_400000_NS6detail17trampoline_kernelINS0_14default_configENS1_35radix_sort_onesweep_config_selectorIjN6thrust23THRUST_200600_302600_NS5tupleIffNS6_9null_typeES8_S8_S8_S8_S8_S8_S8_EEEEZZNS1_29radix_sort_onesweep_iterationIS3_Lb0ENS6_6detail15normal_iteratorINS6_10device_ptrIjEEEESG_NSD_INSE_IS9_EEEESI_jNS0_19identity_decomposerENS1_16block_id_wrapperIjLb0EEEEE10hipError_tT1_PNSt15iterator_traitsISN_E10value_typeET2_T3_PNSO_IST_E10value_typeET4_T5_PSY_SZ_PNS1_23onesweep_lookback_stateEbbT6_jjT7_P12ihipStream_tbENKUlT_T0_SN_SS_E_clIPjSG_PS9_SI_EEDaS16_S17_SN_SS_EUlS16_E_NS1_11comp_targetILNS1_3genE2ELNS1_11target_archE906ELNS1_3gpuE6ELNS1_3repE0EEENS1_47radix_sort_onesweep_sort_config_static_selectorELNS0_4arch9wavefront6targetE0EEEvSN_.has_indirect_call, 0
	.section	.AMDGPU.csdata,"",@progbits
; Kernel info:
; codeLenInByte = 0
; TotalNumSgprs: 0
; NumVgprs: 0
; ScratchSize: 0
; MemoryBound: 0
; FloatMode: 240
; IeeeMode: 1
; LDSByteSize: 0 bytes/workgroup (compile time only)
; SGPRBlocks: 0
; VGPRBlocks: 0
; NumSGPRsForWavesPerEU: 1
; NumVGPRsForWavesPerEU: 1
; Occupancy: 16
; WaveLimiterHint : 0
; COMPUTE_PGM_RSRC2:SCRATCH_EN: 0
; COMPUTE_PGM_RSRC2:USER_SGPR: 2
; COMPUTE_PGM_RSRC2:TRAP_HANDLER: 0
; COMPUTE_PGM_RSRC2:TGID_X_EN: 1
; COMPUTE_PGM_RSRC2:TGID_Y_EN: 0
; COMPUTE_PGM_RSRC2:TGID_Z_EN: 0
; COMPUTE_PGM_RSRC2:TIDIG_COMP_CNT: 0
	.section	.text._ZN7rocprim17ROCPRIM_400000_NS6detail17trampoline_kernelINS0_14default_configENS1_35radix_sort_onesweep_config_selectorIjN6thrust23THRUST_200600_302600_NS5tupleIffNS6_9null_typeES8_S8_S8_S8_S8_S8_S8_EEEEZZNS1_29radix_sort_onesweep_iterationIS3_Lb0ENS6_6detail15normal_iteratorINS6_10device_ptrIjEEEESG_NSD_INSE_IS9_EEEESI_jNS0_19identity_decomposerENS1_16block_id_wrapperIjLb0EEEEE10hipError_tT1_PNSt15iterator_traitsISN_E10value_typeET2_T3_PNSO_IST_E10value_typeET4_T5_PSY_SZ_PNS1_23onesweep_lookback_stateEbbT6_jjT7_P12ihipStream_tbENKUlT_T0_SN_SS_E_clIPjSG_PS9_SI_EEDaS16_S17_SN_SS_EUlS16_E_NS1_11comp_targetILNS1_3genE4ELNS1_11target_archE910ELNS1_3gpuE8ELNS1_3repE0EEENS1_47radix_sort_onesweep_sort_config_static_selectorELNS0_4arch9wavefront6targetE0EEEvSN_,"axG",@progbits,_ZN7rocprim17ROCPRIM_400000_NS6detail17trampoline_kernelINS0_14default_configENS1_35radix_sort_onesweep_config_selectorIjN6thrust23THRUST_200600_302600_NS5tupleIffNS6_9null_typeES8_S8_S8_S8_S8_S8_S8_EEEEZZNS1_29radix_sort_onesweep_iterationIS3_Lb0ENS6_6detail15normal_iteratorINS6_10device_ptrIjEEEESG_NSD_INSE_IS9_EEEESI_jNS0_19identity_decomposerENS1_16block_id_wrapperIjLb0EEEEE10hipError_tT1_PNSt15iterator_traitsISN_E10value_typeET2_T3_PNSO_IST_E10value_typeET4_T5_PSY_SZ_PNS1_23onesweep_lookback_stateEbbT6_jjT7_P12ihipStream_tbENKUlT_T0_SN_SS_E_clIPjSG_PS9_SI_EEDaS16_S17_SN_SS_EUlS16_E_NS1_11comp_targetILNS1_3genE4ELNS1_11target_archE910ELNS1_3gpuE8ELNS1_3repE0EEENS1_47radix_sort_onesweep_sort_config_static_selectorELNS0_4arch9wavefront6targetE0EEEvSN_,comdat
	.protected	_ZN7rocprim17ROCPRIM_400000_NS6detail17trampoline_kernelINS0_14default_configENS1_35radix_sort_onesweep_config_selectorIjN6thrust23THRUST_200600_302600_NS5tupleIffNS6_9null_typeES8_S8_S8_S8_S8_S8_S8_EEEEZZNS1_29radix_sort_onesweep_iterationIS3_Lb0ENS6_6detail15normal_iteratorINS6_10device_ptrIjEEEESG_NSD_INSE_IS9_EEEESI_jNS0_19identity_decomposerENS1_16block_id_wrapperIjLb0EEEEE10hipError_tT1_PNSt15iterator_traitsISN_E10value_typeET2_T3_PNSO_IST_E10value_typeET4_T5_PSY_SZ_PNS1_23onesweep_lookback_stateEbbT6_jjT7_P12ihipStream_tbENKUlT_T0_SN_SS_E_clIPjSG_PS9_SI_EEDaS16_S17_SN_SS_EUlS16_E_NS1_11comp_targetILNS1_3genE4ELNS1_11target_archE910ELNS1_3gpuE8ELNS1_3repE0EEENS1_47radix_sort_onesweep_sort_config_static_selectorELNS0_4arch9wavefront6targetE0EEEvSN_ ; -- Begin function _ZN7rocprim17ROCPRIM_400000_NS6detail17trampoline_kernelINS0_14default_configENS1_35radix_sort_onesweep_config_selectorIjN6thrust23THRUST_200600_302600_NS5tupleIffNS6_9null_typeES8_S8_S8_S8_S8_S8_S8_EEEEZZNS1_29radix_sort_onesweep_iterationIS3_Lb0ENS6_6detail15normal_iteratorINS6_10device_ptrIjEEEESG_NSD_INSE_IS9_EEEESI_jNS0_19identity_decomposerENS1_16block_id_wrapperIjLb0EEEEE10hipError_tT1_PNSt15iterator_traitsISN_E10value_typeET2_T3_PNSO_IST_E10value_typeET4_T5_PSY_SZ_PNS1_23onesweep_lookback_stateEbbT6_jjT7_P12ihipStream_tbENKUlT_T0_SN_SS_E_clIPjSG_PS9_SI_EEDaS16_S17_SN_SS_EUlS16_E_NS1_11comp_targetILNS1_3genE4ELNS1_11target_archE910ELNS1_3gpuE8ELNS1_3repE0EEENS1_47radix_sort_onesweep_sort_config_static_selectorELNS0_4arch9wavefront6targetE0EEEvSN_
	.globl	_ZN7rocprim17ROCPRIM_400000_NS6detail17trampoline_kernelINS0_14default_configENS1_35radix_sort_onesweep_config_selectorIjN6thrust23THRUST_200600_302600_NS5tupleIffNS6_9null_typeES8_S8_S8_S8_S8_S8_S8_EEEEZZNS1_29radix_sort_onesweep_iterationIS3_Lb0ENS6_6detail15normal_iteratorINS6_10device_ptrIjEEEESG_NSD_INSE_IS9_EEEESI_jNS0_19identity_decomposerENS1_16block_id_wrapperIjLb0EEEEE10hipError_tT1_PNSt15iterator_traitsISN_E10value_typeET2_T3_PNSO_IST_E10value_typeET4_T5_PSY_SZ_PNS1_23onesweep_lookback_stateEbbT6_jjT7_P12ihipStream_tbENKUlT_T0_SN_SS_E_clIPjSG_PS9_SI_EEDaS16_S17_SN_SS_EUlS16_E_NS1_11comp_targetILNS1_3genE4ELNS1_11target_archE910ELNS1_3gpuE8ELNS1_3repE0EEENS1_47radix_sort_onesweep_sort_config_static_selectorELNS0_4arch9wavefront6targetE0EEEvSN_
	.p2align	8
	.type	_ZN7rocprim17ROCPRIM_400000_NS6detail17trampoline_kernelINS0_14default_configENS1_35radix_sort_onesweep_config_selectorIjN6thrust23THRUST_200600_302600_NS5tupleIffNS6_9null_typeES8_S8_S8_S8_S8_S8_S8_EEEEZZNS1_29radix_sort_onesweep_iterationIS3_Lb0ENS6_6detail15normal_iteratorINS6_10device_ptrIjEEEESG_NSD_INSE_IS9_EEEESI_jNS0_19identity_decomposerENS1_16block_id_wrapperIjLb0EEEEE10hipError_tT1_PNSt15iterator_traitsISN_E10value_typeET2_T3_PNSO_IST_E10value_typeET4_T5_PSY_SZ_PNS1_23onesweep_lookback_stateEbbT6_jjT7_P12ihipStream_tbENKUlT_T0_SN_SS_E_clIPjSG_PS9_SI_EEDaS16_S17_SN_SS_EUlS16_E_NS1_11comp_targetILNS1_3genE4ELNS1_11target_archE910ELNS1_3gpuE8ELNS1_3repE0EEENS1_47radix_sort_onesweep_sort_config_static_selectorELNS0_4arch9wavefront6targetE0EEEvSN_,@function
_ZN7rocprim17ROCPRIM_400000_NS6detail17trampoline_kernelINS0_14default_configENS1_35radix_sort_onesweep_config_selectorIjN6thrust23THRUST_200600_302600_NS5tupleIffNS6_9null_typeES8_S8_S8_S8_S8_S8_S8_EEEEZZNS1_29radix_sort_onesweep_iterationIS3_Lb0ENS6_6detail15normal_iteratorINS6_10device_ptrIjEEEESG_NSD_INSE_IS9_EEEESI_jNS0_19identity_decomposerENS1_16block_id_wrapperIjLb0EEEEE10hipError_tT1_PNSt15iterator_traitsISN_E10value_typeET2_T3_PNSO_IST_E10value_typeET4_T5_PSY_SZ_PNS1_23onesweep_lookback_stateEbbT6_jjT7_P12ihipStream_tbENKUlT_T0_SN_SS_E_clIPjSG_PS9_SI_EEDaS16_S17_SN_SS_EUlS16_E_NS1_11comp_targetILNS1_3genE4ELNS1_11target_archE910ELNS1_3gpuE8ELNS1_3repE0EEENS1_47radix_sort_onesweep_sort_config_static_selectorELNS0_4arch9wavefront6targetE0EEEvSN_: ; @_ZN7rocprim17ROCPRIM_400000_NS6detail17trampoline_kernelINS0_14default_configENS1_35radix_sort_onesweep_config_selectorIjN6thrust23THRUST_200600_302600_NS5tupleIffNS6_9null_typeES8_S8_S8_S8_S8_S8_S8_EEEEZZNS1_29radix_sort_onesweep_iterationIS3_Lb0ENS6_6detail15normal_iteratorINS6_10device_ptrIjEEEESG_NSD_INSE_IS9_EEEESI_jNS0_19identity_decomposerENS1_16block_id_wrapperIjLb0EEEEE10hipError_tT1_PNSt15iterator_traitsISN_E10value_typeET2_T3_PNSO_IST_E10value_typeET4_T5_PSY_SZ_PNS1_23onesweep_lookback_stateEbbT6_jjT7_P12ihipStream_tbENKUlT_T0_SN_SS_E_clIPjSG_PS9_SI_EEDaS16_S17_SN_SS_EUlS16_E_NS1_11comp_targetILNS1_3genE4ELNS1_11target_archE910ELNS1_3gpuE8ELNS1_3repE0EEENS1_47radix_sort_onesweep_sort_config_static_selectorELNS0_4arch9wavefront6targetE0EEEvSN_
; %bb.0:
	.section	.rodata,"a",@progbits
	.p2align	6, 0x0
	.amdhsa_kernel _ZN7rocprim17ROCPRIM_400000_NS6detail17trampoline_kernelINS0_14default_configENS1_35radix_sort_onesweep_config_selectorIjN6thrust23THRUST_200600_302600_NS5tupleIffNS6_9null_typeES8_S8_S8_S8_S8_S8_S8_EEEEZZNS1_29radix_sort_onesweep_iterationIS3_Lb0ENS6_6detail15normal_iteratorINS6_10device_ptrIjEEEESG_NSD_INSE_IS9_EEEESI_jNS0_19identity_decomposerENS1_16block_id_wrapperIjLb0EEEEE10hipError_tT1_PNSt15iterator_traitsISN_E10value_typeET2_T3_PNSO_IST_E10value_typeET4_T5_PSY_SZ_PNS1_23onesweep_lookback_stateEbbT6_jjT7_P12ihipStream_tbENKUlT_T0_SN_SS_E_clIPjSG_PS9_SI_EEDaS16_S17_SN_SS_EUlS16_E_NS1_11comp_targetILNS1_3genE4ELNS1_11target_archE910ELNS1_3gpuE8ELNS1_3repE0EEENS1_47radix_sort_onesweep_sort_config_static_selectorELNS0_4arch9wavefront6targetE0EEEvSN_
		.amdhsa_group_segment_fixed_size 0
		.amdhsa_private_segment_fixed_size 0
		.amdhsa_kernarg_size 88
		.amdhsa_user_sgpr_count 2
		.amdhsa_user_sgpr_dispatch_ptr 0
		.amdhsa_user_sgpr_queue_ptr 0
		.amdhsa_user_sgpr_kernarg_segment_ptr 1
		.amdhsa_user_sgpr_dispatch_id 0
		.amdhsa_user_sgpr_private_segment_size 0
		.amdhsa_wavefront_size32 1
		.amdhsa_uses_dynamic_stack 0
		.amdhsa_enable_private_segment 0
		.amdhsa_system_sgpr_workgroup_id_x 1
		.amdhsa_system_sgpr_workgroup_id_y 0
		.amdhsa_system_sgpr_workgroup_id_z 0
		.amdhsa_system_sgpr_workgroup_info 0
		.amdhsa_system_vgpr_workitem_id 0
		.amdhsa_next_free_vgpr 1
		.amdhsa_next_free_sgpr 1
		.amdhsa_reserve_vcc 0
		.amdhsa_float_round_mode_32 0
		.amdhsa_float_round_mode_16_64 0
		.amdhsa_float_denorm_mode_32 3
		.amdhsa_float_denorm_mode_16_64 3
		.amdhsa_fp16_overflow 0
		.amdhsa_workgroup_processor_mode 1
		.amdhsa_memory_ordered 1
		.amdhsa_forward_progress 1
		.amdhsa_inst_pref_size 0
		.amdhsa_round_robin_scheduling 0
		.amdhsa_exception_fp_ieee_invalid_op 0
		.amdhsa_exception_fp_denorm_src 0
		.amdhsa_exception_fp_ieee_div_zero 0
		.amdhsa_exception_fp_ieee_overflow 0
		.amdhsa_exception_fp_ieee_underflow 0
		.amdhsa_exception_fp_ieee_inexact 0
		.amdhsa_exception_int_div_zero 0
	.end_amdhsa_kernel
	.section	.text._ZN7rocprim17ROCPRIM_400000_NS6detail17trampoline_kernelINS0_14default_configENS1_35radix_sort_onesweep_config_selectorIjN6thrust23THRUST_200600_302600_NS5tupleIffNS6_9null_typeES8_S8_S8_S8_S8_S8_S8_EEEEZZNS1_29radix_sort_onesweep_iterationIS3_Lb0ENS6_6detail15normal_iteratorINS6_10device_ptrIjEEEESG_NSD_INSE_IS9_EEEESI_jNS0_19identity_decomposerENS1_16block_id_wrapperIjLb0EEEEE10hipError_tT1_PNSt15iterator_traitsISN_E10value_typeET2_T3_PNSO_IST_E10value_typeET4_T5_PSY_SZ_PNS1_23onesweep_lookback_stateEbbT6_jjT7_P12ihipStream_tbENKUlT_T0_SN_SS_E_clIPjSG_PS9_SI_EEDaS16_S17_SN_SS_EUlS16_E_NS1_11comp_targetILNS1_3genE4ELNS1_11target_archE910ELNS1_3gpuE8ELNS1_3repE0EEENS1_47radix_sort_onesweep_sort_config_static_selectorELNS0_4arch9wavefront6targetE0EEEvSN_,"axG",@progbits,_ZN7rocprim17ROCPRIM_400000_NS6detail17trampoline_kernelINS0_14default_configENS1_35radix_sort_onesweep_config_selectorIjN6thrust23THRUST_200600_302600_NS5tupleIffNS6_9null_typeES8_S8_S8_S8_S8_S8_S8_EEEEZZNS1_29radix_sort_onesweep_iterationIS3_Lb0ENS6_6detail15normal_iteratorINS6_10device_ptrIjEEEESG_NSD_INSE_IS9_EEEESI_jNS0_19identity_decomposerENS1_16block_id_wrapperIjLb0EEEEE10hipError_tT1_PNSt15iterator_traitsISN_E10value_typeET2_T3_PNSO_IST_E10value_typeET4_T5_PSY_SZ_PNS1_23onesweep_lookback_stateEbbT6_jjT7_P12ihipStream_tbENKUlT_T0_SN_SS_E_clIPjSG_PS9_SI_EEDaS16_S17_SN_SS_EUlS16_E_NS1_11comp_targetILNS1_3genE4ELNS1_11target_archE910ELNS1_3gpuE8ELNS1_3repE0EEENS1_47radix_sort_onesweep_sort_config_static_selectorELNS0_4arch9wavefront6targetE0EEEvSN_,comdat
.Lfunc_end224:
	.size	_ZN7rocprim17ROCPRIM_400000_NS6detail17trampoline_kernelINS0_14default_configENS1_35radix_sort_onesweep_config_selectorIjN6thrust23THRUST_200600_302600_NS5tupleIffNS6_9null_typeES8_S8_S8_S8_S8_S8_S8_EEEEZZNS1_29radix_sort_onesweep_iterationIS3_Lb0ENS6_6detail15normal_iteratorINS6_10device_ptrIjEEEESG_NSD_INSE_IS9_EEEESI_jNS0_19identity_decomposerENS1_16block_id_wrapperIjLb0EEEEE10hipError_tT1_PNSt15iterator_traitsISN_E10value_typeET2_T3_PNSO_IST_E10value_typeET4_T5_PSY_SZ_PNS1_23onesweep_lookback_stateEbbT6_jjT7_P12ihipStream_tbENKUlT_T0_SN_SS_E_clIPjSG_PS9_SI_EEDaS16_S17_SN_SS_EUlS16_E_NS1_11comp_targetILNS1_3genE4ELNS1_11target_archE910ELNS1_3gpuE8ELNS1_3repE0EEENS1_47radix_sort_onesweep_sort_config_static_selectorELNS0_4arch9wavefront6targetE0EEEvSN_, .Lfunc_end224-_ZN7rocprim17ROCPRIM_400000_NS6detail17trampoline_kernelINS0_14default_configENS1_35radix_sort_onesweep_config_selectorIjN6thrust23THRUST_200600_302600_NS5tupleIffNS6_9null_typeES8_S8_S8_S8_S8_S8_S8_EEEEZZNS1_29radix_sort_onesweep_iterationIS3_Lb0ENS6_6detail15normal_iteratorINS6_10device_ptrIjEEEESG_NSD_INSE_IS9_EEEESI_jNS0_19identity_decomposerENS1_16block_id_wrapperIjLb0EEEEE10hipError_tT1_PNSt15iterator_traitsISN_E10value_typeET2_T3_PNSO_IST_E10value_typeET4_T5_PSY_SZ_PNS1_23onesweep_lookback_stateEbbT6_jjT7_P12ihipStream_tbENKUlT_T0_SN_SS_E_clIPjSG_PS9_SI_EEDaS16_S17_SN_SS_EUlS16_E_NS1_11comp_targetILNS1_3genE4ELNS1_11target_archE910ELNS1_3gpuE8ELNS1_3repE0EEENS1_47radix_sort_onesweep_sort_config_static_selectorELNS0_4arch9wavefront6targetE0EEEvSN_
                                        ; -- End function
	.set _ZN7rocprim17ROCPRIM_400000_NS6detail17trampoline_kernelINS0_14default_configENS1_35radix_sort_onesweep_config_selectorIjN6thrust23THRUST_200600_302600_NS5tupleIffNS6_9null_typeES8_S8_S8_S8_S8_S8_S8_EEEEZZNS1_29radix_sort_onesweep_iterationIS3_Lb0ENS6_6detail15normal_iteratorINS6_10device_ptrIjEEEESG_NSD_INSE_IS9_EEEESI_jNS0_19identity_decomposerENS1_16block_id_wrapperIjLb0EEEEE10hipError_tT1_PNSt15iterator_traitsISN_E10value_typeET2_T3_PNSO_IST_E10value_typeET4_T5_PSY_SZ_PNS1_23onesweep_lookback_stateEbbT6_jjT7_P12ihipStream_tbENKUlT_T0_SN_SS_E_clIPjSG_PS9_SI_EEDaS16_S17_SN_SS_EUlS16_E_NS1_11comp_targetILNS1_3genE4ELNS1_11target_archE910ELNS1_3gpuE8ELNS1_3repE0EEENS1_47radix_sort_onesweep_sort_config_static_selectorELNS0_4arch9wavefront6targetE0EEEvSN_.num_vgpr, 0
	.set _ZN7rocprim17ROCPRIM_400000_NS6detail17trampoline_kernelINS0_14default_configENS1_35radix_sort_onesweep_config_selectorIjN6thrust23THRUST_200600_302600_NS5tupleIffNS6_9null_typeES8_S8_S8_S8_S8_S8_S8_EEEEZZNS1_29radix_sort_onesweep_iterationIS3_Lb0ENS6_6detail15normal_iteratorINS6_10device_ptrIjEEEESG_NSD_INSE_IS9_EEEESI_jNS0_19identity_decomposerENS1_16block_id_wrapperIjLb0EEEEE10hipError_tT1_PNSt15iterator_traitsISN_E10value_typeET2_T3_PNSO_IST_E10value_typeET4_T5_PSY_SZ_PNS1_23onesweep_lookback_stateEbbT6_jjT7_P12ihipStream_tbENKUlT_T0_SN_SS_E_clIPjSG_PS9_SI_EEDaS16_S17_SN_SS_EUlS16_E_NS1_11comp_targetILNS1_3genE4ELNS1_11target_archE910ELNS1_3gpuE8ELNS1_3repE0EEENS1_47radix_sort_onesweep_sort_config_static_selectorELNS0_4arch9wavefront6targetE0EEEvSN_.num_agpr, 0
	.set _ZN7rocprim17ROCPRIM_400000_NS6detail17trampoline_kernelINS0_14default_configENS1_35radix_sort_onesweep_config_selectorIjN6thrust23THRUST_200600_302600_NS5tupleIffNS6_9null_typeES8_S8_S8_S8_S8_S8_S8_EEEEZZNS1_29radix_sort_onesweep_iterationIS3_Lb0ENS6_6detail15normal_iteratorINS6_10device_ptrIjEEEESG_NSD_INSE_IS9_EEEESI_jNS0_19identity_decomposerENS1_16block_id_wrapperIjLb0EEEEE10hipError_tT1_PNSt15iterator_traitsISN_E10value_typeET2_T3_PNSO_IST_E10value_typeET4_T5_PSY_SZ_PNS1_23onesweep_lookback_stateEbbT6_jjT7_P12ihipStream_tbENKUlT_T0_SN_SS_E_clIPjSG_PS9_SI_EEDaS16_S17_SN_SS_EUlS16_E_NS1_11comp_targetILNS1_3genE4ELNS1_11target_archE910ELNS1_3gpuE8ELNS1_3repE0EEENS1_47radix_sort_onesweep_sort_config_static_selectorELNS0_4arch9wavefront6targetE0EEEvSN_.numbered_sgpr, 0
	.set _ZN7rocprim17ROCPRIM_400000_NS6detail17trampoline_kernelINS0_14default_configENS1_35radix_sort_onesweep_config_selectorIjN6thrust23THRUST_200600_302600_NS5tupleIffNS6_9null_typeES8_S8_S8_S8_S8_S8_S8_EEEEZZNS1_29radix_sort_onesweep_iterationIS3_Lb0ENS6_6detail15normal_iteratorINS6_10device_ptrIjEEEESG_NSD_INSE_IS9_EEEESI_jNS0_19identity_decomposerENS1_16block_id_wrapperIjLb0EEEEE10hipError_tT1_PNSt15iterator_traitsISN_E10value_typeET2_T3_PNSO_IST_E10value_typeET4_T5_PSY_SZ_PNS1_23onesweep_lookback_stateEbbT6_jjT7_P12ihipStream_tbENKUlT_T0_SN_SS_E_clIPjSG_PS9_SI_EEDaS16_S17_SN_SS_EUlS16_E_NS1_11comp_targetILNS1_3genE4ELNS1_11target_archE910ELNS1_3gpuE8ELNS1_3repE0EEENS1_47radix_sort_onesweep_sort_config_static_selectorELNS0_4arch9wavefront6targetE0EEEvSN_.num_named_barrier, 0
	.set _ZN7rocprim17ROCPRIM_400000_NS6detail17trampoline_kernelINS0_14default_configENS1_35radix_sort_onesweep_config_selectorIjN6thrust23THRUST_200600_302600_NS5tupleIffNS6_9null_typeES8_S8_S8_S8_S8_S8_S8_EEEEZZNS1_29radix_sort_onesweep_iterationIS3_Lb0ENS6_6detail15normal_iteratorINS6_10device_ptrIjEEEESG_NSD_INSE_IS9_EEEESI_jNS0_19identity_decomposerENS1_16block_id_wrapperIjLb0EEEEE10hipError_tT1_PNSt15iterator_traitsISN_E10value_typeET2_T3_PNSO_IST_E10value_typeET4_T5_PSY_SZ_PNS1_23onesweep_lookback_stateEbbT6_jjT7_P12ihipStream_tbENKUlT_T0_SN_SS_E_clIPjSG_PS9_SI_EEDaS16_S17_SN_SS_EUlS16_E_NS1_11comp_targetILNS1_3genE4ELNS1_11target_archE910ELNS1_3gpuE8ELNS1_3repE0EEENS1_47radix_sort_onesweep_sort_config_static_selectorELNS0_4arch9wavefront6targetE0EEEvSN_.private_seg_size, 0
	.set _ZN7rocprim17ROCPRIM_400000_NS6detail17trampoline_kernelINS0_14default_configENS1_35radix_sort_onesweep_config_selectorIjN6thrust23THRUST_200600_302600_NS5tupleIffNS6_9null_typeES8_S8_S8_S8_S8_S8_S8_EEEEZZNS1_29radix_sort_onesweep_iterationIS3_Lb0ENS6_6detail15normal_iteratorINS6_10device_ptrIjEEEESG_NSD_INSE_IS9_EEEESI_jNS0_19identity_decomposerENS1_16block_id_wrapperIjLb0EEEEE10hipError_tT1_PNSt15iterator_traitsISN_E10value_typeET2_T3_PNSO_IST_E10value_typeET4_T5_PSY_SZ_PNS1_23onesweep_lookback_stateEbbT6_jjT7_P12ihipStream_tbENKUlT_T0_SN_SS_E_clIPjSG_PS9_SI_EEDaS16_S17_SN_SS_EUlS16_E_NS1_11comp_targetILNS1_3genE4ELNS1_11target_archE910ELNS1_3gpuE8ELNS1_3repE0EEENS1_47radix_sort_onesweep_sort_config_static_selectorELNS0_4arch9wavefront6targetE0EEEvSN_.uses_vcc, 0
	.set _ZN7rocprim17ROCPRIM_400000_NS6detail17trampoline_kernelINS0_14default_configENS1_35radix_sort_onesweep_config_selectorIjN6thrust23THRUST_200600_302600_NS5tupleIffNS6_9null_typeES8_S8_S8_S8_S8_S8_S8_EEEEZZNS1_29radix_sort_onesweep_iterationIS3_Lb0ENS6_6detail15normal_iteratorINS6_10device_ptrIjEEEESG_NSD_INSE_IS9_EEEESI_jNS0_19identity_decomposerENS1_16block_id_wrapperIjLb0EEEEE10hipError_tT1_PNSt15iterator_traitsISN_E10value_typeET2_T3_PNSO_IST_E10value_typeET4_T5_PSY_SZ_PNS1_23onesweep_lookback_stateEbbT6_jjT7_P12ihipStream_tbENKUlT_T0_SN_SS_E_clIPjSG_PS9_SI_EEDaS16_S17_SN_SS_EUlS16_E_NS1_11comp_targetILNS1_3genE4ELNS1_11target_archE910ELNS1_3gpuE8ELNS1_3repE0EEENS1_47radix_sort_onesweep_sort_config_static_selectorELNS0_4arch9wavefront6targetE0EEEvSN_.uses_flat_scratch, 0
	.set _ZN7rocprim17ROCPRIM_400000_NS6detail17trampoline_kernelINS0_14default_configENS1_35radix_sort_onesweep_config_selectorIjN6thrust23THRUST_200600_302600_NS5tupleIffNS6_9null_typeES8_S8_S8_S8_S8_S8_S8_EEEEZZNS1_29radix_sort_onesweep_iterationIS3_Lb0ENS6_6detail15normal_iteratorINS6_10device_ptrIjEEEESG_NSD_INSE_IS9_EEEESI_jNS0_19identity_decomposerENS1_16block_id_wrapperIjLb0EEEEE10hipError_tT1_PNSt15iterator_traitsISN_E10value_typeET2_T3_PNSO_IST_E10value_typeET4_T5_PSY_SZ_PNS1_23onesweep_lookback_stateEbbT6_jjT7_P12ihipStream_tbENKUlT_T0_SN_SS_E_clIPjSG_PS9_SI_EEDaS16_S17_SN_SS_EUlS16_E_NS1_11comp_targetILNS1_3genE4ELNS1_11target_archE910ELNS1_3gpuE8ELNS1_3repE0EEENS1_47radix_sort_onesweep_sort_config_static_selectorELNS0_4arch9wavefront6targetE0EEEvSN_.has_dyn_sized_stack, 0
	.set _ZN7rocprim17ROCPRIM_400000_NS6detail17trampoline_kernelINS0_14default_configENS1_35radix_sort_onesweep_config_selectorIjN6thrust23THRUST_200600_302600_NS5tupleIffNS6_9null_typeES8_S8_S8_S8_S8_S8_S8_EEEEZZNS1_29radix_sort_onesweep_iterationIS3_Lb0ENS6_6detail15normal_iteratorINS6_10device_ptrIjEEEESG_NSD_INSE_IS9_EEEESI_jNS0_19identity_decomposerENS1_16block_id_wrapperIjLb0EEEEE10hipError_tT1_PNSt15iterator_traitsISN_E10value_typeET2_T3_PNSO_IST_E10value_typeET4_T5_PSY_SZ_PNS1_23onesweep_lookback_stateEbbT6_jjT7_P12ihipStream_tbENKUlT_T0_SN_SS_E_clIPjSG_PS9_SI_EEDaS16_S17_SN_SS_EUlS16_E_NS1_11comp_targetILNS1_3genE4ELNS1_11target_archE910ELNS1_3gpuE8ELNS1_3repE0EEENS1_47radix_sort_onesweep_sort_config_static_selectorELNS0_4arch9wavefront6targetE0EEEvSN_.has_recursion, 0
	.set _ZN7rocprim17ROCPRIM_400000_NS6detail17trampoline_kernelINS0_14default_configENS1_35radix_sort_onesweep_config_selectorIjN6thrust23THRUST_200600_302600_NS5tupleIffNS6_9null_typeES8_S8_S8_S8_S8_S8_S8_EEEEZZNS1_29radix_sort_onesweep_iterationIS3_Lb0ENS6_6detail15normal_iteratorINS6_10device_ptrIjEEEESG_NSD_INSE_IS9_EEEESI_jNS0_19identity_decomposerENS1_16block_id_wrapperIjLb0EEEEE10hipError_tT1_PNSt15iterator_traitsISN_E10value_typeET2_T3_PNSO_IST_E10value_typeET4_T5_PSY_SZ_PNS1_23onesweep_lookback_stateEbbT6_jjT7_P12ihipStream_tbENKUlT_T0_SN_SS_E_clIPjSG_PS9_SI_EEDaS16_S17_SN_SS_EUlS16_E_NS1_11comp_targetILNS1_3genE4ELNS1_11target_archE910ELNS1_3gpuE8ELNS1_3repE0EEENS1_47radix_sort_onesweep_sort_config_static_selectorELNS0_4arch9wavefront6targetE0EEEvSN_.has_indirect_call, 0
	.section	.AMDGPU.csdata,"",@progbits
; Kernel info:
; codeLenInByte = 0
; TotalNumSgprs: 0
; NumVgprs: 0
; ScratchSize: 0
; MemoryBound: 0
; FloatMode: 240
; IeeeMode: 1
; LDSByteSize: 0 bytes/workgroup (compile time only)
; SGPRBlocks: 0
; VGPRBlocks: 0
; NumSGPRsForWavesPerEU: 1
; NumVGPRsForWavesPerEU: 1
; Occupancy: 16
; WaveLimiterHint : 0
; COMPUTE_PGM_RSRC2:SCRATCH_EN: 0
; COMPUTE_PGM_RSRC2:USER_SGPR: 2
; COMPUTE_PGM_RSRC2:TRAP_HANDLER: 0
; COMPUTE_PGM_RSRC2:TGID_X_EN: 1
; COMPUTE_PGM_RSRC2:TGID_Y_EN: 0
; COMPUTE_PGM_RSRC2:TGID_Z_EN: 0
; COMPUTE_PGM_RSRC2:TIDIG_COMP_CNT: 0
	.section	.text._ZN7rocprim17ROCPRIM_400000_NS6detail17trampoline_kernelINS0_14default_configENS1_35radix_sort_onesweep_config_selectorIjN6thrust23THRUST_200600_302600_NS5tupleIffNS6_9null_typeES8_S8_S8_S8_S8_S8_S8_EEEEZZNS1_29radix_sort_onesweep_iterationIS3_Lb0ENS6_6detail15normal_iteratorINS6_10device_ptrIjEEEESG_NSD_INSE_IS9_EEEESI_jNS0_19identity_decomposerENS1_16block_id_wrapperIjLb0EEEEE10hipError_tT1_PNSt15iterator_traitsISN_E10value_typeET2_T3_PNSO_IST_E10value_typeET4_T5_PSY_SZ_PNS1_23onesweep_lookback_stateEbbT6_jjT7_P12ihipStream_tbENKUlT_T0_SN_SS_E_clIPjSG_PS9_SI_EEDaS16_S17_SN_SS_EUlS16_E_NS1_11comp_targetILNS1_3genE3ELNS1_11target_archE908ELNS1_3gpuE7ELNS1_3repE0EEENS1_47radix_sort_onesweep_sort_config_static_selectorELNS0_4arch9wavefront6targetE0EEEvSN_,"axG",@progbits,_ZN7rocprim17ROCPRIM_400000_NS6detail17trampoline_kernelINS0_14default_configENS1_35radix_sort_onesweep_config_selectorIjN6thrust23THRUST_200600_302600_NS5tupleIffNS6_9null_typeES8_S8_S8_S8_S8_S8_S8_EEEEZZNS1_29radix_sort_onesweep_iterationIS3_Lb0ENS6_6detail15normal_iteratorINS6_10device_ptrIjEEEESG_NSD_INSE_IS9_EEEESI_jNS0_19identity_decomposerENS1_16block_id_wrapperIjLb0EEEEE10hipError_tT1_PNSt15iterator_traitsISN_E10value_typeET2_T3_PNSO_IST_E10value_typeET4_T5_PSY_SZ_PNS1_23onesweep_lookback_stateEbbT6_jjT7_P12ihipStream_tbENKUlT_T0_SN_SS_E_clIPjSG_PS9_SI_EEDaS16_S17_SN_SS_EUlS16_E_NS1_11comp_targetILNS1_3genE3ELNS1_11target_archE908ELNS1_3gpuE7ELNS1_3repE0EEENS1_47radix_sort_onesweep_sort_config_static_selectorELNS0_4arch9wavefront6targetE0EEEvSN_,comdat
	.protected	_ZN7rocprim17ROCPRIM_400000_NS6detail17trampoline_kernelINS0_14default_configENS1_35radix_sort_onesweep_config_selectorIjN6thrust23THRUST_200600_302600_NS5tupleIffNS6_9null_typeES8_S8_S8_S8_S8_S8_S8_EEEEZZNS1_29radix_sort_onesweep_iterationIS3_Lb0ENS6_6detail15normal_iteratorINS6_10device_ptrIjEEEESG_NSD_INSE_IS9_EEEESI_jNS0_19identity_decomposerENS1_16block_id_wrapperIjLb0EEEEE10hipError_tT1_PNSt15iterator_traitsISN_E10value_typeET2_T3_PNSO_IST_E10value_typeET4_T5_PSY_SZ_PNS1_23onesweep_lookback_stateEbbT6_jjT7_P12ihipStream_tbENKUlT_T0_SN_SS_E_clIPjSG_PS9_SI_EEDaS16_S17_SN_SS_EUlS16_E_NS1_11comp_targetILNS1_3genE3ELNS1_11target_archE908ELNS1_3gpuE7ELNS1_3repE0EEENS1_47radix_sort_onesweep_sort_config_static_selectorELNS0_4arch9wavefront6targetE0EEEvSN_ ; -- Begin function _ZN7rocprim17ROCPRIM_400000_NS6detail17trampoline_kernelINS0_14default_configENS1_35radix_sort_onesweep_config_selectorIjN6thrust23THRUST_200600_302600_NS5tupleIffNS6_9null_typeES8_S8_S8_S8_S8_S8_S8_EEEEZZNS1_29radix_sort_onesweep_iterationIS3_Lb0ENS6_6detail15normal_iteratorINS6_10device_ptrIjEEEESG_NSD_INSE_IS9_EEEESI_jNS0_19identity_decomposerENS1_16block_id_wrapperIjLb0EEEEE10hipError_tT1_PNSt15iterator_traitsISN_E10value_typeET2_T3_PNSO_IST_E10value_typeET4_T5_PSY_SZ_PNS1_23onesweep_lookback_stateEbbT6_jjT7_P12ihipStream_tbENKUlT_T0_SN_SS_E_clIPjSG_PS9_SI_EEDaS16_S17_SN_SS_EUlS16_E_NS1_11comp_targetILNS1_3genE3ELNS1_11target_archE908ELNS1_3gpuE7ELNS1_3repE0EEENS1_47radix_sort_onesweep_sort_config_static_selectorELNS0_4arch9wavefront6targetE0EEEvSN_
	.globl	_ZN7rocprim17ROCPRIM_400000_NS6detail17trampoline_kernelINS0_14default_configENS1_35radix_sort_onesweep_config_selectorIjN6thrust23THRUST_200600_302600_NS5tupleIffNS6_9null_typeES8_S8_S8_S8_S8_S8_S8_EEEEZZNS1_29radix_sort_onesweep_iterationIS3_Lb0ENS6_6detail15normal_iteratorINS6_10device_ptrIjEEEESG_NSD_INSE_IS9_EEEESI_jNS0_19identity_decomposerENS1_16block_id_wrapperIjLb0EEEEE10hipError_tT1_PNSt15iterator_traitsISN_E10value_typeET2_T3_PNSO_IST_E10value_typeET4_T5_PSY_SZ_PNS1_23onesweep_lookback_stateEbbT6_jjT7_P12ihipStream_tbENKUlT_T0_SN_SS_E_clIPjSG_PS9_SI_EEDaS16_S17_SN_SS_EUlS16_E_NS1_11comp_targetILNS1_3genE3ELNS1_11target_archE908ELNS1_3gpuE7ELNS1_3repE0EEENS1_47radix_sort_onesweep_sort_config_static_selectorELNS0_4arch9wavefront6targetE0EEEvSN_
	.p2align	8
	.type	_ZN7rocprim17ROCPRIM_400000_NS6detail17trampoline_kernelINS0_14default_configENS1_35radix_sort_onesweep_config_selectorIjN6thrust23THRUST_200600_302600_NS5tupleIffNS6_9null_typeES8_S8_S8_S8_S8_S8_S8_EEEEZZNS1_29radix_sort_onesweep_iterationIS3_Lb0ENS6_6detail15normal_iteratorINS6_10device_ptrIjEEEESG_NSD_INSE_IS9_EEEESI_jNS0_19identity_decomposerENS1_16block_id_wrapperIjLb0EEEEE10hipError_tT1_PNSt15iterator_traitsISN_E10value_typeET2_T3_PNSO_IST_E10value_typeET4_T5_PSY_SZ_PNS1_23onesweep_lookback_stateEbbT6_jjT7_P12ihipStream_tbENKUlT_T0_SN_SS_E_clIPjSG_PS9_SI_EEDaS16_S17_SN_SS_EUlS16_E_NS1_11comp_targetILNS1_3genE3ELNS1_11target_archE908ELNS1_3gpuE7ELNS1_3repE0EEENS1_47radix_sort_onesweep_sort_config_static_selectorELNS0_4arch9wavefront6targetE0EEEvSN_,@function
_ZN7rocprim17ROCPRIM_400000_NS6detail17trampoline_kernelINS0_14default_configENS1_35radix_sort_onesweep_config_selectorIjN6thrust23THRUST_200600_302600_NS5tupleIffNS6_9null_typeES8_S8_S8_S8_S8_S8_S8_EEEEZZNS1_29radix_sort_onesweep_iterationIS3_Lb0ENS6_6detail15normal_iteratorINS6_10device_ptrIjEEEESG_NSD_INSE_IS9_EEEESI_jNS0_19identity_decomposerENS1_16block_id_wrapperIjLb0EEEEE10hipError_tT1_PNSt15iterator_traitsISN_E10value_typeET2_T3_PNSO_IST_E10value_typeET4_T5_PSY_SZ_PNS1_23onesweep_lookback_stateEbbT6_jjT7_P12ihipStream_tbENKUlT_T0_SN_SS_E_clIPjSG_PS9_SI_EEDaS16_S17_SN_SS_EUlS16_E_NS1_11comp_targetILNS1_3genE3ELNS1_11target_archE908ELNS1_3gpuE7ELNS1_3repE0EEENS1_47radix_sort_onesweep_sort_config_static_selectorELNS0_4arch9wavefront6targetE0EEEvSN_: ; @_ZN7rocprim17ROCPRIM_400000_NS6detail17trampoline_kernelINS0_14default_configENS1_35radix_sort_onesweep_config_selectorIjN6thrust23THRUST_200600_302600_NS5tupleIffNS6_9null_typeES8_S8_S8_S8_S8_S8_S8_EEEEZZNS1_29radix_sort_onesweep_iterationIS3_Lb0ENS6_6detail15normal_iteratorINS6_10device_ptrIjEEEESG_NSD_INSE_IS9_EEEESI_jNS0_19identity_decomposerENS1_16block_id_wrapperIjLb0EEEEE10hipError_tT1_PNSt15iterator_traitsISN_E10value_typeET2_T3_PNSO_IST_E10value_typeET4_T5_PSY_SZ_PNS1_23onesweep_lookback_stateEbbT6_jjT7_P12ihipStream_tbENKUlT_T0_SN_SS_E_clIPjSG_PS9_SI_EEDaS16_S17_SN_SS_EUlS16_E_NS1_11comp_targetILNS1_3genE3ELNS1_11target_archE908ELNS1_3gpuE7ELNS1_3repE0EEENS1_47radix_sort_onesweep_sort_config_static_selectorELNS0_4arch9wavefront6targetE0EEEvSN_
; %bb.0:
	.section	.rodata,"a",@progbits
	.p2align	6, 0x0
	.amdhsa_kernel _ZN7rocprim17ROCPRIM_400000_NS6detail17trampoline_kernelINS0_14default_configENS1_35radix_sort_onesweep_config_selectorIjN6thrust23THRUST_200600_302600_NS5tupleIffNS6_9null_typeES8_S8_S8_S8_S8_S8_S8_EEEEZZNS1_29radix_sort_onesweep_iterationIS3_Lb0ENS6_6detail15normal_iteratorINS6_10device_ptrIjEEEESG_NSD_INSE_IS9_EEEESI_jNS0_19identity_decomposerENS1_16block_id_wrapperIjLb0EEEEE10hipError_tT1_PNSt15iterator_traitsISN_E10value_typeET2_T3_PNSO_IST_E10value_typeET4_T5_PSY_SZ_PNS1_23onesweep_lookback_stateEbbT6_jjT7_P12ihipStream_tbENKUlT_T0_SN_SS_E_clIPjSG_PS9_SI_EEDaS16_S17_SN_SS_EUlS16_E_NS1_11comp_targetILNS1_3genE3ELNS1_11target_archE908ELNS1_3gpuE7ELNS1_3repE0EEENS1_47radix_sort_onesweep_sort_config_static_selectorELNS0_4arch9wavefront6targetE0EEEvSN_
		.amdhsa_group_segment_fixed_size 0
		.amdhsa_private_segment_fixed_size 0
		.amdhsa_kernarg_size 88
		.amdhsa_user_sgpr_count 2
		.amdhsa_user_sgpr_dispatch_ptr 0
		.amdhsa_user_sgpr_queue_ptr 0
		.amdhsa_user_sgpr_kernarg_segment_ptr 1
		.amdhsa_user_sgpr_dispatch_id 0
		.amdhsa_user_sgpr_private_segment_size 0
		.amdhsa_wavefront_size32 1
		.amdhsa_uses_dynamic_stack 0
		.amdhsa_enable_private_segment 0
		.amdhsa_system_sgpr_workgroup_id_x 1
		.amdhsa_system_sgpr_workgroup_id_y 0
		.amdhsa_system_sgpr_workgroup_id_z 0
		.amdhsa_system_sgpr_workgroup_info 0
		.amdhsa_system_vgpr_workitem_id 0
		.amdhsa_next_free_vgpr 1
		.amdhsa_next_free_sgpr 1
		.amdhsa_reserve_vcc 0
		.amdhsa_float_round_mode_32 0
		.amdhsa_float_round_mode_16_64 0
		.amdhsa_float_denorm_mode_32 3
		.amdhsa_float_denorm_mode_16_64 3
		.amdhsa_fp16_overflow 0
		.amdhsa_workgroup_processor_mode 1
		.amdhsa_memory_ordered 1
		.amdhsa_forward_progress 1
		.amdhsa_inst_pref_size 0
		.amdhsa_round_robin_scheduling 0
		.amdhsa_exception_fp_ieee_invalid_op 0
		.amdhsa_exception_fp_denorm_src 0
		.amdhsa_exception_fp_ieee_div_zero 0
		.amdhsa_exception_fp_ieee_overflow 0
		.amdhsa_exception_fp_ieee_underflow 0
		.amdhsa_exception_fp_ieee_inexact 0
		.amdhsa_exception_int_div_zero 0
	.end_amdhsa_kernel
	.section	.text._ZN7rocprim17ROCPRIM_400000_NS6detail17trampoline_kernelINS0_14default_configENS1_35radix_sort_onesweep_config_selectorIjN6thrust23THRUST_200600_302600_NS5tupleIffNS6_9null_typeES8_S8_S8_S8_S8_S8_S8_EEEEZZNS1_29radix_sort_onesweep_iterationIS3_Lb0ENS6_6detail15normal_iteratorINS6_10device_ptrIjEEEESG_NSD_INSE_IS9_EEEESI_jNS0_19identity_decomposerENS1_16block_id_wrapperIjLb0EEEEE10hipError_tT1_PNSt15iterator_traitsISN_E10value_typeET2_T3_PNSO_IST_E10value_typeET4_T5_PSY_SZ_PNS1_23onesweep_lookback_stateEbbT6_jjT7_P12ihipStream_tbENKUlT_T0_SN_SS_E_clIPjSG_PS9_SI_EEDaS16_S17_SN_SS_EUlS16_E_NS1_11comp_targetILNS1_3genE3ELNS1_11target_archE908ELNS1_3gpuE7ELNS1_3repE0EEENS1_47radix_sort_onesweep_sort_config_static_selectorELNS0_4arch9wavefront6targetE0EEEvSN_,"axG",@progbits,_ZN7rocprim17ROCPRIM_400000_NS6detail17trampoline_kernelINS0_14default_configENS1_35radix_sort_onesweep_config_selectorIjN6thrust23THRUST_200600_302600_NS5tupleIffNS6_9null_typeES8_S8_S8_S8_S8_S8_S8_EEEEZZNS1_29radix_sort_onesweep_iterationIS3_Lb0ENS6_6detail15normal_iteratorINS6_10device_ptrIjEEEESG_NSD_INSE_IS9_EEEESI_jNS0_19identity_decomposerENS1_16block_id_wrapperIjLb0EEEEE10hipError_tT1_PNSt15iterator_traitsISN_E10value_typeET2_T3_PNSO_IST_E10value_typeET4_T5_PSY_SZ_PNS1_23onesweep_lookback_stateEbbT6_jjT7_P12ihipStream_tbENKUlT_T0_SN_SS_E_clIPjSG_PS9_SI_EEDaS16_S17_SN_SS_EUlS16_E_NS1_11comp_targetILNS1_3genE3ELNS1_11target_archE908ELNS1_3gpuE7ELNS1_3repE0EEENS1_47radix_sort_onesweep_sort_config_static_selectorELNS0_4arch9wavefront6targetE0EEEvSN_,comdat
.Lfunc_end225:
	.size	_ZN7rocprim17ROCPRIM_400000_NS6detail17trampoline_kernelINS0_14default_configENS1_35radix_sort_onesweep_config_selectorIjN6thrust23THRUST_200600_302600_NS5tupleIffNS6_9null_typeES8_S8_S8_S8_S8_S8_S8_EEEEZZNS1_29radix_sort_onesweep_iterationIS3_Lb0ENS6_6detail15normal_iteratorINS6_10device_ptrIjEEEESG_NSD_INSE_IS9_EEEESI_jNS0_19identity_decomposerENS1_16block_id_wrapperIjLb0EEEEE10hipError_tT1_PNSt15iterator_traitsISN_E10value_typeET2_T3_PNSO_IST_E10value_typeET4_T5_PSY_SZ_PNS1_23onesweep_lookback_stateEbbT6_jjT7_P12ihipStream_tbENKUlT_T0_SN_SS_E_clIPjSG_PS9_SI_EEDaS16_S17_SN_SS_EUlS16_E_NS1_11comp_targetILNS1_3genE3ELNS1_11target_archE908ELNS1_3gpuE7ELNS1_3repE0EEENS1_47radix_sort_onesweep_sort_config_static_selectorELNS0_4arch9wavefront6targetE0EEEvSN_, .Lfunc_end225-_ZN7rocprim17ROCPRIM_400000_NS6detail17trampoline_kernelINS0_14default_configENS1_35radix_sort_onesweep_config_selectorIjN6thrust23THRUST_200600_302600_NS5tupleIffNS6_9null_typeES8_S8_S8_S8_S8_S8_S8_EEEEZZNS1_29radix_sort_onesweep_iterationIS3_Lb0ENS6_6detail15normal_iteratorINS6_10device_ptrIjEEEESG_NSD_INSE_IS9_EEEESI_jNS0_19identity_decomposerENS1_16block_id_wrapperIjLb0EEEEE10hipError_tT1_PNSt15iterator_traitsISN_E10value_typeET2_T3_PNSO_IST_E10value_typeET4_T5_PSY_SZ_PNS1_23onesweep_lookback_stateEbbT6_jjT7_P12ihipStream_tbENKUlT_T0_SN_SS_E_clIPjSG_PS9_SI_EEDaS16_S17_SN_SS_EUlS16_E_NS1_11comp_targetILNS1_3genE3ELNS1_11target_archE908ELNS1_3gpuE7ELNS1_3repE0EEENS1_47radix_sort_onesweep_sort_config_static_selectorELNS0_4arch9wavefront6targetE0EEEvSN_
                                        ; -- End function
	.set _ZN7rocprim17ROCPRIM_400000_NS6detail17trampoline_kernelINS0_14default_configENS1_35radix_sort_onesweep_config_selectorIjN6thrust23THRUST_200600_302600_NS5tupleIffNS6_9null_typeES8_S8_S8_S8_S8_S8_S8_EEEEZZNS1_29radix_sort_onesweep_iterationIS3_Lb0ENS6_6detail15normal_iteratorINS6_10device_ptrIjEEEESG_NSD_INSE_IS9_EEEESI_jNS0_19identity_decomposerENS1_16block_id_wrapperIjLb0EEEEE10hipError_tT1_PNSt15iterator_traitsISN_E10value_typeET2_T3_PNSO_IST_E10value_typeET4_T5_PSY_SZ_PNS1_23onesweep_lookback_stateEbbT6_jjT7_P12ihipStream_tbENKUlT_T0_SN_SS_E_clIPjSG_PS9_SI_EEDaS16_S17_SN_SS_EUlS16_E_NS1_11comp_targetILNS1_3genE3ELNS1_11target_archE908ELNS1_3gpuE7ELNS1_3repE0EEENS1_47radix_sort_onesweep_sort_config_static_selectorELNS0_4arch9wavefront6targetE0EEEvSN_.num_vgpr, 0
	.set _ZN7rocprim17ROCPRIM_400000_NS6detail17trampoline_kernelINS0_14default_configENS1_35radix_sort_onesweep_config_selectorIjN6thrust23THRUST_200600_302600_NS5tupleIffNS6_9null_typeES8_S8_S8_S8_S8_S8_S8_EEEEZZNS1_29radix_sort_onesweep_iterationIS3_Lb0ENS6_6detail15normal_iteratorINS6_10device_ptrIjEEEESG_NSD_INSE_IS9_EEEESI_jNS0_19identity_decomposerENS1_16block_id_wrapperIjLb0EEEEE10hipError_tT1_PNSt15iterator_traitsISN_E10value_typeET2_T3_PNSO_IST_E10value_typeET4_T5_PSY_SZ_PNS1_23onesweep_lookback_stateEbbT6_jjT7_P12ihipStream_tbENKUlT_T0_SN_SS_E_clIPjSG_PS9_SI_EEDaS16_S17_SN_SS_EUlS16_E_NS1_11comp_targetILNS1_3genE3ELNS1_11target_archE908ELNS1_3gpuE7ELNS1_3repE0EEENS1_47radix_sort_onesweep_sort_config_static_selectorELNS0_4arch9wavefront6targetE0EEEvSN_.num_agpr, 0
	.set _ZN7rocprim17ROCPRIM_400000_NS6detail17trampoline_kernelINS0_14default_configENS1_35radix_sort_onesweep_config_selectorIjN6thrust23THRUST_200600_302600_NS5tupleIffNS6_9null_typeES8_S8_S8_S8_S8_S8_S8_EEEEZZNS1_29radix_sort_onesweep_iterationIS3_Lb0ENS6_6detail15normal_iteratorINS6_10device_ptrIjEEEESG_NSD_INSE_IS9_EEEESI_jNS0_19identity_decomposerENS1_16block_id_wrapperIjLb0EEEEE10hipError_tT1_PNSt15iterator_traitsISN_E10value_typeET2_T3_PNSO_IST_E10value_typeET4_T5_PSY_SZ_PNS1_23onesweep_lookback_stateEbbT6_jjT7_P12ihipStream_tbENKUlT_T0_SN_SS_E_clIPjSG_PS9_SI_EEDaS16_S17_SN_SS_EUlS16_E_NS1_11comp_targetILNS1_3genE3ELNS1_11target_archE908ELNS1_3gpuE7ELNS1_3repE0EEENS1_47radix_sort_onesweep_sort_config_static_selectorELNS0_4arch9wavefront6targetE0EEEvSN_.numbered_sgpr, 0
	.set _ZN7rocprim17ROCPRIM_400000_NS6detail17trampoline_kernelINS0_14default_configENS1_35radix_sort_onesweep_config_selectorIjN6thrust23THRUST_200600_302600_NS5tupleIffNS6_9null_typeES8_S8_S8_S8_S8_S8_S8_EEEEZZNS1_29radix_sort_onesweep_iterationIS3_Lb0ENS6_6detail15normal_iteratorINS6_10device_ptrIjEEEESG_NSD_INSE_IS9_EEEESI_jNS0_19identity_decomposerENS1_16block_id_wrapperIjLb0EEEEE10hipError_tT1_PNSt15iterator_traitsISN_E10value_typeET2_T3_PNSO_IST_E10value_typeET4_T5_PSY_SZ_PNS1_23onesweep_lookback_stateEbbT6_jjT7_P12ihipStream_tbENKUlT_T0_SN_SS_E_clIPjSG_PS9_SI_EEDaS16_S17_SN_SS_EUlS16_E_NS1_11comp_targetILNS1_3genE3ELNS1_11target_archE908ELNS1_3gpuE7ELNS1_3repE0EEENS1_47radix_sort_onesweep_sort_config_static_selectorELNS0_4arch9wavefront6targetE0EEEvSN_.num_named_barrier, 0
	.set _ZN7rocprim17ROCPRIM_400000_NS6detail17trampoline_kernelINS0_14default_configENS1_35radix_sort_onesweep_config_selectorIjN6thrust23THRUST_200600_302600_NS5tupleIffNS6_9null_typeES8_S8_S8_S8_S8_S8_S8_EEEEZZNS1_29radix_sort_onesweep_iterationIS3_Lb0ENS6_6detail15normal_iteratorINS6_10device_ptrIjEEEESG_NSD_INSE_IS9_EEEESI_jNS0_19identity_decomposerENS1_16block_id_wrapperIjLb0EEEEE10hipError_tT1_PNSt15iterator_traitsISN_E10value_typeET2_T3_PNSO_IST_E10value_typeET4_T5_PSY_SZ_PNS1_23onesweep_lookback_stateEbbT6_jjT7_P12ihipStream_tbENKUlT_T0_SN_SS_E_clIPjSG_PS9_SI_EEDaS16_S17_SN_SS_EUlS16_E_NS1_11comp_targetILNS1_3genE3ELNS1_11target_archE908ELNS1_3gpuE7ELNS1_3repE0EEENS1_47radix_sort_onesweep_sort_config_static_selectorELNS0_4arch9wavefront6targetE0EEEvSN_.private_seg_size, 0
	.set _ZN7rocprim17ROCPRIM_400000_NS6detail17trampoline_kernelINS0_14default_configENS1_35radix_sort_onesweep_config_selectorIjN6thrust23THRUST_200600_302600_NS5tupleIffNS6_9null_typeES8_S8_S8_S8_S8_S8_S8_EEEEZZNS1_29radix_sort_onesweep_iterationIS3_Lb0ENS6_6detail15normal_iteratorINS6_10device_ptrIjEEEESG_NSD_INSE_IS9_EEEESI_jNS0_19identity_decomposerENS1_16block_id_wrapperIjLb0EEEEE10hipError_tT1_PNSt15iterator_traitsISN_E10value_typeET2_T3_PNSO_IST_E10value_typeET4_T5_PSY_SZ_PNS1_23onesweep_lookback_stateEbbT6_jjT7_P12ihipStream_tbENKUlT_T0_SN_SS_E_clIPjSG_PS9_SI_EEDaS16_S17_SN_SS_EUlS16_E_NS1_11comp_targetILNS1_3genE3ELNS1_11target_archE908ELNS1_3gpuE7ELNS1_3repE0EEENS1_47radix_sort_onesweep_sort_config_static_selectorELNS0_4arch9wavefront6targetE0EEEvSN_.uses_vcc, 0
	.set _ZN7rocprim17ROCPRIM_400000_NS6detail17trampoline_kernelINS0_14default_configENS1_35radix_sort_onesweep_config_selectorIjN6thrust23THRUST_200600_302600_NS5tupleIffNS6_9null_typeES8_S8_S8_S8_S8_S8_S8_EEEEZZNS1_29radix_sort_onesweep_iterationIS3_Lb0ENS6_6detail15normal_iteratorINS6_10device_ptrIjEEEESG_NSD_INSE_IS9_EEEESI_jNS0_19identity_decomposerENS1_16block_id_wrapperIjLb0EEEEE10hipError_tT1_PNSt15iterator_traitsISN_E10value_typeET2_T3_PNSO_IST_E10value_typeET4_T5_PSY_SZ_PNS1_23onesweep_lookback_stateEbbT6_jjT7_P12ihipStream_tbENKUlT_T0_SN_SS_E_clIPjSG_PS9_SI_EEDaS16_S17_SN_SS_EUlS16_E_NS1_11comp_targetILNS1_3genE3ELNS1_11target_archE908ELNS1_3gpuE7ELNS1_3repE0EEENS1_47radix_sort_onesweep_sort_config_static_selectorELNS0_4arch9wavefront6targetE0EEEvSN_.uses_flat_scratch, 0
	.set _ZN7rocprim17ROCPRIM_400000_NS6detail17trampoline_kernelINS0_14default_configENS1_35radix_sort_onesweep_config_selectorIjN6thrust23THRUST_200600_302600_NS5tupleIffNS6_9null_typeES8_S8_S8_S8_S8_S8_S8_EEEEZZNS1_29radix_sort_onesweep_iterationIS3_Lb0ENS6_6detail15normal_iteratorINS6_10device_ptrIjEEEESG_NSD_INSE_IS9_EEEESI_jNS0_19identity_decomposerENS1_16block_id_wrapperIjLb0EEEEE10hipError_tT1_PNSt15iterator_traitsISN_E10value_typeET2_T3_PNSO_IST_E10value_typeET4_T5_PSY_SZ_PNS1_23onesweep_lookback_stateEbbT6_jjT7_P12ihipStream_tbENKUlT_T0_SN_SS_E_clIPjSG_PS9_SI_EEDaS16_S17_SN_SS_EUlS16_E_NS1_11comp_targetILNS1_3genE3ELNS1_11target_archE908ELNS1_3gpuE7ELNS1_3repE0EEENS1_47radix_sort_onesweep_sort_config_static_selectorELNS0_4arch9wavefront6targetE0EEEvSN_.has_dyn_sized_stack, 0
	.set _ZN7rocprim17ROCPRIM_400000_NS6detail17trampoline_kernelINS0_14default_configENS1_35radix_sort_onesweep_config_selectorIjN6thrust23THRUST_200600_302600_NS5tupleIffNS6_9null_typeES8_S8_S8_S8_S8_S8_S8_EEEEZZNS1_29radix_sort_onesweep_iterationIS3_Lb0ENS6_6detail15normal_iteratorINS6_10device_ptrIjEEEESG_NSD_INSE_IS9_EEEESI_jNS0_19identity_decomposerENS1_16block_id_wrapperIjLb0EEEEE10hipError_tT1_PNSt15iterator_traitsISN_E10value_typeET2_T3_PNSO_IST_E10value_typeET4_T5_PSY_SZ_PNS1_23onesweep_lookback_stateEbbT6_jjT7_P12ihipStream_tbENKUlT_T0_SN_SS_E_clIPjSG_PS9_SI_EEDaS16_S17_SN_SS_EUlS16_E_NS1_11comp_targetILNS1_3genE3ELNS1_11target_archE908ELNS1_3gpuE7ELNS1_3repE0EEENS1_47radix_sort_onesweep_sort_config_static_selectorELNS0_4arch9wavefront6targetE0EEEvSN_.has_recursion, 0
	.set _ZN7rocprim17ROCPRIM_400000_NS6detail17trampoline_kernelINS0_14default_configENS1_35radix_sort_onesweep_config_selectorIjN6thrust23THRUST_200600_302600_NS5tupleIffNS6_9null_typeES8_S8_S8_S8_S8_S8_S8_EEEEZZNS1_29radix_sort_onesweep_iterationIS3_Lb0ENS6_6detail15normal_iteratorINS6_10device_ptrIjEEEESG_NSD_INSE_IS9_EEEESI_jNS0_19identity_decomposerENS1_16block_id_wrapperIjLb0EEEEE10hipError_tT1_PNSt15iterator_traitsISN_E10value_typeET2_T3_PNSO_IST_E10value_typeET4_T5_PSY_SZ_PNS1_23onesweep_lookback_stateEbbT6_jjT7_P12ihipStream_tbENKUlT_T0_SN_SS_E_clIPjSG_PS9_SI_EEDaS16_S17_SN_SS_EUlS16_E_NS1_11comp_targetILNS1_3genE3ELNS1_11target_archE908ELNS1_3gpuE7ELNS1_3repE0EEENS1_47radix_sort_onesweep_sort_config_static_selectorELNS0_4arch9wavefront6targetE0EEEvSN_.has_indirect_call, 0
	.section	.AMDGPU.csdata,"",@progbits
; Kernel info:
; codeLenInByte = 0
; TotalNumSgprs: 0
; NumVgprs: 0
; ScratchSize: 0
; MemoryBound: 0
; FloatMode: 240
; IeeeMode: 1
; LDSByteSize: 0 bytes/workgroup (compile time only)
; SGPRBlocks: 0
; VGPRBlocks: 0
; NumSGPRsForWavesPerEU: 1
; NumVGPRsForWavesPerEU: 1
; Occupancy: 16
; WaveLimiterHint : 0
; COMPUTE_PGM_RSRC2:SCRATCH_EN: 0
; COMPUTE_PGM_RSRC2:USER_SGPR: 2
; COMPUTE_PGM_RSRC2:TRAP_HANDLER: 0
; COMPUTE_PGM_RSRC2:TGID_X_EN: 1
; COMPUTE_PGM_RSRC2:TGID_Y_EN: 0
; COMPUTE_PGM_RSRC2:TGID_Z_EN: 0
; COMPUTE_PGM_RSRC2:TIDIG_COMP_CNT: 0
	.section	.text._ZN7rocprim17ROCPRIM_400000_NS6detail17trampoline_kernelINS0_14default_configENS1_35radix_sort_onesweep_config_selectorIjN6thrust23THRUST_200600_302600_NS5tupleIffNS6_9null_typeES8_S8_S8_S8_S8_S8_S8_EEEEZZNS1_29radix_sort_onesweep_iterationIS3_Lb0ENS6_6detail15normal_iteratorINS6_10device_ptrIjEEEESG_NSD_INSE_IS9_EEEESI_jNS0_19identity_decomposerENS1_16block_id_wrapperIjLb0EEEEE10hipError_tT1_PNSt15iterator_traitsISN_E10value_typeET2_T3_PNSO_IST_E10value_typeET4_T5_PSY_SZ_PNS1_23onesweep_lookback_stateEbbT6_jjT7_P12ihipStream_tbENKUlT_T0_SN_SS_E_clIPjSG_PS9_SI_EEDaS16_S17_SN_SS_EUlS16_E_NS1_11comp_targetILNS1_3genE10ELNS1_11target_archE1201ELNS1_3gpuE5ELNS1_3repE0EEENS1_47radix_sort_onesweep_sort_config_static_selectorELNS0_4arch9wavefront6targetE0EEEvSN_,"axG",@progbits,_ZN7rocprim17ROCPRIM_400000_NS6detail17trampoline_kernelINS0_14default_configENS1_35radix_sort_onesweep_config_selectorIjN6thrust23THRUST_200600_302600_NS5tupleIffNS6_9null_typeES8_S8_S8_S8_S8_S8_S8_EEEEZZNS1_29radix_sort_onesweep_iterationIS3_Lb0ENS6_6detail15normal_iteratorINS6_10device_ptrIjEEEESG_NSD_INSE_IS9_EEEESI_jNS0_19identity_decomposerENS1_16block_id_wrapperIjLb0EEEEE10hipError_tT1_PNSt15iterator_traitsISN_E10value_typeET2_T3_PNSO_IST_E10value_typeET4_T5_PSY_SZ_PNS1_23onesweep_lookback_stateEbbT6_jjT7_P12ihipStream_tbENKUlT_T0_SN_SS_E_clIPjSG_PS9_SI_EEDaS16_S17_SN_SS_EUlS16_E_NS1_11comp_targetILNS1_3genE10ELNS1_11target_archE1201ELNS1_3gpuE5ELNS1_3repE0EEENS1_47radix_sort_onesweep_sort_config_static_selectorELNS0_4arch9wavefront6targetE0EEEvSN_,comdat
	.protected	_ZN7rocprim17ROCPRIM_400000_NS6detail17trampoline_kernelINS0_14default_configENS1_35radix_sort_onesweep_config_selectorIjN6thrust23THRUST_200600_302600_NS5tupleIffNS6_9null_typeES8_S8_S8_S8_S8_S8_S8_EEEEZZNS1_29radix_sort_onesweep_iterationIS3_Lb0ENS6_6detail15normal_iteratorINS6_10device_ptrIjEEEESG_NSD_INSE_IS9_EEEESI_jNS0_19identity_decomposerENS1_16block_id_wrapperIjLb0EEEEE10hipError_tT1_PNSt15iterator_traitsISN_E10value_typeET2_T3_PNSO_IST_E10value_typeET4_T5_PSY_SZ_PNS1_23onesweep_lookback_stateEbbT6_jjT7_P12ihipStream_tbENKUlT_T0_SN_SS_E_clIPjSG_PS9_SI_EEDaS16_S17_SN_SS_EUlS16_E_NS1_11comp_targetILNS1_3genE10ELNS1_11target_archE1201ELNS1_3gpuE5ELNS1_3repE0EEENS1_47radix_sort_onesweep_sort_config_static_selectorELNS0_4arch9wavefront6targetE0EEEvSN_ ; -- Begin function _ZN7rocprim17ROCPRIM_400000_NS6detail17trampoline_kernelINS0_14default_configENS1_35radix_sort_onesweep_config_selectorIjN6thrust23THRUST_200600_302600_NS5tupleIffNS6_9null_typeES8_S8_S8_S8_S8_S8_S8_EEEEZZNS1_29radix_sort_onesweep_iterationIS3_Lb0ENS6_6detail15normal_iteratorINS6_10device_ptrIjEEEESG_NSD_INSE_IS9_EEEESI_jNS0_19identity_decomposerENS1_16block_id_wrapperIjLb0EEEEE10hipError_tT1_PNSt15iterator_traitsISN_E10value_typeET2_T3_PNSO_IST_E10value_typeET4_T5_PSY_SZ_PNS1_23onesweep_lookback_stateEbbT6_jjT7_P12ihipStream_tbENKUlT_T0_SN_SS_E_clIPjSG_PS9_SI_EEDaS16_S17_SN_SS_EUlS16_E_NS1_11comp_targetILNS1_3genE10ELNS1_11target_archE1201ELNS1_3gpuE5ELNS1_3repE0EEENS1_47radix_sort_onesweep_sort_config_static_selectorELNS0_4arch9wavefront6targetE0EEEvSN_
	.globl	_ZN7rocprim17ROCPRIM_400000_NS6detail17trampoline_kernelINS0_14default_configENS1_35radix_sort_onesweep_config_selectorIjN6thrust23THRUST_200600_302600_NS5tupleIffNS6_9null_typeES8_S8_S8_S8_S8_S8_S8_EEEEZZNS1_29radix_sort_onesweep_iterationIS3_Lb0ENS6_6detail15normal_iteratorINS6_10device_ptrIjEEEESG_NSD_INSE_IS9_EEEESI_jNS0_19identity_decomposerENS1_16block_id_wrapperIjLb0EEEEE10hipError_tT1_PNSt15iterator_traitsISN_E10value_typeET2_T3_PNSO_IST_E10value_typeET4_T5_PSY_SZ_PNS1_23onesweep_lookback_stateEbbT6_jjT7_P12ihipStream_tbENKUlT_T0_SN_SS_E_clIPjSG_PS9_SI_EEDaS16_S17_SN_SS_EUlS16_E_NS1_11comp_targetILNS1_3genE10ELNS1_11target_archE1201ELNS1_3gpuE5ELNS1_3repE0EEENS1_47radix_sort_onesweep_sort_config_static_selectorELNS0_4arch9wavefront6targetE0EEEvSN_
	.p2align	8
	.type	_ZN7rocprim17ROCPRIM_400000_NS6detail17trampoline_kernelINS0_14default_configENS1_35radix_sort_onesweep_config_selectorIjN6thrust23THRUST_200600_302600_NS5tupleIffNS6_9null_typeES8_S8_S8_S8_S8_S8_S8_EEEEZZNS1_29radix_sort_onesweep_iterationIS3_Lb0ENS6_6detail15normal_iteratorINS6_10device_ptrIjEEEESG_NSD_INSE_IS9_EEEESI_jNS0_19identity_decomposerENS1_16block_id_wrapperIjLb0EEEEE10hipError_tT1_PNSt15iterator_traitsISN_E10value_typeET2_T3_PNSO_IST_E10value_typeET4_T5_PSY_SZ_PNS1_23onesweep_lookback_stateEbbT6_jjT7_P12ihipStream_tbENKUlT_T0_SN_SS_E_clIPjSG_PS9_SI_EEDaS16_S17_SN_SS_EUlS16_E_NS1_11comp_targetILNS1_3genE10ELNS1_11target_archE1201ELNS1_3gpuE5ELNS1_3repE0EEENS1_47radix_sort_onesweep_sort_config_static_selectorELNS0_4arch9wavefront6targetE0EEEvSN_,@function
_ZN7rocprim17ROCPRIM_400000_NS6detail17trampoline_kernelINS0_14default_configENS1_35radix_sort_onesweep_config_selectorIjN6thrust23THRUST_200600_302600_NS5tupleIffNS6_9null_typeES8_S8_S8_S8_S8_S8_S8_EEEEZZNS1_29radix_sort_onesweep_iterationIS3_Lb0ENS6_6detail15normal_iteratorINS6_10device_ptrIjEEEESG_NSD_INSE_IS9_EEEESI_jNS0_19identity_decomposerENS1_16block_id_wrapperIjLb0EEEEE10hipError_tT1_PNSt15iterator_traitsISN_E10value_typeET2_T3_PNSO_IST_E10value_typeET4_T5_PSY_SZ_PNS1_23onesweep_lookback_stateEbbT6_jjT7_P12ihipStream_tbENKUlT_T0_SN_SS_E_clIPjSG_PS9_SI_EEDaS16_S17_SN_SS_EUlS16_E_NS1_11comp_targetILNS1_3genE10ELNS1_11target_archE1201ELNS1_3gpuE5ELNS1_3repE0EEENS1_47radix_sort_onesweep_sort_config_static_selectorELNS0_4arch9wavefront6targetE0EEEvSN_: ; @_ZN7rocprim17ROCPRIM_400000_NS6detail17trampoline_kernelINS0_14default_configENS1_35radix_sort_onesweep_config_selectorIjN6thrust23THRUST_200600_302600_NS5tupleIffNS6_9null_typeES8_S8_S8_S8_S8_S8_S8_EEEEZZNS1_29radix_sort_onesweep_iterationIS3_Lb0ENS6_6detail15normal_iteratorINS6_10device_ptrIjEEEESG_NSD_INSE_IS9_EEEESI_jNS0_19identity_decomposerENS1_16block_id_wrapperIjLb0EEEEE10hipError_tT1_PNSt15iterator_traitsISN_E10value_typeET2_T3_PNSO_IST_E10value_typeET4_T5_PSY_SZ_PNS1_23onesweep_lookback_stateEbbT6_jjT7_P12ihipStream_tbENKUlT_T0_SN_SS_E_clIPjSG_PS9_SI_EEDaS16_S17_SN_SS_EUlS16_E_NS1_11comp_targetILNS1_3genE10ELNS1_11target_archE1201ELNS1_3gpuE5ELNS1_3repE0EEENS1_47radix_sort_onesweep_sort_config_static_selectorELNS0_4arch9wavefront6targetE0EEEvSN_
; %bb.0:
	s_clause 0x3
	s_load_b96 s[40:42], s[0:1], 0x44
	s_load_b256 s[24:31], s[0:1], 0x0
	s_load_b128 s[36:39], s[0:1], 0x28
	s_load_b64 s[34:35], s[0:1], 0x38
	v_and_b32_e32 v1, 0x3ff, v0
	v_mbcnt_lo_u32_b32 v36, -1, 0
	s_mov_b32 s2, -1
	s_add_nc_u64 s[44:45], s[0:1], 0x58
	s_wait_kmcnt 0x0
	s_cmp_ge_u32 ttmp9, s42
	s_cbranch_scc0 .LBB226_148
; %bb.1:
	s_load_b32 s4, s[0:1], 0x20
	v_dual_mov_b32 v11, -1 :: v_dual_lshlrev_b32 v2, 4, v1
	s_lshl_b32 s5, s42, 14
	s_lshl_b32 s42, ttmp9, 14
	s_mov_b32 s43, 0
	s_delay_alu instid0(VALU_DEP_1)
	v_and_b32_e32 v10, 0x3e00, v2
	v_lshlrev_b32_e32 v2, 2, v36
	s_lshl_b64 s[2:3], s[42:43], 2
	v_mov_b32_e32 v12, -1
	s_add_nc_u64 s[2:3], s[24:25], s[2:3]
	v_lshlrev_b32_e32 v3, 2, v10
	v_add_co_u32 v2, s2, s2, v2
	s_wait_alu 0xf1ff
	v_add_co_ci_u32_e64 v5, null, s3, 0, s2
	v_or_b32_e32 v4, v36, v10
	s_delay_alu instid0(VALU_DEP_3) | instskip(NEXT) | instid1(VALU_DEP_1)
	v_add_co_u32 v2, vcc_lo, v2, v3
	v_add_co_ci_u32_e64 v3, null, 0, v5, vcc_lo
	s_wait_kmcnt 0x0
	s_sub_co_i32 s33, s4, s5
	s_delay_alu instid0(SALU_CYCLE_1)
	v_cmp_gt_u32_e64 s17, s33, v4
	s_and_saveexec_b32 s2, s17
	s_cbranch_execz .LBB226_3
; %bb.2:
	global_load_b32 v12, v[2:3], off
.LBB226_3:
	s_wait_alu 0xfffe
	s_or_b32 exec_lo, exec_lo, s2
	v_or_b32_e32 v5, 32, v4
	s_delay_alu instid0(VALU_DEP_1)
	v_cmp_gt_u32_e64 s16, s33, v5
	s_and_saveexec_b32 s2, s16
	s_cbranch_execz .LBB226_5
; %bb.4:
	global_load_b32 v11, v[2:3], off offset:128
.LBB226_5:
	s_wait_alu 0xfffe
	s_or_b32 exec_lo, exec_lo, s2
	v_or_b32_e32 v5, 64, v4
	v_dual_mov_b32 v13, -1 :: v_dual_mov_b32 v14, -1
	s_delay_alu instid0(VALU_DEP_2)
	v_cmp_gt_u32_e64 s15, s33, v5
	s_and_saveexec_b32 s2, s15
	s_cbranch_execz .LBB226_7
; %bb.6:
	global_load_b32 v14, v[2:3], off offset:256
.LBB226_7:
	s_wait_alu 0xfffe
	s_or_b32 exec_lo, exec_lo, s2
	v_or_b32_e32 v5, 0x60, v4
	s_delay_alu instid0(VALU_DEP_1)
	v_cmp_gt_u32_e64 s14, s33, v5
	s_and_saveexec_b32 s2, s14
	s_cbranch_execz .LBB226_9
; %bb.8:
	global_load_b32 v13, v[2:3], off offset:384
.LBB226_9:
	s_wait_alu 0xfffe
	s_or_b32 exec_lo, exec_lo, s2
	v_or_b32_e32 v5, 0x80, v4
	v_dual_mov_b32 v15, -1 :: v_dual_mov_b32 v16, -1
	s_delay_alu instid0(VALU_DEP_2)
	v_cmp_gt_u32_e64 s13, s33, v5
	s_and_saveexec_b32 s2, s13
	s_cbranch_execz .LBB226_11
; %bb.10:
	global_load_b32 v16, v[2:3], off offset:512
.LBB226_11:
	;; [unrolled: 21-line block ×7, first 2 shown]
	s_wait_alu 0xfffe
	s_or_b32 exec_lo, exec_lo, s2
	v_or_b32_e32 v4, 0x1e0, v4
	s_delay_alu instid0(VALU_DEP_1)
	v_cmp_gt_u32_e64 s2, s33, v4
	s_and_saveexec_b32 s18, s2
	s_cbranch_execz .LBB226_33
; %bb.32:
	global_load_b32 v25, v[2:3], off offset:1920
.LBB226_33:
	s_or_b32 exec_lo, exec_lo, s18
	s_clause 0x1
	s_load_b32 s46, s[0:1], 0x58
	s_load_u16 s20, s[0:1], 0x66
	s_wait_loadcnt 0x0
	v_lshrrev_b32_e32 v2, s40, v12
	v_mul_u32_u24_e32 v30, 36, v1
	s_wait_kmcnt 0x0
	s_cmp_lt_u32 ttmp9, s46
	s_cselect_b32 s18, 12, 18
	s_lshl_b32 s19, -1, s41
	s_delay_alu instid0(SALU_CYCLE_1)
	s_not_b32 s47, s19
	s_mov_b32 s19, 0
	v_and_b32_e32 v4, s47, v2
	s_add_nc_u64 s[18:19], s[44:45], s[18:19]
	v_bfe_u32 v2, v0, 10, 10
	s_load_u16 s19, s[18:19], 0x0
	s_delay_alu instid0(VALU_DEP_2)
	v_and_b32_e32 v3, 1, v4
	v_lshlrev_b32_e32 v5, 30, v4
	v_lshlrev_b32_e32 v6, 29, v4
	;; [unrolled: 1-line block ×4, first 2 shown]
	v_add_co_u32 v3, s18, v3, -1
	s_delay_alu instid0(VALU_DEP_1) | instskip(SKIP_3) | instid1(VALU_DEP_4)
	v_cndmask_b32_e64 v8, 0, 1, s18
	v_not_b32_e32 v29, v5
	v_cmp_gt_i32_e64 s18, 0, v5
	v_not_b32_e32 v5, v6
	v_cmp_ne_u32_e32 vcc_lo, 0, v8
	s_delay_alu instid0(VALU_DEP_4) | instskip(NEXT) | instid1(VALU_DEP_3)
	v_ashrrev_i32_e32 v29, 31, v29
	v_ashrrev_i32_e32 v5, 31, v5
	s_wait_alu 0xfffd
	v_xor_b32_e32 v3, vcc_lo, v3
	v_cmp_gt_i32_e32 vcc_lo, 0, v6
	v_not_b32_e32 v6, v7
	s_wait_alu 0xf1ff
	v_xor_b32_e32 v29, s18, v29
	v_cmp_gt_i32_e64 s18, 0, v7
	v_and_b32_e32 v3, exec_lo, v3
	v_not_b32_e32 v7, v9
	v_ashrrev_i32_e32 v6, 31, v6
	s_wait_alu 0xfffd
	v_xor_b32_e32 v5, vcc_lo, v5
	v_cmp_gt_i32_e32 vcc_lo, 0, v9
	v_and_b32_e32 v3, v3, v29
	v_ashrrev_i32_e32 v7, 31, v7
	s_wait_alu 0xf1ff
	v_xor_b32_e32 v6, s18, v6
	s_delay_alu instid0(VALU_DEP_3) | instskip(SKIP_2) | instid1(VALU_DEP_2)
	v_and_b32_e32 v3, v3, v5
	s_wait_alu 0xfffd
	v_xor_b32_e32 v7, vcc_lo, v7
	v_and_b32_e32 v3, v3, v6
	s_delay_alu instid0(VALU_DEP_1) | instskip(SKIP_1) | instid1(VALU_DEP_1)
	v_and_b32_e32 v3, v3, v7
	v_bfe_u32 v7, v0, 20, 10
	v_mad_u32_u24 v2, v7, s20, v2
	v_mov_b32_e32 v7, 0
	v_lshlrev_b32_e32 v27, 26, v4
	v_lshlrev_b32_e32 v28, 25, v4
	;; [unrolled: 1-line block ×3, first 2 shown]
	v_mul_lo_u32 v4, 0x84, v4
	ds_store_2addr_b32 v30, v7, v7 offset0:32 offset1:33
	ds_store_2addr_b32 v30, v7, v7 offset0:34 offset1:35
	ds_store_2addr_b32 v30, v7, v7 offset0:36 offset1:37
	ds_store_2addr_b32 v30, v7, v7 offset0:38 offset1:39
	v_not_b32_e32 v9, v27
	v_cmp_gt_i32_e64 s18, 0, v27
	v_not_b32_e32 v5, v28
	v_cmp_gt_i32_e32 vcc_lo, 0, v28
	v_not_b32_e32 v6, v8
	v_ashrrev_i32_e32 v9, 31, v9
	ds_store_b32 v30, v7 offset:160
	v_ashrrev_i32_e32 v5, 31, v5
	s_wait_dscnt 0x0
	v_ashrrev_i32_e32 v6, 31, v6
	s_wait_alu 0xf1ff
	v_xor_b32_e32 v9, s18, v9
	v_cmp_gt_i32_e64 s18, 0, v8
	s_wait_alu 0xfffd
	v_xor_b32_e32 v5, vcc_lo, v5
	s_barrier_signal -1
	s_barrier_wait -1
	v_and_b32_e32 v3, v3, v9
	s_wait_alu 0xf1ff
	v_xor_b32_e32 v6, s18, v6
	global_inv scope:SCOPE_SE
	; wave barrier
	v_and_b32_e32 v5, v3, v5
	s_wait_kmcnt 0x0
	v_mad_co_u64_u32 v[2:3], null, v2, s19, v[1:2]
	s_delay_alu instid0(VALU_DEP_2) | instskip(NEXT) | instid1(VALU_DEP_2)
	v_and_b32_e32 v3, v5, v6
	v_lshrrev_b32_e32 v2, 3, v2
	s_delay_alu instid0(VALU_DEP_2) | instskip(SKIP_1) | instid1(VALU_DEP_3)
	v_mbcnt_lo_u32_b32 v27, v3, 0
	v_cmp_ne_u32_e64 s18, 0, v3
	v_and_b32_e32 v2, 0x1ffffffc, v2
	s_delay_alu instid0(VALU_DEP_3) | instskip(NEXT) | instid1(VALU_DEP_2)
	v_cmp_eq_u32_e32 vcc_lo, 0, v27
	v_add_nc_u32_e32 v31, v2, v4
	s_and_b32 s19, s18, vcc_lo
	s_wait_alu 0xfffe
	s_and_saveexec_b32 s18, s19
; %bb.34:
	v_bcnt_u32_b32 v3, v3, 0
	ds_store_b32 v31, v3 offset:128
; %bb.35:
	s_wait_alu 0xfffe
	s_or_b32 exec_lo, exec_lo, s18
	v_lshrrev_b32_e32 v3, s40, v11
	; wave barrier
	s_delay_alu instid0(VALU_DEP_1) | instskip(NEXT) | instid1(VALU_DEP_1)
	v_and_b32_e32 v3, s47, v3
	v_and_b32_e32 v5, 1, v3
	v_lshlrev_b32_e32 v6, 30, v3
	v_lshlrev_b32_e32 v7, 29, v3
	v_lshlrev_b32_e32 v8, 28, v3
	v_lshlrev_b32_e32 v28, 27, v3
	v_add_co_u32 v5, s18, v5, -1
	s_wait_alu 0xf1ff
	v_cndmask_b32_e64 v9, 0, 1, s18
	v_not_b32_e32 v33, v6
	v_cmp_gt_i32_e64 s18, 0, v6
	v_not_b32_e32 v6, v7
	v_lshlrev_b32_e32 v29, 26, v3
	v_cmp_ne_u32_e32 vcc_lo, 0, v9
	v_ashrrev_i32_e32 v9, 31, v33
	v_lshlrev_b32_e32 v32, 25, v3
	v_ashrrev_i32_e32 v6, 31, v6
	v_mul_lo_u32 v4, 0x84, v3
	s_wait_alu 0xfffd
	v_xor_b32_e32 v5, vcc_lo, v5
	v_cmp_gt_i32_e32 vcc_lo, 0, v7
	v_not_b32_e32 v7, v8
	s_wait_alu 0xf1ff
	v_xor_b32_e32 v9, s18, v9
	v_cmp_gt_i32_e64 s18, 0, v8
	v_and_b32_e32 v5, exec_lo, v5
	v_not_b32_e32 v8, v28
	v_ashrrev_i32_e32 v7, 31, v7
	s_wait_alu 0xfffd
	v_xor_b32_e32 v6, vcc_lo, v6
	v_cmp_gt_i32_e32 vcc_lo, 0, v28
	v_and_b32_e32 v5, v5, v9
	v_not_b32_e32 v9, v29
	v_ashrrev_i32_e32 v8, 31, v8
	s_wait_alu 0xf1ff
	v_xor_b32_e32 v7, s18, v7
	v_lshlrev_b32_e32 v3, 24, v3
	v_and_b32_e32 v5, v5, v6
	v_cmp_gt_i32_e64 s18, 0, v29
	v_not_b32_e32 v6, v32
	v_ashrrev_i32_e32 v9, 31, v9
	s_wait_alu 0xfffd
	v_xor_b32_e32 v8, vcc_lo, v8
	v_and_b32_e32 v5, v5, v7
	v_cmp_gt_i32_e32 vcc_lo, 0, v32
	v_not_b32_e32 v7, v3
	v_ashrrev_i32_e32 v6, 31, v6
	s_wait_alu 0xf1ff
	v_xor_b32_e32 v9, s18, v9
	v_and_b32_e32 v5, v5, v8
	v_cmp_gt_i32_e64 s18, 0, v3
	v_ashrrev_i32_e32 v3, 31, v7
	s_wait_alu 0xfffd
	v_xor_b32_e32 v6, vcc_lo, v6
	v_add_nc_u32_e32 v34, v2, v4
	v_and_b32_e32 v5, v5, v9
	s_wait_alu 0xf1ff
	v_xor_b32_e32 v3, s18, v3
	ds_load_b32 v28, v34 offset:128
	v_and_b32_e32 v4, v5, v6
	; wave barrier
	s_delay_alu instid0(VALU_DEP_1) | instskip(NEXT) | instid1(VALU_DEP_1)
	v_and_b32_e32 v3, v4, v3
	v_mbcnt_lo_u32_b32 v29, v3, 0
	v_cmp_ne_u32_e64 s18, 0, v3
	s_delay_alu instid0(VALU_DEP_2)
	v_cmp_eq_u32_e32 vcc_lo, 0, v29
	s_and_b32 s19, s18, vcc_lo
	s_wait_alu 0xfffe
	s_and_saveexec_b32 s18, s19
	s_cbranch_execz .LBB226_37
; %bb.36:
	s_wait_dscnt 0x0
	v_bcnt_u32_b32 v3, v3, v28
	ds_store_b32 v34, v3 offset:128
.LBB226_37:
	s_wait_alu 0xfffe
	s_or_b32 exec_lo, exec_lo, s18
	v_lshrrev_b32_e32 v3, s40, v14
	; wave barrier
	s_delay_alu instid0(VALU_DEP_1) | instskip(NEXT) | instid1(VALU_DEP_1)
	v_and_b32_e32 v3, s47, v3
	v_and_b32_e32 v5, 1, v3
	v_lshlrev_b32_e32 v6, 30, v3
	v_lshlrev_b32_e32 v7, 29, v3
	;; [unrolled: 1-line block ×4, first 2 shown]
	v_add_co_u32 v5, s18, v5, -1
	s_wait_alu 0xf1ff
	v_cndmask_b32_e64 v9, 0, 1, s18
	v_not_b32_e32 v37, v6
	v_cmp_gt_i32_e64 s18, 0, v6
	v_not_b32_e32 v6, v7
	v_lshlrev_b32_e32 v33, 26, v3
	v_cmp_ne_u32_e32 vcc_lo, 0, v9
	v_ashrrev_i32_e32 v9, 31, v37
	v_lshlrev_b32_e32 v35, 25, v3
	v_ashrrev_i32_e32 v6, 31, v6
	v_mul_lo_u32 v4, 0x84, v3
	s_wait_alu 0xfffd
	v_xor_b32_e32 v5, vcc_lo, v5
	v_cmp_gt_i32_e32 vcc_lo, 0, v7
	v_not_b32_e32 v7, v8
	s_wait_alu 0xf1ff
	v_xor_b32_e32 v9, s18, v9
	v_cmp_gt_i32_e64 s18, 0, v8
	v_and_b32_e32 v5, exec_lo, v5
	v_not_b32_e32 v8, v32
	v_ashrrev_i32_e32 v7, 31, v7
	s_wait_alu 0xfffd
	v_xor_b32_e32 v6, vcc_lo, v6
	v_cmp_gt_i32_e32 vcc_lo, 0, v32
	v_and_b32_e32 v5, v5, v9
	v_not_b32_e32 v9, v33
	v_ashrrev_i32_e32 v8, 31, v8
	s_wait_alu 0xf1ff
	v_xor_b32_e32 v7, s18, v7
	v_lshlrev_b32_e32 v3, 24, v3
	v_and_b32_e32 v5, v5, v6
	v_cmp_gt_i32_e64 s18, 0, v33
	v_not_b32_e32 v6, v35
	v_ashrrev_i32_e32 v9, 31, v9
	s_wait_alu 0xfffd
	v_xor_b32_e32 v8, vcc_lo, v8
	v_and_b32_e32 v5, v5, v7
	v_cmp_gt_i32_e32 vcc_lo, 0, v35
	v_not_b32_e32 v7, v3
	v_ashrrev_i32_e32 v6, 31, v6
	s_wait_alu 0xf1ff
	v_xor_b32_e32 v9, s18, v9
	v_and_b32_e32 v5, v5, v8
	v_cmp_gt_i32_e64 s18, 0, v3
	v_ashrrev_i32_e32 v3, 31, v7
	s_wait_alu 0xfffd
	v_xor_b32_e32 v6, vcc_lo, v6
	v_add_nc_u32_e32 v38, v2, v4
	v_and_b32_e32 v5, v5, v9
	s_wait_alu 0xf1ff
	v_xor_b32_e32 v3, s18, v3
	ds_load_b32 v32, v38 offset:128
	v_and_b32_e32 v4, v5, v6
	; wave barrier
	s_delay_alu instid0(VALU_DEP_1) | instskip(NEXT) | instid1(VALU_DEP_1)
	v_and_b32_e32 v3, v4, v3
	v_mbcnt_lo_u32_b32 v33, v3, 0
	v_cmp_ne_u32_e64 s18, 0, v3
	s_delay_alu instid0(VALU_DEP_2)
	v_cmp_eq_u32_e32 vcc_lo, 0, v33
	s_and_b32 s19, s18, vcc_lo
	s_wait_alu 0xfffe
	s_and_saveexec_b32 s18, s19
	s_cbranch_execz .LBB226_39
; %bb.38:
	s_wait_dscnt 0x0
	v_bcnt_u32_b32 v3, v3, v32
	ds_store_b32 v38, v3 offset:128
.LBB226_39:
	s_wait_alu 0xfffe
	s_or_b32 exec_lo, exec_lo, s18
	v_lshrrev_b32_e32 v3, s40, v13
	; wave barrier
	s_delay_alu instid0(VALU_DEP_1) | instskip(NEXT) | instid1(VALU_DEP_1)
	v_and_b32_e32 v3, s47, v3
	v_and_b32_e32 v5, 1, v3
	v_lshlrev_b32_e32 v6, 30, v3
	v_lshlrev_b32_e32 v7, 29, v3
	;; [unrolled: 1-line block ×4, first 2 shown]
	v_add_co_u32 v5, s18, v5, -1
	s_wait_alu 0xf1ff
	v_cndmask_b32_e64 v9, 0, 1, s18
	v_not_b32_e32 v40, v6
	v_cmp_gt_i32_e64 s18, 0, v6
	v_not_b32_e32 v6, v7
	v_lshlrev_b32_e32 v37, 26, v3
	v_cmp_ne_u32_e32 vcc_lo, 0, v9
	v_ashrrev_i32_e32 v9, 31, v40
	v_lshlrev_b32_e32 v39, 25, v3
	v_ashrrev_i32_e32 v6, 31, v6
	v_mul_lo_u32 v4, 0x84, v3
	s_wait_alu 0xfffd
	v_xor_b32_e32 v5, vcc_lo, v5
	v_cmp_gt_i32_e32 vcc_lo, 0, v7
	v_not_b32_e32 v7, v8
	s_wait_alu 0xf1ff
	v_xor_b32_e32 v9, s18, v9
	v_cmp_gt_i32_e64 s18, 0, v8
	v_and_b32_e32 v5, exec_lo, v5
	v_not_b32_e32 v8, v35
	v_ashrrev_i32_e32 v7, 31, v7
	s_wait_alu 0xfffd
	v_xor_b32_e32 v6, vcc_lo, v6
	v_cmp_gt_i32_e32 vcc_lo, 0, v35
	v_and_b32_e32 v5, v5, v9
	v_not_b32_e32 v9, v37
	v_ashrrev_i32_e32 v8, 31, v8
	s_wait_alu 0xf1ff
	v_xor_b32_e32 v7, s18, v7
	v_lshlrev_b32_e32 v3, 24, v3
	v_and_b32_e32 v5, v5, v6
	v_cmp_gt_i32_e64 s18, 0, v37
	v_not_b32_e32 v6, v39
	v_ashrrev_i32_e32 v9, 31, v9
	s_wait_alu 0xfffd
	v_xor_b32_e32 v8, vcc_lo, v8
	v_and_b32_e32 v5, v5, v7
	v_cmp_gt_i32_e32 vcc_lo, 0, v39
	v_not_b32_e32 v7, v3
	v_ashrrev_i32_e32 v6, 31, v6
	s_wait_alu 0xf1ff
	v_xor_b32_e32 v9, s18, v9
	v_and_b32_e32 v5, v5, v8
	v_cmp_gt_i32_e64 s18, 0, v3
	v_ashrrev_i32_e32 v3, 31, v7
	s_wait_alu 0xfffd
	v_xor_b32_e32 v6, vcc_lo, v6
	v_add_nc_u32_e32 v41, v2, v4
	v_and_b32_e32 v5, v5, v9
	s_wait_alu 0xf1ff
	v_xor_b32_e32 v3, s18, v3
	ds_load_b32 v35, v41 offset:128
	v_and_b32_e32 v4, v5, v6
	; wave barrier
	s_delay_alu instid0(VALU_DEP_1) | instskip(NEXT) | instid1(VALU_DEP_1)
	v_and_b32_e32 v3, v4, v3
	v_mbcnt_lo_u32_b32 v37, v3, 0
	v_cmp_ne_u32_e64 s18, 0, v3
	s_delay_alu instid0(VALU_DEP_2)
	v_cmp_eq_u32_e32 vcc_lo, 0, v37
	s_and_b32 s19, s18, vcc_lo
	s_wait_alu 0xfffe
	s_and_saveexec_b32 s18, s19
	s_cbranch_execz .LBB226_41
; %bb.40:
	s_wait_dscnt 0x0
	v_bcnt_u32_b32 v3, v3, v35
	ds_store_b32 v41, v3 offset:128
.LBB226_41:
	s_wait_alu 0xfffe
	s_or_b32 exec_lo, exec_lo, s18
	v_lshrrev_b32_e32 v3, s40, v16
	; wave barrier
	s_delay_alu instid0(VALU_DEP_1) | instskip(NEXT) | instid1(VALU_DEP_1)
	v_and_b32_e32 v3, s47, v3
	v_and_b32_e32 v5, 1, v3
	v_lshlrev_b32_e32 v6, 30, v3
	v_lshlrev_b32_e32 v7, 29, v3
	;; [unrolled: 1-line block ×4, first 2 shown]
	v_add_co_u32 v5, s18, v5, -1
	s_wait_alu 0xf1ff
	v_cndmask_b32_e64 v9, 0, 1, s18
	v_not_b32_e32 v43, v6
	v_cmp_gt_i32_e64 s18, 0, v6
	v_not_b32_e32 v6, v7
	v_lshlrev_b32_e32 v40, 26, v3
	v_cmp_ne_u32_e32 vcc_lo, 0, v9
	v_ashrrev_i32_e32 v9, 31, v43
	v_lshlrev_b32_e32 v42, 25, v3
	v_ashrrev_i32_e32 v6, 31, v6
	v_mul_lo_u32 v4, 0x84, v3
	s_wait_alu 0xfffd
	v_xor_b32_e32 v5, vcc_lo, v5
	v_cmp_gt_i32_e32 vcc_lo, 0, v7
	v_not_b32_e32 v7, v8
	s_wait_alu 0xf1ff
	v_xor_b32_e32 v9, s18, v9
	v_cmp_gt_i32_e64 s18, 0, v8
	v_and_b32_e32 v5, exec_lo, v5
	v_not_b32_e32 v8, v39
	v_ashrrev_i32_e32 v7, 31, v7
	s_wait_alu 0xfffd
	v_xor_b32_e32 v6, vcc_lo, v6
	v_cmp_gt_i32_e32 vcc_lo, 0, v39
	v_and_b32_e32 v5, v5, v9
	v_not_b32_e32 v9, v40
	v_ashrrev_i32_e32 v8, 31, v8
	s_wait_alu 0xf1ff
	v_xor_b32_e32 v7, s18, v7
	v_lshlrev_b32_e32 v3, 24, v3
	v_and_b32_e32 v5, v5, v6
	v_cmp_gt_i32_e64 s18, 0, v40
	v_not_b32_e32 v6, v42
	v_ashrrev_i32_e32 v9, 31, v9
	s_wait_alu 0xfffd
	v_xor_b32_e32 v8, vcc_lo, v8
	v_and_b32_e32 v5, v5, v7
	v_cmp_gt_i32_e32 vcc_lo, 0, v42
	v_not_b32_e32 v7, v3
	v_ashrrev_i32_e32 v6, 31, v6
	s_wait_alu 0xf1ff
	v_xor_b32_e32 v9, s18, v9
	v_and_b32_e32 v5, v5, v8
	v_cmp_gt_i32_e64 s18, 0, v3
	v_ashrrev_i32_e32 v3, 31, v7
	s_wait_alu 0xfffd
	v_xor_b32_e32 v6, vcc_lo, v6
	v_add_nc_u32_e32 v44, v2, v4
	v_and_b32_e32 v5, v5, v9
	s_wait_alu 0xf1ff
	v_xor_b32_e32 v3, s18, v3
	ds_load_b32 v39, v44 offset:128
	v_and_b32_e32 v4, v5, v6
	; wave barrier
	s_delay_alu instid0(VALU_DEP_1) | instskip(NEXT) | instid1(VALU_DEP_1)
	v_and_b32_e32 v3, v4, v3
	v_mbcnt_lo_u32_b32 v40, v3, 0
	v_cmp_ne_u32_e64 s18, 0, v3
	s_delay_alu instid0(VALU_DEP_2)
	v_cmp_eq_u32_e32 vcc_lo, 0, v40
	s_and_b32 s19, s18, vcc_lo
	s_wait_alu 0xfffe
	s_and_saveexec_b32 s18, s19
	s_cbranch_execz .LBB226_43
; %bb.42:
	s_wait_dscnt 0x0
	v_bcnt_u32_b32 v3, v3, v39
	ds_store_b32 v44, v3 offset:128
.LBB226_43:
	s_wait_alu 0xfffe
	s_or_b32 exec_lo, exec_lo, s18
	v_lshrrev_b32_e32 v3, s40, v15
	; wave barrier
	s_delay_alu instid0(VALU_DEP_1) | instskip(NEXT) | instid1(VALU_DEP_1)
	v_and_b32_e32 v3, s47, v3
	v_and_b32_e32 v5, 1, v3
	v_lshlrev_b32_e32 v6, 30, v3
	v_lshlrev_b32_e32 v7, 29, v3
	;; [unrolled: 1-line block ×4, first 2 shown]
	v_add_co_u32 v5, s18, v5, -1
	s_wait_alu 0xf1ff
	v_cndmask_b32_e64 v9, 0, 1, s18
	v_not_b32_e32 v46, v6
	v_cmp_gt_i32_e64 s18, 0, v6
	v_not_b32_e32 v6, v7
	v_lshlrev_b32_e32 v43, 26, v3
	v_cmp_ne_u32_e32 vcc_lo, 0, v9
	v_ashrrev_i32_e32 v9, 31, v46
	v_lshlrev_b32_e32 v45, 25, v3
	v_ashrrev_i32_e32 v6, 31, v6
	v_mul_lo_u32 v4, 0x84, v3
	s_wait_alu 0xfffd
	v_xor_b32_e32 v5, vcc_lo, v5
	v_cmp_gt_i32_e32 vcc_lo, 0, v7
	v_not_b32_e32 v7, v8
	s_wait_alu 0xf1ff
	v_xor_b32_e32 v9, s18, v9
	v_cmp_gt_i32_e64 s18, 0, v8
	v_and_b32_e32 v5, exec_lo, v5
	v_not_b32_e32 v8, v42
	v_ashrrev_i32_e32 v7, 31, v7
	s_wait_alu 0xfffd
	v_xor_b32_e32 v6, vcc_lo, v6
	v_cmp_gt_i32_e32 vcc_lo, 0, v42
	v_and_b32_e32 v5, v5, v9
	v_not_b32_e32 v9, v43
	v_ashrrev_i32_e32 v8, 31, v8
	s_wait_alu 0xf1ff
	v_xor_b32_e32 v7, s18, v7
	v_lshlrev_b32_e32 v3, 24, v3
	v_and_b32_e32 v5, v5, v6
	v_cmp_gt_i32_e64 s18, 0, v43
	v_not_b32_e32 v6, v45
	v_ashrrev_i32_e32 v9, 31, v9
	s_wait_alu 0xfffd
	v_xor_b32_e32 v8, vcc_lo, v8
	v_and_b32_e32 v5, v5, v7
	v_cmp_gt_i32_e32 vcc_lo, 0, v45
	v_not_b32_e32 v7, v3
	v_ashrrev_i32_e32 v6, 31, v6
	s_wait_alu 0xf1ff
	v_xor_b32_e32 v9, s18, v9
	v_and_b32_e32 v5, v5, v8
	v_cmp_gt_i32_e64 s18, 0, v3
	v_ashrrev_i32_e32 v3, 31, v7
	s_wait_alu 0xfffd
	v_xor_b32_e32 v6, vcc_lo, v6
	v_add_nc_u32_e32 v47, v2, v4
	v_and_b32_e32 v5, v5, v9
	s_wait_alu 0xf1ff
	v_xor_b32_e32 v3, s18, v3
	ds_load_b32 v42, v47 offset:128
	v_and_b32_e32 v4, v5, v6
	; wave barrier
	s_delay_alu instid0(VALU_DEP_1) | instskip(NEXT) | instid1(VALU_DEP_1)
	v_and_b32_e32 v3, v4, v3
	v_mbcnt_lo_u32_b32 v43, v3, 0
	v_cmp_ne_u32_e64 s18, 0, v3
	s_delay_alu instid0(VALU_DEP_2)
	v_cmp_eq_u32_e32 vcc_lo, 0, v43
	s_and_b32 s19, s18, vcc_lo
	s_wait_alu 0xfffe
	s_and_saveexec_b32 s18, s19
	s_cbranch_execz .LBB226_45
; %bb.44:
	s_wait_dscnt 0x0
	v_bcnt_u32_b32 v3, v3, v42
	ds_store_b32 v47, v3 offset:128
.LBB226_45:
	s_wait_alu 0xfffe
	s_or_b32 exec_lo, exec_lo, s18
	v_lshrrev_b32_e32 v3, s40, v18
	; wave barrier
	s_delay_alu instid0(VALU_DEP_1) | instskip(NEXT) | instid1(VALU_DEP_1)
	v_and_b32_e32 v3, s47, v3
	v_and_b32_e32 v5, 1, v3
	v_lshlrev_b32_e32 v6, 30, v3
	v_lshlrev_b32_e32 v7, 29, v3
	;; [unrolled: 1-line block ×4, first 2 shown]
	v_add_co_u32 v5, s18, v5, -1
	s_wait_alu 0xf1ff
	v_cndmask_b32_e64 v9, 0, 1, s18
	v_not_b32_e32 v49, v6
	v_cmp_gt_i32_e64 s18, 0, v6
	v_not_b32_e32 v6, v7
	v_lshlrev_b32_e32 v46, 26, v3
	v_cmp_ne_u32_e32 vcc_lo, 0, v9
	v_ashrrev_i32_e32 v9, 31, v49
	v_lshlrev_b32_e32 v48, 25, v3
	v_ashrrev_i32_e32 v6, 31, v6
	v_mul_lo_u32 v4, 0x84, v3
	s_wait_alu 0xfffd
	v_xor_b32_e32 v5, vcc_lo, v5
	v_cmp_gt_i32_e32 vcc_lo, 0, v7
	v_not_b32_e32 v7, v8
	s_wait_alu 0xf1ff
	v_xor_b32_e32 v9, s18, v9
	v_cmp_gt_i32_e64 s18, 0, v8
	v_and_b32_e32 v5, exec_lo, v5
	v_not_b32_e32 v8, v45
	v_ashrrev_i32_e32 v7, 31, v7
	s_wait_alu 0xfffd
	v_xor_b32_e32 v6, vcc_lo, v6
	v_cmp_gt_i32_e32 vcc_lo, 0, v45
	v_and_b32_e32 v5, v5, v9
	v_not_b32_e32 v9, v46
	v_ashrrev_i32_e32 v8, 31, v8
	s_wait_alu 0xf1ff
	v_xor_b32_e32 v7, s18, v7
	v_lshlrev_b32_e32 v3, 24, v3
	v_and_b32_e32 v5, v5, v6
	v_cmp_gt_i32_e64 s18, 0, v46
	v_not_b32_e32 v6, v48
	v_ashrrev_i32_e32 v9, 31, v9
	s_wait_alu 0xfffd
	v_xor_b32_e32 v8, vcc_lo, v8
	v_and_b32_e32 v5, v5, v7
	v_cmp_gt_i32_e32 vcc_lo, 0, v48
	v_not_b32_e32 v7, v3
	v_ashrrev_i32_e32 v6, 31, v6
	s_wait_alu 0xf1ff
	v_xor_b32_e32 v9, s18, v9
	v_and_b32_e32 v5, v5, v8
	v_cmp_gt_i32_e64 s18, 0, v3
	v_ashrrev_i32_e32 v3, 31, v7
	s_wait_alu 0xfffd
	v_xor_b32_e32 v6, vcc_lo, v6
	v_add_nc_u32_e32 v50, v2, v4
	v_and_b32_e32 v5, v5, v9
	s_wait_alu 0xf1ff
	v_xor_b32_e32 v3, s18, v3
	ds_load_b32 v45, v50 offset:128
	v_and_b32_e32 v4, v5, v6
	; wave barrier
	s_delay_alu instid0(VALU_DEP_1) | instskip(NEXT) | instid1(VALU_DEP_1)
	v_and_b32_e32 v3, v4, v3
	v_mbcnt_lo_u32_b32 v46, v3, 0
	v_cmp_ne_u32_e64 s18, 0, v3
	s_delay_alu instid0(VALU_DEP_2)
	v_cmp_eq_u32_e32 vcc_lo, 0, v46
	s_and_b32 s19, s18, vcc_lo
	s_wait_alu 0xfffe
	s_and_saveexec_b32 s18, s19
	s_cbranch_execz .LBB226_47
; %bb.46:
	s_wait_dscnt 0x0
	v_bcnt_u32_b32 v3, v3, v45
	ds_store_b32 v50, v3 offset:128
.LBB226_47:
	s_wait_alu 0xfffe
	s_or_b32 exec_lo, exec_lo, s18
	v_lshrrev_b32_e32 v3, s40, v17
	; wave barrier
	s_delay_alu instid0(VALU_DEP_1) | instskip(NEXT) | instid1(VALU_DEP_1)
	v_and_b32_e32 v3, s47, v3
	v_and_b32_e32 v5, 1, v3
	v_lshlrev_b32_e32 v6, 30, v3
	v_lshlrev_b32_e32 v7, 29, v3
	;; [unrolled: 1-line block ×4, first 2 shown]
	v_add_co_u32 v5, s18, v5, -1
	s_wait_alu 0xf1ff
	v_cndmask_b32_e64 v9, 0, 1, s18
	v_not_b32_e32 v52, v6
	v_cmp_gt_i32_e64 s18, 0, v6
	v_not_b32_e32 v6, v7
	v_lshlrev_b32_e32 v49, 26, v3
	v_cmp_ne_u32_e32 vcc_lo, 0, v9
	v_ashrrev_i32_e32 v9, 31, v52
	v_lshlrev_b32_e32 v51, 25, v3
	v_ashrrev_i32_e32 v6, 31, v6
	v_mul_lo_u32 v4, 0x84, v3
	s_wait_alu 0xfffd
	v_xor_b32_e32 v5, vcc_lo, v5
	v_cmp_gt_i32_e32 vcc_lo, 0, v7
	v_not_b32_e32 v7, v8
	s_wait_alu 0xf1ff
	v_xor_b32_e32 v9, s18, v9
	v_cmp_gt_i32_e64 s18, 0, v8
	v_and_b32_e32 v5, exec_lo, v5
	v_not_b32_e32 v8, v48
	v_ashrrev_i32_e32 v7, 31, v7
	s_wait_alu 0xfffd
	v_xor_b32_e32 v6, vcc_lo, v6
	v_cmp_gt_i32_e32 vcc_lo, 0, v48
	v_and_b32_e32 v5, v5, v9
	v_not_b32_e32 v9, v49
	v_ashrrev_i32_e32 v8, 31, v8
	s_wait_alu 0xf1ff
	v_xor_b32_e32 v7, s18, v7
	v_lshlrev_b32_e32 v3, 24, v3
	v_and_b32_e32 v5, v5, v6
	v_cmp_gt_i32_e64 s18, 0, v49
	v_not_b32_e32 v6, v51
	v_ashrrev_i32_e32 v9, 31, v9
	s_wait_alu 0xfffd
	v_xor_b32_e32 v8, vcc_lo, v8
	v_and_b32_e32 v5, v5, v7
	v_cmp_gt_i32_e32 vcc_lo, 0, v51
	v_not_b32_e32 v7, v3
	v_ashrrev_i32_e32 v6, 31, v6
	s_wait_alu 0xf1ff
	v_xor_b32_e32 v9, s18, v9
	v_and_b32_e32 v5, v5, v8
	v_cmp_gt_i32_e64 s18, 0, v3
	v_ashrrev_i32_e32 v3, 31, v7
	s_wait_alu 0xfffd
	v_xor_b32_e32 v6, vcc_lo, v6
	v_add_nc_u32_e32 v54, v2, v4
	v_and_b32_e32 v5, v5, v9
	s_wait_alu 0xf1ff
	v_xor_b32_e32 v3, s18, v3
	ds_load_b32 v48, v54 offset:128
	v_and_b32_e32 v4, v5, v6
	; wave barrier
	s_delay_alu instid0(VALU_DEP_1) | instskip(NEXT) | instid1(VALU_DEP_1)
	v_and_b32_e32 v3, v4, v3
	v_mbcnt_lo_u32_b32 v49, v3, 0
	v_cmp_ne_u32_e64 s18, 0, v3
	s_delay_alu instid0(VALU_DEP_2)
	v_cmp_eq_u32_e32 vcc_lo, 0, v49
	s_and_b32 s19, s18, vcc_lo
	s_wait_alu 0xfffe
	s_and_saveexec_b32 s18, s19
	s_cbranch_execz .LBB226_49
; %bb.48:
	s_wait_dscnt 0x0
	v_bcnt_u32_b32 v3, v3, v48
	ds_store_b32 v54, v3 offset:128
.LBB226_49:
	s_wait_alu 0xfffe
	s_or_b32 exec_lo, exec_lo, s18
	v_lshrrev_b32_e32 v3, s40, v20
	; wave barrier
	s_delay_alu instid0(VALU_DEP_1) | instskip(NEXT) | instid1(VALU_DEP_1)
	v_and_b32_e32 v3, s47, v3
	v_and_b32_e32 v5, 1, v3
	v_lshlrev_b32_e32 v6, 30, v3
	v_lshlrev_b32_e32 v7, 29, v3
	;; [unrolled: 1-line block ×4, first 2 shown]
	v_add_co_u32 v5, s18, v5, -1
	s_wait_alu 0xf1ff
	v_cndmask_b32_e64 v9, 0, 1, s18
	v_not_b32_e32 v55, v6
	v_cmp_gt_i32_e64 s18, 0, v6
	v_not_b32_e32 v6, v7
	v_lshlrev_b32_e32 v52, 26, v3
	v_cmp_ne_u32_e32 vcc_lo, 0, v9
	v_ashrrev_i32_e32 v9, 31, v55
	v_lshlrev_b32_e32 v53, 25, v3
	v_ashrrev_i32_e32 v6, 31, v6
	v_mul_lo_u32 v4, 0x84, v3
	s_wait_alu 0xfffd
	v_xor_b32_e32 v5, vcc_lo, v5
	v_cmp_gt_i32_e32 vcc_lo, 0, v7
	v_not_b32_e32 v7, v8
	s_wait_alu 0xf1ff
	v_xor_b32_e32 v9, s18, v9
	v_cmp_gt_i32_e64 s18, 0, v8
	v_and_b32_e32 v5, exec_lo, v5
	v_not_b32_e32 v8, v51
	v_ashrrev_i32_e32 v7, 31, v7
	s_wait_alu 0xfffd
	v_xor_b32_e32 v6, vcc_lo, v6
	v_cmp_gt_i32_e32 vcc_lo, 0, v51
	v_and_b32_e32 v5, v5, v9
	v_not_b32_e32 v9, v52
	v_ashrrev_i32_e32 v8, 31, v8
	s_wait_alu 0xf1ff
	v_xor_b32_e32 v7, s18, v7
	v_lshlrev_b32_e32 v3, 24, v3
	v_and_b32_e32 v5, v5, v6
	v_cmp_gt_i32_e64 s18, 0, v52
	v_not_b32_e32 v6, v53
	v_ashrrev_i32_e32 v9, 31, v9
	s_wait_alu 0xfffd
	v_xor_b32_e32 v8, vcc_lo, v8
	v_and_b32_e32 v5, v5, v7
	v_cmp_gt_i32_e32 vcc_lo, 0, v53
	v_not_b32_e32 v7, v3
	v_ashrrev_i32_e32 v6, 31, v6
	s_wait_alu 0xf1ff
	v_xor_b32_e32 v9, s18, v9
	v_and_b32_e32 v5, v5, v8
	v_cmp_gt_i32_e64 s18, 0, v3
	v_ashrrev_i32_e32 v3, 31, v7
	s_wait_alu 0xfffd
	v_xor_b32_e32 v6, vcc_lo, v6
	v_add_nc_u32_e32 v57, v2, v4
	v_and_b32_e32 v5, v5, v9
	s_wait_alu 0xf1ff
	v_xor_b32_e32 v3, s18, v3
	ds_load_b32 v52, v57 offset:128
	v_and_b32_e32 v4, v5, v6
	; wave barrier
	s_delay_alu instid0(VALU_DEP_1) | instskip(NEXT) | instid1(VALU_DEP_1)
	v_and_b32_e32 v3, v4, v3
	v_mbcnt_lo_u32_b32 v53, v3, 0
	v_cmp_ne_u32_e64 s18, 0, v3
	s_delay_alu instid0(VALU_DEP_2)
	v_cmp_eq_u32_e32 vcc_lo, 0, v53
	s_and_b32 s19, s18, vcc_lo
	s_wait_alu 0xfffe
	s_and_saveexec_b32 s18, s19
	s_cbranch_execz .LBB226_51
; %bb.50:
	s_wait_dscnt 0x0
	v_bcnt_u32_b32 v3, v3, v52
	ds_store_b32 v57, v3 offset:128
.LBB226_51:
	s_wait_alu 0xfffe
	s_or_b32 exec_lo, exec_lo, s18
	v_lshrrev_b32_e32 v3, s40, v19
	; wave barrier
	s_delay_alu instid0(VALU_DEP_1) | instskip(NEXT) | instid1(VALU_DEP_1)
	v_and_b32_e32 v3, s47, v3
	v_and_b32_e32 v5, 1, v3
	v_lshlrev_b32_e32 v6, 30, v3
	v_lshlrev_b32_e32 v7, 29, v3
	;; [unrolled: 1-line block ×4, first 2 shown]
	v_add_co_u32 v5, s18, v5, -1
	s_wait_alu 0xf1ff
	v_cndmask_b32_e64 v9, 0, 1, s18
	v_not_b32_e32 v58, v6
	v_cmp_gt_i32_e64 s18, 0, v6
	v_not_b32_e32 v6, v7
	v_lshlrev_b32_e32 v55, 26, v3
	v_cmp_ne_u32_e32 vcc_lo, 0, v9
	v_ashrrev_i32_e32 v9, 31, v58
	v_lshlrev_b32_e32 v56, 25, v3
	v_ashrrev_i32_e32 v6, 31, v6
	v_mul_lo_u32 v4, 0x84, v3
	s_wait_alu 0xfffd
	v_xor_b32_e32 v5, vcc_lo, v5
	v_cmp_gt_i32_e32 vcc_lo, 0, v7
	v_not_b32_e32 v7, v8
	s_wait_alu 0xf1ff
	v_xor_b32_e32 v9, s18, v9
	v_cmp_gt_i32_e64 s18, 0, v8
	v_and_b32_e32 v5, exec_lo, v5
	v_not_b32_e32 v8, v51
	v_ashrrev_i32_e32 v7, 31, v7
	s_wait_alu 0xfffd
	v_xor_b32_e32 v6, vcc_lo, v6
	v_cmp_gt_i32_e32 vcc_lo, 0, v51
	v_and_b32_e32 v5, v5, v9
	v_not_b32_e32 v9, v55
	v_ashrrev_i32_e32 v8, 31, v8
	s_wait_alu 0xf1ff
	v_xor_b32_e32 v7, s18, v7
	v_lshlrev_b32_e32 v3, 24, v3
	v_and_b32_e32 v5, v5, v6
	v_cmp_gt_i32_e64 s18, 0, v55
	v_not_b32_e32 v6, v56
	v_ashrrev_i32_e32 v9, 31, v9
	s_wait_alu 0xfffd
	v_xor_b32_e32 v8, vcc_lo, v8
	v_and_b32_e32 v5, v5, v7
	v_cmp_gt_i32_e32 vcc_lo, 0, v56
	v_not_b32_e32 v7, v3
	v_ashrrev_i32_e32 v6, 31, v6
	s_wait_alu 0xf1ff
	v_xor_b32_e32 v9, s18, v9
	v_and_b32_e32 v5, v5, v8
	v_cmp_gt_i32_e64 s18, 0, v3
	v_ashrrev_i32_e32 v3, 31, v7
	s_wait_alu 0xfffd
	v_xor_b32_e32 v6, vcc_lo, v6
	v_add_nc_u32_e32 v60, v2, v4
	v_and_b32_e32 v5, v5, v9
	s_wait_alu 0xf1ff
	v_xor_b32_e32 v3, s18, v3
	ds_load_b32 v55, v60 offset:128
	v_and_b32_e32 v4, v5, v6
	; wave barrier
	s_delay_alu instid0(VALU_DEP_1) | instskip(NEXT) | instid1(VALU_DEP_1)
	v_and_b32_e32 v3, v4, v3
	v_mbcnt_lo_u32_b32 v56, v3, 0
	v_cmp_ne_u32_e64 s18, 0, v3
	s_delay_alu instid0(VALU_DEP_2)
	v_cmp_eq_u32_e32 vcc_lo, 0, v56
	s_and_b32 s19, s18, vcc_lo
	s_wait_alu 0xfffe
	s_and_saveexec_b32 s18, s19
	s_cbranch_execz .LBB226_53
; %bb.52:
	s_wait_dscnt 0x0
	v_bcnt_u32_b32 v3, v3, v55
	ds_store_b32 v60, v3 offset:128
.LBB226_53:
	s_wait_alu 0xfffe
	s_or_b32 exec_lo, exec_lo, s18
	v_lshrrev_b32_e32 v3, s40, v22
	; wave barrier
	s_delay_alu instid0(VALU_DEP_1) | instskip(NEXT) | instid1(VALU_DEP_1)
	v_and_b32_e32 v3, s47, v3
	v_and_b32_e32 v5, 1, v3
	v_lshlrev_b32_e32 v6, 30, v3
	v_lshlrev_b32_e32 v7, 29, v3
	;; [unrolled: 1-line block ×4, first 2 shown]
	v_add_co_u32 v5, s18, v5, -1
	s_wait_alu 0xf1ff
	v_cndmask_b32_e64 v9, 0, 1, s18
	v_not_b32_e32 v61, v6
	v_cmp_gt_i32_e64 s18, 0, v6
	v_not_b32_e32 v6, v7
	v_lshlrev_b32_e32 v58, 26, v3
	v_cmp_ne_u32_e32 vcc_lo, 0, v9
	v_ashrrev_i32_e32 v9, 31, v61
	v_lshlrev_b32_e32 v59, 25, v3
	v_ashrrev_i32_e32 v6, 31, v6
	v_mul_lo_u32 v4, 0x84, v3
	s_wait_alu 0xfffd
	v_xor_b32_e32 v5, vcc_lo, v5
	v_cmp_gt_i32_e32 vcc_lo, 0, v7
	v_not_b32_e32 v7, v8
	s_wait_alu 0xf1ff
	v_xor_b32_e32 v9, s18, v9
	v_cmp_gt_i32_e64 s18, 0, v8
	v_and_b32_e32 v5, exec_lo, v5
	v_not_b32_e32 v8, v51
	v_ashrrev_i32_e32 v7, 31, v7
	s_wait_alu 0xfffd
	v_xor_b32_e32 v6, vcc_lo, v6
	v_cmp_gt_i32_e32 vcc_lo, 0, v51
	v_and_b32_e32 v5, v5, v9
	v_not_b32_e32 v9, v58
	v_ashrrev_i32_e32 v8, 31, v8
	s_wait_alu 0xf1ff
	v_xor_b32_e32 v7, s18, v7
	v_lshlrev_b32_e32 v3, 24, v3
	v_and_b32_e32 v5, v5, v6
	v_cmp_gt_i32_e64 s18, 0, v58
	v_not_b32_e32 v6, v59
	v_ashrrev_i32_e32 v9, 31, v9
	s_wait_alu 0xfffd
	v_xor_b32_e32 v8, vcc_lo, v8
	v_and_b32_e32 v5, v5, v7
	v_cmp_gt_i32_e32 vcc_lo, 0, v59
	v_not_b32_e32 v7, v3
	v_ashrrev_i32_e32 v6, 31, v6
	s_wait_alu 0xf1ff
	v_xor_b32_e32 v9, s18, v9
	v_and_b32_e32 v5, v5, v8
	v_cmp_gt_i32_e64 s18, 0, v3
	v_ashrrev_i32_e32 v3, 31, v7
	s_wait_alu 0xfffd
	v_xor_b32_e32 v6, vcc_lo, v6
	v_add_nc_u32_e32 v63, v2, v4
	v_and_b32_e32 v5, v5, v9
	s_wait_alu 0xf1ff
	v_xor_b32_e32 v3, s18, v3
	ds_load_b32 v58, v63 offset:128
	v_and_b32_e32 v4, v5, v6
	; wave barrier
	s_delay_alu instid0(VALU_DEP_1) | instskip(NEXT) | instid1(VALU_DEP_1)
	v_and_b32_e32 v3, v4, v3
	v_mbcnt_lo_u32_b32 v59, v3, 0
	v_cmp_ne_u32_e64 s18, 0, v3
	s_delay_alu instid0(VALU_DEP_2)
	v_cmp_eq_u32_e32 vcc_lo, 0, v59
	s_and_b32 s19, s18, vcc_lo
	s_wait_alu 0xfffe
	s_and_saveexec_b32 s18, s19
	s_cbranch_execz .LBB226_55
; %bb.54:
	s_wait_dscnt 0x0
	v_bcnt_u32_b32 v3, v3, v58
	ds_store_b32 v63, v3 offset:128
.LBB226_55:
	s_wait_alu 0xfffe
	s_or_b32 exec_lo, exec_lo, s18
	v_lshrrev_b32_e32 v3, s40, v21
	; wave barrier
	s_delay_alu instid0(VALU_DEP_1) | instskip(NEXT) | instid1(VALU_DEP_1)
	v_and_b32_e32 v3, s47, v3
	v_and_b32_e32 v5, 1, v3
	v_lshlrev_b32_e32 v6, 30, v3
	v_lshlrev_b32_e32 v7, 29, v3
	;; [unrolled: 1-line block ×4, first 2 shown]
	v_add_co_u32 v5, s18, v5, -1
	s_wait_alu 0xf1ff
	v_cndmask_b32_e64 v9, 0, 1, s18
	v_not_b32_e32 v64, v6
	v_cmp_gt_i32_e64 s18, 0, v6
	v_not_b32_e32 v6, v7
	v_lshlrev_b32_e32 v61, 26, v3
	v_cmp_ne_u32_e32 vcc_lo, 0, v9
	v_ashrrev_i32_e32 v9, 31, v64
	v_lshlrev_b32_e32 v62, 25, v3
	v_ashrrev_i32_e32 v6, 31, v6
	v_mul_lo_u32 v4, 0x84, v3
	s_wait_alu 0xfffd
	v_xor_b32_e32 v5, vcc_lo, v5
	v_cmp_gt_i32_e32 vcc_lo, 0, v7
	v_not_b32_e32 v7, v8
	s_wait_alu 0xf1ff
	v_xor_b32_e32 v9, s18, v9
	v_cmp_gt_i32_e64 s18, 0, v8
	v_and_b32_e32 v5, exec_lo, v5
	v_not_b32_e32 v8, v51
	v_ashrrev_i32_e32 v7, 31, v7
	s_wait_alu 0xfffd
	v_xor_b32_e32 v6, vcc_lo, v6
	v_cmp_gt_i32_e32 vcc_lo, 0, v51
	v_and_b32_e32 v5, v5, v9
	v_not_b32_e32 v9, v61
	v_ashrrev_i32_e32 v8, 31, v8
	s_wait_alu 0xf1ff
	v_xor_b32_e32 v7, s18, v7
	v_lshlrev_b32_e32 v3, 24, v3
	v_and_b32_e32 v5, v5, v6
	v_cmp_gt_i32_e64 s18, 0, v61
	v_not_b32_e32 v6, v62
	v_ashrrev_i32_e32 v9, 31, v9
	s_wait_alu 0xfffd
	v_xor_b32_e32 v8, vcc_lo, v8
	v_and_b32_e32 v5, v5, v7
	v_cmp_gt_i32_e32 vcc_lo, 0, v62
	v_not_b32_e32 v7, v3
	v_ashrrev_i32_e32 v6, 31, v6
	s_wait_alu 0xf1ff
	v_xor_b32_e32 v9, s18, v9
	v_and_b32_e32 v5, v5, v8
	v_cmp_gt_i32_e64 s18, 0, v3
	v_ashrrev_i32_e32 v3, 31, v7
	s_wait_alu 0xfffd
	v_xor_b32_e32 v6, vcc_lo, v6
	v_add_nc_u32_e32 v66, v2, v4
	v_and_b32_e32 v5, v5, v9
	s_wait_alu 0xf1ff
	v_xor_b32_e32 v3, s18, v3
	ds_load_b32 v61, v66 offset:128
	v_and_b32_e32 v4, v5, v6
	; wave barrier
	s_delay_alu instid0(VALU_DEP_1) | instskip(NEXT) | instid1(VALU_DEP_1)
	v_and_b32_e32 v3, v4, v3
	v_mbcnt_lo_u32_b32 v62, v3, 0
	v_cmp_ne_u32_e64 s18, 0, v3
	s_delay_alu instid0(VALU_DEP_2)
	v_cmp_eq_u32_e32 vcc_lo, 0, v62
	s_and_b32 s19, s18, vcc_lo
	s_wait_alu 0xfffe
	s_and_saveexec_b32 s18, s19
	s_cbranch_execz .LBB226_57
; %bb.56:
	s_wait_dscnt 0x0
	v_bcnt_u32_b32 v3, v3, v61
	ds_store_b32 v66, v3 offset:128
.LBB226_57:
	s_wait_alu 0xfffe
	s_or_b32 exec_lo, exec_lo, s18
	v_lshrrev_b32_e32 v3, s40, v24
	; wave barrier
	s_delay_alu instid0(VALU_DEP_1) | instskip(NEXT) | instid1(VALU_DEP_1)
	v_and_b32_e32 v3, s47, v3
	v_and_b32_e32 v5, 1, v3
	v_lshlrev_b32_e32 v6, 30, v3
	v_lshlrev_b32_e32 v7, 29, v3
	;; [unrolled: 1-line block ×4, first 2 shown]
	v_add_co_u32 v5, s18, v5, -1
	s_wait_alu 0xf1ff
	v_cndmask_b32_e64 v9, 0, 1, s18
	v_not_b32_e32 v67, v6
	v_cmp_gt_i32_e64 s18, 0, v6
	v_not_b32_e32 v6, v7
	v_lshlrev_b32_e32 v64, 26, v3
	v_cmp_ne_u32_e32 vcc_lo, 0, v9
	v_ashrrev_i32_e32 v9, 31, v67
	v_lshlrev_b32_e32 v65, 25, v3
	v_ashrrev_i32_e32 v6, 31, v6
	v_mul_lo_u32 v4, 0x84, v3
	s_wait_alu 0xfffd
	v_xor_b32_e32 v5, vcc_lo, v5
	v_cmp_gt_i32_e32 vcc_lo, 0, v7
	v_not_b32_e32 v7, v8
	s_wait_alu 0xf1ff
	v_xor_b32_e32 v9, s18, v9
	v_cmp_gt_i32_e64 s18, 0, v8
	v_and_b32_e32 v5, exec_lo, v5
	v_not_b32_e32 v8, v51
	v_ashrrev_i32_e32 v7, 31, v7
	s_wait_alu 0xfffd
	v_xor_b32_e32 v6, vcc_lo, v6
	v_cmp_gt_i32_e32 vcc_lo, 0, v51
	v_and_b32_e32 v5, v5, v9
	v_not_b32_e32 v9, v64
	v_ashrrev_i32_e32 v8, 31, v8
	s_wait_alu 0xf1ff
	v_xor_b32_e32 v7, s18, v7
	v_lshlrev_b32_e32 v3, 24, v3
	v_and_b32_e32 v5, v5, v6
	v_cmp_gt_i32_e64 s18, 0, v64
	v_not_b32_e32 v6, v65
	v_ashrrev_i32_e32 v9, 31, v9
	s_wait_alu 0xfffd
	v_xor_b32_e32 v8, vcc_lo, v8
	v_and_b32_e32 v5, v5, v7
	v_cmp_gt_i32_e32 vcc_lo, 0, v65
	v_not_b32_e32 v7, v3
	v_ashrrev_i32_e32 v6, 31, v6
	s_wait_alu 0xf1ff
	v_xor_b32_e32 v9, s18, v9
	v_and_b32_e32 v5, v5, v8
	v_cmp_gt_i32_e64 s18, 0, v3
	v_ashrrev_i32_e32 v3, 31, v7
	s_wait_alu 0xfffd
	v_xor_b32_e32 v6, vcc_lo, v6
	v_add_nc_u32_e32 v69, v2, v4
	v_and_b32_e32 v5, v5, v9
	s_wait_alu 0xf1ff
	v_xor_b32_e32 v3, s18, v3
	ds_load_b32 v64, v69 offset:128
	v_and_b32_e32 v4, v5, v6
	; wave barrier
	s_delay_alu instid0(VALU_DEP_1) | instskip(NEXT) | instid1(VALU_DEP_1)
	v_and_b32_e32 v3, v4, v3
	v_mbcnt_lo_u32_b32 v65, v3, 0
	v_cmp_ne_u32_e64 s18, 0, v3
	s_delay_alu instid0(VALU_DEP_2)
	v_cmp_eq_u32_e32 vcc_lo, 0, v65
	s_and_b32 s19, s18, vcc_lo
	s_wait_alu 0xfffe
	s_and_saveexec_b32 s18, s19
	s_cbranch_execz .LBB226_59
; %bb.58:
	s_wait_dscnt 0x0
	v_bcnt_u32_b32 v3, v3, v64
	ds_store_b32 v69, v3 offset:128
.LBB226_59:
	s_wait_alu 0xfffe
	s_or_b32 exec_lo, exec_lo, s18
	v_lshrrev_b32_e32 v3, s40, v23
	; wave barrier
	s_delay_alu instid0(VALU_DEP_1) | instskip(NEXT) | instid1(VALU_DEP_1)
	v_and_b32_e32 v3, s47, v3
	v_and_b32_e32 v5, 1, v3
	v_lshlrev_b32_e32 v6, 30, v3
	v_lshlrev_b32_e32 v7, 29, v3
	;; [unrolled: 1-line block ×4, first 2 shown]
	v_add_co_u32 v5, s18, v5, -1
	s_wait_alu 0xf1ff
	v_cndmask_b32_e64 v9, 0, 1, s18
	v_not_b32_e32 v70, v6
	v_cmp_gt_i32_e64 s18, 0, v6
	v_not_b32_e32 v6, v7
	v_lshlrev_b32_e32 v67, 26, v3
	v_cmp_ne_u32_e32 vcc_lo, 0, v9
	v_ashrrev_i32_e32 v9, 31, v70
	v_lshlrev_b32_e32 v68, 25, v3
	v_ashrrev_i32_e32 v6, 31, v6
	v_mul_lo_u32 v4, 0x84, v3
	s_wait_alu 0xfffd
	v_xor_b32_e32 v5, vcc_lo, v5
	v_cmp_gt_i32_e32 vcc_lo, 0, v7
	v_not_b32_e32 v7, v8
	s_wait_alu 0xf1ff
	v_xor_b32_e32 v9, s18, v9
	v_cmp_gt_i32_e64 s18, 0, v8
	v_and_b32_e32 v5, exec_lo, v5
	v_not_b32_e32 v8, v51
	v_ashrrev_i32_e32 v7, 31, v7
	s_wait_alu 0xfffd
	v_xor_b32_e32 v6, vcc_lo, v6
	v_cmp_gt_i32_e32 vcc_lo, 0, v51
	v_and_b32_e32 v5, v5, v9
	v_not_b32_e32 v9, v67
	v_ashrrev_i32_e32 v8, 31, v8
	s_wait_alu 0xf1ff
	v_xor_b32_e32 v7, s18, v7
	v_lshlrev_b32_e32 v3, 24, v3
	v_and_b32_e32 v5, v5, v6
	v_cmp_gt_i32_e64 s18, 0, v67
	v_not_b32_e32 v6, v68
	v_ashrrev_i32_e32 v9, 31, v9
	s_wait_alu 0xfffd
	v_xor_b32_e32 v8, vcc_lo, v8
	v_and_b32_e32 v5, v5, v7
	v_cmp_gt_i32_e32 vcc_lo, 0, v68
	v_not_b32_e32 v7, v3
	v_ashrrev_i32_e32 v6, 31, v6
	s_wait_alu 0xf1ff
	v_xor_b32_e32 v9, s18, v9
	v_and_b32_e32 v5, v5, v8
	v_cmp_gt_i32_e64 s18, 0, v3
	v_ashrrev_i32_e32 v3, 31, v7
	s_wait_alu 0xfffd
	v_xor_b32_e32 v6, vcc_lo, v6
	v_add_nc_u32_e32 v72, v2, v4
	v_and_b32_e32 v5, v5, v9
	s_wait_alu 0xf1ff
	v_xor_b32_e32 v3, s18, v3
	ds_load_b32 v67, v72 offset:128
	v_and_b32_e32 v4, v5, v6
	; wave barrier
	s_delay_alu instid0(VALU_DEP_1) | instskip(NEXT) | instid1(VALU_DEP_1)
	v_and_b32_e32 v3, v4, v3
	v_mbcnt_lo_u32_b32 v68, v3, 0
	v_cmp_ne_u32_e64 s18, 0, v3
	s_delay_alu instid0(VALU_DEP_2)
	v_cmp_eq_u32_e32 vcc_lo, 0, v68
	s_and_b32 s19, s18, vcc_lo
	s_wait_alu 0xfffe
	s_and_saveexec_b32 s18, s19
	s_cbranch_execz .LBB226_61
; %bb.60:
	s_wait_dscnt 0x0
	v_bcnt_u32_b32 v3, v3, v67
	ds_store_b32 v72, v3 offset:128
.LBB226_61:
	s_wait_alu 0xfffe
	s_or_b32 exec_lo, exec_lo, s18
	v_lshrrev_b32_e32 v3, s40, v26
	; wave barrier
	s_delay_alu instid0(VALU_DEP_1) | instskip(NEXT) | instid1(VALU_DEP_1)
	v_and_b32_e32 v3, s47, v3
	v_and_b32_e32 v5, 1, v3
	v_lshlrev_b32_e32 v6, 30, v3
	v_lshlrev_b32_e32 v7, 29, v3
	;; [unrolled: 1-line block ×4, first 2 shown]
	v_add_co_u32 v5, s18, v5, -1
	s_wait_alu 0xf1ff
	v_cndmask_b32_e64 v9, 0, 1, s18
	v_not_b32_e32 v73, v6
	v_cmp_gt_i32_e64 s18, 0, v6
	v_not_b32_e32 v6, v7
	v_lshlrev_b32_e32 v70, 26, v3
	v_cmp_ne_u32_e32 vcc_lo, 0, v9
	v_ashrrev_i32_e32 v9, 31, v73
	v_lshlrev_b32_e32 v71, 25, v3
	v_ashrrev_i32_e32 v6, 31, v6
	v_mul_lo_u32 v4, 0x84, v3
	s_wait_alu 0xfffd
	v_xor_b32_e32 v5, vcc_lo, v5
	v_cmp_gt_i32_e32 vcc_lo, 0, v7
	v_not_b32_e32 v7, v8
	s_wait_alu 0xf1ff
	v_xor_b32_e32 v9, s18, v9
	v_cmp_gt_i32_e64 s18, 0, v8
	v_and_b32_e32 v5, exec_lo, v5
	v_not_b32_e32 v8, v51
	v_ashrrev_i32_e32 v7, 31, v7
	s_wait_alu 0xfffd
	v_xor_b32_e32 v6, vcc_lo, v6
	v_cmp_gt_i32_e32 vcc_lo, 0, v51
	v_and_b32_e32 v5, v5, v9
	v_not_b32_e32 v9, v70
	v_ashrrev_i32_e32 v8, 31, v8
	s_wait_alu 0xf1ff
	v_xor_b32_e32 v7, s18, v7
	v_lshlrev_b32_e32 v3, 24, v3
	v_and_b32_e32 v5, v5, v6
	v_cmp_gt_i32_e64 s18, 0, v70
	v_not_b32_e32 v6, v71
	v_ashrrev_i32_e32 v9, 31, v9
	s_wait_alu 0xfffd
	v_xor_b32_e32 v8, vcc_lo, v8
	v_and_b32_e32 v5, v5, v7
	v_cmp_gt_i32_e32 vcc_lo, 0, v71
	v_not_b32_e32 v7, v3
	v_ashrrev_i32_e32 v6, 31, v6
	s_wait_alu 0xf1ff
	v_xor_b32_e32 v9, s18, v9
	v_and_b32_e32 v5, v5, v8
	v_cmp_gt_i32_e64 s18, 0, v3
	v_ashrrev_i32_e32 v3, 31, v7
	s_wait_alu 0xfffd
	v_xor_b32_e32 v6, vcc_lo, v6
	v_add_nc_u32_e32 v75, v2, v4
	v_and_b32_e32 v5, v5, v9
	s_wait_alu 0xf1ff
	v_xor_b32_e32 v3, s18, v3
	ds_load_b32 v70, v75 offset:128
	v_and_b32_e32 v4, v5, v6
	; wave barrier
	s_delay_alu instid0(VALU_DEP_1) | instskip(NEXT) | instid1(VALU_DEP_1)
	v_and_b32_e32 v3, v4, v3
	v_mbcnt_lo_u32_b32 v71, v3, 0
	v_cmp_ne_u32_e64 s18, 0, v3
	s_delay_alu instid0(VALU_DEP_2)
	v_cmp_eq_u32_e32 vcc_lo, 0, v71
	s_and_b32 s19, s18, vcc_lo
	s_wait_alu 0xfffe
	s_and_saveexec_b32 s18, s19
	s_cbranch_execz .LBB226_63
; %bb.62:
	s_wait_dscnt 0x0
	v_bcnt_u32_b32 v3, v3, v70
	ds_store_b32 v75, v3 offset:128
.LBB226_63:
	s_wait_alu 0xfffe
	s_or_b32 exec_lo, exec_lo, s18
	v_lshrrev_b32_e32 v3, s40, v25
	; wave barrier
	s_delay_alu instid0(VALU_DEP_1) | instskip(NEXT) | instid1(VALU_DEP_1)
	v_and_b32_e32 v3, s47, v3
	v_and_b32_e32 v5, 1, v3
	v_lshlrev_b32_e32 v6, 30, v3
	v_lshlrev_b32_e32 v7, 29, v3
	;; [unrolled: 1-line block ×4, first 2 shown]
	v_add_co_u32 v5, s18, v5, -1
	s_wait_alu 0xf1ff
	v_cndmask_b32_e64 v9, 0, 1, s18
	v_not_b32_e32 v76, v6
	v_cmp_gt_i32_e64 s18, 0, v6
	v_not_b32_e32 v6, v7
	v_lshlrev_b32_e32 v73, 26, v3
	v_cmp_ne_u32_e32 vcc_lo, 0, v9
	v_ashrrev_i32_e32 v9, 31, v76
	v_lshlrev_b32_e32 v74, 25, v3
	v_ashrrev_i32_e32 v6, 31, v6
	v_mul_lo_u32 v4, 0x84, v3
	s_wait_alu 0xfffd
	v_xor_b32_e32 v5, vcc_lo, v5
	v_cmp_gt_i32_e32 vcc_lo, 0, v7
	v_not_b32_e32 v7, v8
	s_wait_alu 0xf1ff
	v_xor_b32_e32 v9, s18, v9
	v_cmp_gt_i32_e64 s18, 0, v8
	v_and_b32_e32 v5, exec_lo, v5
	v_not_b32_e32 v8, v51
	v_ashrrev_i32_e32 v7, 31, v7
	s_wait_alu 0xfffd
	v_xor_b32_e32 v6, vcc_lo, v6
	v_cmp_gt_i32_e32 vcc_lo, 0, v51
	v_and_b32_e32 v5, v5, v9
	v_not_b32_e32 v9, v73
	v_ashrrev_i32_e32 v8, 31, v8
	s_wait_alu 0xf1ff
	v_xor_b32_e32 v7, s18, v7
	v_lshlrev_b32_e32 v3, 24, v3
	v_and_b32_e32 v5, v5, v6
	v_cmp_gt_i32_e64 s18, 0, v73
	v_not_b32_e32 v6, v74
	v_ashrrev_i32_e32 v9, 31, v9
	s_wait_alu 0xfffd
	v_xor_b32_e32 v8, vcc_lo, v8
	v_and_b32_e32 v5, v5, v7
	v_cmp_gt_i32_e32 vcc_lo, 0, v74
	v_not_b32_e32 v7, v3
	v_ashrrev_i32_e32 v6, 31, v6
	s_wait_alu 0xf1ff
	v_xor_b32_e32 v9, s18, v9
	v_and_b32_e32 v5, v5, v8
	v_cmp_gt_i32_e64 s18, 0, v3
	v_ashrrev_i32_e32 v3, 31, v7
	s_wait_alu 0xfffd
	v_xor_b32_e32 v6, vcc_lo, v6
	v_add_nc_u32_e32 v78, v2, v4
	v_and_b32_e32 v5, v5, v9
	s_wait_alu 0xf1ff
	v_xor_b32_e32 v2, s18, v3
	ds_load_b32 v73, v78 offset:128
	v_and_b32_e32 v3, v5, v6
	; wave barrier
	s_delay_alu instid0(VALU_DEP_1) | instskip(NEXT) | instid1(VALU_DEP_1)
	v_and_b32_e32 v2, v3, v2
	v_mbcnt_lo_u32_b32 v74, v2, 0
	v_cmp_ne_u32_e64 s18, 0, v2
	s_delay_alu instid0(VALU_DEP_2)
	v_cmp_eq_u32_e32 vcc_lo, 0, v74
	s_and_b32 s19, s18, vcc_lo
	s_wait_alu 0xfffe
	s_and_saveexec_b32 s18, s19
	s_cbranch_execz .LBB226_65
; %bb.64:
	s_wait_dscnt 0x0
	v_bcnt_u32_b32 v2, v2, v73
	ds_store_b32 v78, v2 offset:128
.LBB226_65:
	s_wait_alu 0xfffe
	s_or_b32 exec_lo, exec_lo, s18
	; wave barrier
	s_wait_loadcnt_dscnt 0x0
	s_barrier_signal -1
	s_barrier_wait -1
	global_inv scope:SCOPE_SE
	ds_load_2addr_b32 v[8:9], v30 offset0:32 offset1:33
	ds_load_2addr_b32 v[6:7], v30 offset0:34 offset1:35
	;; [unrolled: 1-line block ×4, first 2 shown]
	ds_load_b32 v51, v30 offset:160
	v_and_b32_e32 v79, 16, v36
	v_and_b32_e32 v80, 31, v1
	s_mov_b32 s23, exec_lo
	s_delay_alu instid0(VALU_DEP_2) | instskip(SKIP_3) | instid1(VALU_DEP_1)
	v_cmp_eq_u32_e64 s21, 0, v79
	s_wait_dscnt 0x3
	v_add3_u32 v76, v9, v8, v6
	s_wait_dscnt 0x2
	v_add3_u32 v76, v76, v7, v4
	s_wait_dscnt 0x1
	s_delay_alu instid0(VALU_DEP_1) | instskip(SKIP_1) | instid1(VALU_DEP_1)
	v_add3_u32 v76, v76, v5, v2
	s_wait_dscnt 0x0
	v_add3_u32 v51, v76, v3, v51
	v_and_b32_e32 v76, 15, v36
	s_delay_alu instid0(VALU_DEP_2) | instskip(NEXT) | instid1(VALU_DEP_2)
	v_mov_b32_dpp v77, v51 row_shr:1 row_mask:0xf bank_mask:0xf
	v_cmp_eq_u32_e32 vcc_lo, 0, v76
	v_cmp_lt_u32_e64 s18, 1, v76
	v_cmp_lt_u32_e64 s19, 3, v76
	;; [unrolled: 1-line block ×3, first 2 shown]
	s_wait_alu 0xfffd
	v_cndmask_b32_e64 v77, v77, 0, vcc_lo
	s_delay_alu instid0(VALU_DEP_1) | instskip(NEXT) | instid1(VALU_DEP_1)
	v_add_nc_u32_e32 v51, v77, v51
	v_mov_b32_dpp v77, v51 row_shr:2 row_mask:0xf bank_mask:0xf
	s_wait_alu 0xf1ff
	s_delay_alu instid0(VALU_DEP_1) | instskip(NEXT) | instid1(VALU_DEP_1)
	v_cndmask_b32_e64 v77, 0, v77, s18
	v_add_nc_u32_e32 v51, v51, v77
	s_delay_alu instid0(VALU_DEP_1) | instskip(NEXT) | instid1(VALU_DEP_1)
	v_mov_b32_dpp v77, v51 row_shr:4 row_mask:0xf bank_mask:0xf
	v_cndmask_b32_e64 v77, 0, v77, s19
	s_delay_alu instid0(VALU_DEP_1) | instskip(NEXT) | instid1(VALU_DEP_1)
	v_add_nc_u32_e32 v51, v51, v77
	v_mov_b32_dpp v77, v51 row_shr:8 row_mask:0xf bank_mask:0xf
	s_delay_alu instid0(VALU_DEP_1) | instskip(SKIP_1) | instid1(VALU_DEP_2)
	v_cndmask_b32_e64 v76, 0, v77, s20
	v_bfe_i32 v77, v36, 4, 1
	v_add_nc_u32_e32 v51, v51, v76
	ds_swizzle_b32 v76, v51 offset:swizzle(BROADCAST,32,15)
	s_wait_dscnt 0x0
	v_and_b32_e32 v76, v77, v76
	v_lshrrev_b32_e32 v77, 5, v1
	s_delay_alu instid0(VALU_DEP_2)
	v_add_nc_u32_e32 v76, v51, v76
	v_cmpx_eq_u32_e32 31, v80
; %bb.66:
	s_delay_alu instid0(VALU_DEP_3)
	v_lshlrev_b32_e32 v51, 2, v77
	ds_store_b32 v51, v76
; %bb.67:
	s_or_b32 exec_lo, exec_lo, s23
	v_cmp_lt_u32_e64 s22, 31, v1
	v_lshlrev_b32_e32 v51, 2, v1
	s_mov_b32 s48, exec_lo
	s_wait_loadcnt_dscnt 0x0
	s_barrier_signal -1
	s_barrier_wait -1
	global_inv scope:SCOPE_SE
	v_cmpx_gt_u32_e32 32, v1
	s_cbranch_execz .LBB226_69
; %bb.68:
	ds_load_b32 v79, v51
	s_wait_dscnt 0x0
	v_mov_b32_dpp v80, v79 row_shr:1 row_mask:0xf bank_mask:0xf
	s_delay_alu instid0(VALU_DEP_1) | instskip(NEXT) | instid1(VALU_DEP_1)
	v_cndmask_b32_e64 v80, v80, 0, vcc_lo
	v_add_nc_u32_e32 v79, v80, v79
	s_delay_alu instid0(VALU_DEP_1) | instskip(NEXT) | instid1(VALU_DEP_1)
	v_mov_b32_dpp v80, v79 row_shr:2 row_mask:0xf bank_mask:0xf
	v_cndmask_b32_e64 v80, 0, v80, s18
	s_delay_alu instid0(VALU_DEP_1) | instskip(NEXT) | instid1(VALU_DEP_1)
	v_add_nc_u32_e32 v79, v79, v80
	v_mov_b32_dpp v80, v79 row_shr:4 row_mask:0xf bank_mask:0xf
	s_delay_alu instid0(VALU_DEP_1) | instskip(NEXT) | instid1(VALU_DEP_1)
	v_cndmask_b32_e64 v80, 0, v80, s19
	v_add_nc_u32_e32 v79, v79, v80
	s_delay_alu instid0(VALU_DEP_1) | instskip(NEXT) | instid1(VALU_DEP_1)
	v_mov_b32_dpp v80, v79 row_shr:8 row_mask:0xf bank_mask:0xf
	v_cndmask_b32_e64 v80, 0, v80, s20
	s_delay_alu instid0(VALU_DEP_1) | instskip(SKIP_3) | instid1(VALU_DEP_1)
	v_add_nc_u32_e32 v79, v79, v80
	ds_swizzle_b32 v80, v79 offset:swizzle(BROADCAST,32,15)
	s_wait_dscnt 0x0
	v_cndmask_b32_e64 v80, v80, 0, s21
	v_add_nc_u32_e32 v79, v79, v80
	ds_store_b32 v51, v79
.LBB226_69:
	s_or_b32 exec_lo, exec_lo, s48
	v_mov_b32_e32 v79, 0
	s_wait_loadcnt_dscnt 0x0
	s_barrier_signal -1
	s_barrier_wait -1
	global_inv scope:SCOPE_SE
	s_and_saveexec_b32 s18, s22
; %bb.70:
	v_lshl_add_u32 v77, v77, 2, -4
	ds_load_b32 v79, v77
; %bb.71:
	s_wait_alu 0xfffe
	s_or_b32 exec_lo, exec_lo, s18
	v_sub_co_u32 v77, vcc_lo, v36, 1
	s_wait_dscnt 0x0
	v_add_nc_u32_e32 v76, v79, v76
	s_delay_alu instid0(VALU_DEP_2) | instskip(SKIP_1) | instid1(VALU_DEP_1)
	v_cmp_gt_i32_e64 s18, 0, v77
	s_wait_alu 0xf1ff
	v_cndmask_b32_e64 v77, v77, v36, s18
	v_cmp_lt_u32_e64 s18, 0xff, v1
	s_delay_alu instid0(VALU_DEP_2)
	v_lshlrev_b32_e32 v77, 2, v77
	ds_bpermute_b32 v76, v77, v76
	s_wait_dscnt 0x0
	s_wait_alu 0xfffd
	v_cndmask_b32_e32 v76, v76, v79, vcc_lo
	v_cmp_ne_u32_e32 vcc_lo, 0, v1
	s_wait_alu 0xfffd
	s_delay_alu instid0(VALU_DEP_2) | instskip(SKIP_1) | instid1(VALU_DEP_2)
	v_cndmask_b32_e32 v76, 0, v76, vcc_lo
	v_cmp_gt_u32_e32 vcc_lo, 0x100, v1
	v_add_nc_u32_e32 v8, v76, v8
	s_delay_alu instid0(VALU_DEP_1) | instskip(NEXT) | instid1(VALU_DEP_1)
	v_add_nc_u32_e32 v9, v8, v9
	v_add_nc_u32_e32 v6, v9, v6
	s_delay_alu instid0(VALU_DEP_1) | instskip(NEXT) | instid1(VALU_DEP_1)
	v_add_nc_u32_e32 v7, v6, v7
	;; [unrolled: 3-line block ×3, first 2 shown]
	v_add_nc_u32_e32 v2, v5, v2
	s_delay_alu instid0(VALU_DEP_1)
	v_add_nc_u32_e32 v3, v2, v3
	ds_store_2addr_b32 v30, v76, v8 offset0:32 offset1:33
	ds_store_2addr_b32 v30, v9, v6 offset0:34 offset1:35
	;; [unrolled: 1-line block ×4, first 2 shown]
	ds_store_b32 v30, v3 offset:160
	s_wait_loadcnt_dscnt 0x0
	s_barrier_signal -1
	s_barrier_wait -1
	global_inv scope:SCOPE_SE
	ds_load_b32 v8, v34 offset:128
	ds_load_b32 v9, v38 offset:128
	;; [unrolled: 1-line block ×16, first 2 shown]
                                        ; implicit-def: $vgpr38
                                        ; implicit-def: $vgpr41
	s_and_saveexec_b32 s20, vcc_lo
	s_cbranch_execz .LBB226_75
; %bb.72:
	v_mul_u32_u24_e32 v2, 0x84, v1
	v_add_nc_u32_e32 v3, 1, v1
	s_mov_b32 s21, exec_lo
	ds_load_b32 v38, v2 offset:128
	v_mov_b32_e32 v2, 0x4000
	v_cmpx_ne_u32_e32 0x100, v3
; %bb.73:
	v_mul_u32_u24_e32 v2, 0x84, v3
	ds_load_b32 v2, v2 offset:128
; %bb.74:
	s_wait_alu 0xfffe
	s_or_b32 exec_lo, exec_lo, s21
	s_wait_dscnt 0x0
	v_sub_nc_u32_e32 v41, v2, v38
.LBB226_75:
	s_wait_alu 0xfffe
	s_or_b32 exec_lo, exec_lo, s20
	v_mov_b32_e32 v3, 0
	s_wait_loadcnt_dscnt 0x0
	s_barrier_signal -1
	s_barrier_wait -1
	global_inv scope:SCOPE_SE
	s_and_saveexec_b32 s19, vcc_lo
	s_cbranch_execz .LBB226_85
; %bb.76:
	v_lshl_add_u32 v2, ttmp9, 8, v1
	v_mov_b32_e32 v66, 0
	s_mov_b32 s20, ttmp9
	s_mov_b32 s21, 0
                                        ; implicit-def: $sgpr22
	s_delay_alu instid0(VALU_DEP_2) | instskip(SKIP_1) | instid1(VALU_DEP_2)
	v_lshlrev_b64_e32 v[4:5], 2, v[2:3]
	v_or_b32_e32 v2, 2.0, v41
	v_add_co_u32 v4, vcc_lo, s34, v4
	s_wait_alu 0xfffd
	s_delay_alu instid0(VALU_DEP_3)
	v_add_co_ci_u32_e64 v5, null, s35, v5, vcc_lo
	global_store_b32 v[4:5], v2, off scope:SCOPE_DEV
	s_branch .LBB226_79
.LBB226_77:                             ;   in Loop: Header=BB226_79 Depth=1
	s_or_b32 exec_lo, exec_lo, s23
.LBB226_78:                             ;   in Loop: Header=BB226_79 Depth=1
	s_delay_alu instid0(SALU_CYCLE_1) | instskip(SKIP_2) | instid1(VALU_DEP_2)
	s_or_b32 exec_lo, exec_lo, s22
	v_and_b32_e32 v6, 0x3fffffff, v2
	v_cmp_gt_i32_e64 s22, -2.0, v2
	v_add_nc_u32_e32 v66, v6, v66
	s_and_b32 s23, exec_lo, s22
	s_delay_alu instid0(SALU_CYCLE_1)
	s_or_b32 s21, s23, s21
	s_wait_alu 0xfffe
	s_and_not1_b32 exec_lo, exec_lo, s21
	s_cbranch_execz .LBB226_84
.LBB226_79:                             ; =>This Loop Header: Depth=1
                                        ;     Child Loop BB226_82 Depth 2
	s_or_b32 s22, s22, exec_lo
	s_wait_alu 0xfffe
	s_cmp_eq_u32 s20, 0
	s_cbranch_scc1 .LBB226_83
; %bb.80:                               ;   in Loop: Header=BB226_79 Depth=1
	s_add_co_i32 s20, s20, -1
	s_mov_b32 s22, exec_lo
	s_wait_alu 0xfffe
	v_lshl_or_b32 v2, s20, 8, v1
	s_delay_alu instid0(VALU_DEP_1) | instskip(NEXT) | instid1(VALU_DEP_1)
	v_lshlrev_b64_e32 v[6:7], 2, v[2:3]
	v_add_co_u32 v6, vcc_lo, s34, v6
	s_wait_alu 0xfffd
	s_delay_alu instid0(VALU_DEP_2)
	v_add_co_ci_u32_e64 v7, null, s35, v7, vcc_lo
	global_load_b32 v2, v[6:7], off scope:SCOPE_DEV
	s_wait_loadcnt 0x0
	v_cmpx_gt_u32_e32 2.0, v2
	s_cbranch_execz .LBB226_78
; %bb.81:                               ;   in Loop: Header=BB226_79 Depth=1
	s_mov_b32 s23, 0
.LBB226_82:                             ;   Parent Loop BB226_79 Depth=1
                                        ; =>  This Inner Loop Header: Depth=2
	global_load_b32 v2, v[6:7], off scope:SCOPE_DEV
	s_wait_loadcnt 0x0
	v_cmp_lt_u32_e32 vcc_lo, 0x3fffffff, v2
	s_or_b32 s23, vcc_lo, s23
	s_delay_alu instid0(SALU_CYCLE_1)
	s_and_not1_b32 exec_lo, exec_lo, s23
	s_cbranch_execnz .LBB226_82
	s_branch .LBB226_77
.LBB226_83:                             ;   in Loop: Header=BB226_79 Depth=1
                                        ; implicit-def: $sgpr20
	s_and_b32 s23, exec_lo, s22
	s_delay_alu instid0(SALU_CYCLE_1)
	s_or_b32 s21, s23, s21
	s_wait_alu 0xfffe
	s_and_not1_b32 exec_lo, exec_lo, s21
	s_cbranch_execnz .LBB226_79
.LBB226_84:
	s_or_b32 exec_lo, exec_lo, s21
	v_add_nc_u32_e32 v2, v66, v41
	v_sub_nc_u32_e32 v3, v66, v38
	s_delay_alu instid0(VALU_DEP_2)
	v_or_b32_e32 v2, 0x80000000, v2
	global_store_b32 v[4:5], v2, off scope:SCOPE_DEV
	global_load_b32 v2, v51, s[36:37]
	s_wait_loadcnt 0x0
	v_add_nc_u32_e32 v2, v3, v2
	ds_store_b32 v51, v2
.LBB226_85:
	s_wait_alu 0xfffe
	s_or_b32 exec_lo, exec_lo, s19
	v_dual_mov_b32 v3, 0 :: v_dual_add_nc_u32 v44, v44, v27
	v_add3_u32 v47, v74, v47, v73
	v_add3_u32 v50, v71, v50, v70
	;; [unrolled: 1-line block ×15, first 2 shown]
	v_mov_b32_e32 v4, v1
	s_mov_b32 s19, 32
	s_mov_b32 s22, 0
	s_mov_b32 s21, -1
	s_mov_b32 s20, 0
	s_branch .LBB226_87
.LBB226_86:                             ;   in Loop: Header=BB226_87 Depth=1
	s_or_b32 exec_lo, exec_lo, s23
	v_add_nc_u32_e32 v4, 0x2000, v4
	s_xor_b32 s22, s21, -1
	s_addk_co_i32 s20, 0xe000
	s_mov_b32 s21, 0
	s_and_b32 vcc_lo, exec_lo, s22
	s_mov_b32 s22, s19
	s_wait_loadcnt 0x0
	s_wait_storecnt 0x0
	s_barrier_signal -1
	s_barrier_wait -1
	global_inv scope:SCOPE_SE
	s_wait_alu 0xfffe
	s_cbranch_vccnz .LBB226_103
.LBB226_87:                             ; =>This Inner Loop Header: Depth=1
	s_wait_alu 0xfffe
	v_add_nc_u32_e32 v2, s20, v44
	v_add_nc_u32_e32 v5, s20, v43
	;; [unrolled: 1-line block ×5, first 2 shown]
	v_min_u32_e32 v2, 0x2000, v2
	v_add_nc_u32_e32 v9, s20, v42
	v_min_u32_e32 v5, 0x2000, v5
	v_min_u32_e32 v6, 0x2000, v6
	;; [unrolled: 1-line block ×3, first 2 shown]
	v_lshlrev_b32_e32 v2, 2, v2
	v_min_u32_e32 v8, 0x2000, v8
	v_min_u32_e32 v9, 0x2000, v9
	v_lshlrev_b32_e32 v5, 2, v5
	v_lshlrev_b32_e32 v6, 2, v6
	ds_store_b32 v2, v12 offset:1024
	v_lshlrev_b32_e32 v2, 2, v7
	v_lshlrev_b32_e32 v7, 2, v8
	;; [unrolled: 1-line block ×3, first 2 shown]
	ds_store_b32 v5, v11 offset:1024
	ds_store_b32 v6, v14 offset:1024
	;; [unrolled: 1-line block ×5, first 2 shown]
	v_add_nc_u32_e32 v2, s20, v45
	v_add_nc_u32_e32 v5, s20, v48
	;; [unrolled: 1-line block ×5, first 2 shown]
	v_min_u32_e32 v2, 0x2000, v2
	v_min_u32_e32 v5, 0x2000, v5
	;; [unrolled: 1-line block ×5, first 2 shown]
	v_lshlrev_b32_e32 v2, 2, v2
	v_lshlrev_b32_e32 v5, 2, v5
	;; [unrolled: 1-line block ×5, first 2 shown]
	ds_store_b32 v2, v18 offset:1024
	ds_store_b32 v5, v17 offset:1024
	;; [unrolled: 1-line block ×5, first 2 shown]
	v_add_nc_u32_e32 v2, s20, v60
	v_add_nc_u32_e32 v5, s20, v57
	;; [unrolled: 1-line block ×5, first 2 shown]
	v_min_u32_e32 v2, 0x2000, v2
	v_min_u32_e32 v5, 0x2000, v5
	;; [unrolled: 1-line block ×5, first 2 shown]
	v_lshlrev_b32_e32 v2, 2, v2
	v_lshlrev_b32_e32 v5, 2, v5
	;; [unrolled: 1-line block ×4, first 2 shown]
	s_mov_b32 s23, exec_lo
	v_lshlrev_b32_e32 v8, 2, v8
	ds_store_b32 v2, v21 offset:1024
	ds_store_b32 v5, v24 offset:1024
	;; [unrolled: 1-line block ×5, first 2 shown]
	s_wait_storecnt 0x0
	s_wait_loadcnt_dscnt 0x0
	s_barrier_signal -1
	s_barrier_wait -1
	global_inv scope:SCOPE_SE
	v_cmpx_gt_u32_e64 s33, v4
	s_cbranch_execz .LBB226_89
; %bb.88:                               ;   in Loop: Header=BB226_87 Depth=1
	ds_load_b32 v7, v51 offset:1024
	s_wait_dscnt 0x0
	v_lshrrev_b32_e32 v2, s40, v7
	s_delay_alu instid0(VALU_DEP_1) | instskip(NEXT) | instid1(VALU_DEP_1)
	v_and_b32_e32 v8, s47, v2
	v_lshlrev_b32_e32 v2, 2, v8
	ds_load_b32 v2, v2
	s_wait_dscnt 0x0
	v_add_nc_u32_e32 v2, v4, v2
	s_delay_alu instid0(VALU_DEP_1) | instskip(NEXT) | instid1(VALU_DEP_1)
	v_lshlrev_b64_e32 v[5:6], 2, v[2:3]
	v_add_co_u32 v5, vcc_lo, s26, v5
	s_wait_alu 0xfffd
	s_delay_alu instid0(VALU_DEP_2)
	v_add_co_ci_u32_e64 v6, null, s27, v6, vcc_lo
	global_store_b32 v[5:6], v7, off
	scratch_store_b32 off, v8, s22
.LBB226_89:                             ;   in Loop: Header=BB226_87 Depth=1
	s_or_b32 exec_lo, exec_lo, s23
	v_add_nc_u32_e32 v2, 0x400, v4
	s_mov_b32 s23, exec_lo
	s_delay_alu instid0(VALU_DEP_1)
	v_cmpx_gt_u32_e64 s33, v2
	s_cbranch_execz .LBB226_91
; %bb.90:                               ;   in Loop: Header=BB226_87 Depth=1
	ds_load_b32 v7, v51 offset:5120
	s_wait_dscnt 0x0
	v_lshrrev_b32_e32 v2, s40, v7
	s_delay_alu instid0(VALU_DEP_1) | instskip(NEXT) | instid1(VALU_DEP_1)
	v_and_b32_e32 v8, s47, v2
	v_lshlrev_b32_e32 v2, 2, v8
	ds_load_b32 v2, v2
	s_wait_dscnt 0x0
	v_add3_u32 v2, v4, v2, 0x400
	s_delay_alu instid0(VALU_DEP_1) | instskip(NEXT) | instid1(VALU_DEP_1)
	v_lshlrev_b64_e32 v[5:6], 2, v[2:3]
	v_add_co_u32 v5, vcc_lo, s26, v5
	s_wait_alu 0xfffd
	s_delay_alu instid0(VALU_DEP_2)
	v_add_co_ci_u32_e64 v6, null, s27, v6, vcc_lo
	global_store_b32 v[5:6], v7, off
	scratch_store_b32 off, v8, s22 offset:4
.LBB226_91:                             ;   in Loop: Header=BB226_87 Depth=1
	s_or_b32 exec_lo, exec_lo, s23
	v_add_nc_u32_e32 v2, 0x800, v4
	s_mov_b32 s23, exec_lo
	s_delay_alu instid0(VALU_DEP_1)
	v_cmpx_gt_u32_e64 s33, v2
	s_cbranch_execz .LBB226_93
; %bb.92:                               ;   in Loop: Header=BB226_87 Depth=1
	ds_load_b32 v7, v51 offset:9216
	s_wait_dscnt 0x0
	v_lshrrev_b32_e32 v2, s40, v7
	s_delay_alu instid0(VALU_DEP_1) | instskip(NEXT) | instid1(VALU_DEP_1)
	v_and_b32_e32 v8, s47, v2
	v_lshlrev_b32_e32 v2, 2, v8
	ds_load_b32 v2, v2
	s_wait_dscnt 0x0
	v_add3_u32 v2, v4, v2, 0x800
	s_delay_alu instid0(VALU_DEP_1) | instskip(NEXT) | instid1(VALU_DEP_1)
	v_lshlrev_b64_e32 v[5:6], 2, v[2:3]
	v_add_co_u32 v5, vcc_lo, s26, v5
	s_wait_alu 0xfffd
	s_delay_alu instid0(VALU_DEP_2)
	v_add_co_ci_u32_e64 v6, null, s27, v6, vcc_lo
	global_store_b32 v[5:6], v7, off
	scratch_store_b32 off, v8, s22 offset:8
.LBB226_93:                             ;   in Loop: Header=BB226_87 Depth=1
	;; [unrolled: 25-line block ×5, first 2 shown]
	s_or_b32 exec_lo, exec_lo, s23
	v_add_nc_u32_e32 v2, 0x1800, v4
	s_mov_b32 s23, exec_lo
	s_delay_alu instid0(VALU_DEP_1)
	v_cmpx_gt_u32_e64 s33, v2
	s_cbranch_execz .LBB226_101
; %bb.100:                              ;   in Loop: Header=BB226_87 Depth=1
	ds_load_b32 v7, v51 offset:25600
	s_wait_dscnt 0x0
	v_lshrrev_b32_e32 v2, s40, v7
	s_delay_alu instid0(VALU_DEP_1) | instskip(NEXT) | instid1(VALU_DEP_1)
	v_and_b32_e32 v8, s47, v2
	v_lshlrev_b32_e32 v2, 2, v8
	ds_load_b32 v2, v2
	s_wait_dscnt 0x0
	v_add3_u32 v2, v4, v2, 0x1800
	s_delay_alu instid0(VALU_DEP_1) | instskip(NEXT) | instid1(VALU_DEP_1)
	v_lshlrev_b64_e32 v[5:6], 2, v[2:3]
	v_add_co_u32 v5, vcc_lo, s26, v5
	s_wait_alu 0xfffd
	s_delay_alu instid0(VALU_DEP_2)
	v_add_co_ci_u32_e64 v6, null, s27, v6, vcc_lo
	global_store_b32 v[5:6], v7, off
	scratch_store_b32 off, v8, s22 offset:24
.LBB226_101:                            ;   in Loop: Header=BB226_87 Depth=1
	s_or_b32 exec_lo, exec_lo, s23
	v_add_nc_u32_e32 v2, 0x1c00, v4
	s_mov_b32 s23, exec_lo
	s_delay_alu instid0(VALU_DEP_1)
	v_cmpx_gt_u32_e64 s33, v2
	s_cbranch_execz .LBB226_86
; %bb.102:                              ;   in Loop: Header=BB226_87 Depth=1
	ds_load_b32 v7, v51 offset:29696
	s_wait_dscnt 0x0
	v_lshrrev_b32_e32 v2, s40, v7
	s_delay_alu instid0(VALU_DEP_1) | instskip(NEXT) | instid1(VALU_DEP_1)
	v_and_b32_e32 v8, s47, v2
	v_lshlrev_b32_e32 v2, 2, v8
	ds_load_b32 v2, v2
	s_wait_dscnt 0x0
	v_add3_u32 v2, v4, v2, 0x1c00
	s_delay_alu instid0(VALU_DEP_1) | instskip(NEXT) | instid1(VALU_DEP_1)
	v_lshlrev_b64_e32 v[5:6], 2, v[2:3]
	v_add_co_u32 v5, vcc_lo, s26, v5
	s_wait_alu 0xfffd
	s_delay_alu instid0(VALU_DEP_2)
	v_add_co_ci_u32_e64 v6, null, s27, v6, vcc_lo
	global_store_b32 v[5:6], v7, off
	scratch_store_b32 off, v8, s22 offset:28
	s_branch .LBB226_86
.LBB226_103:
	v_dual_mov_b32 v3, 0 :: v_dual_lshlrev_b32 v2, 3, v36
	s_lshl_b64 s[20:21], s[42:43], 3
	v_lshlrev_b32_e32 v4, 3, v10
	s_wait_alu 0xfffe
	s_add_nc_u64 s[20:21], s[28:29], s[20:21]
	s_wait_alu 0xfffe
	v_add_co_u32 v2, s19, s20, v2
	s_wait_alu 0xf1ff
	v_add_co_ci_u32_e64 v5, null, s21, 0, s19
	s_delay_alu instid0(VALU_DEP_2) | instskip(SKIP_1) | instid1(VALU_DEP_2)
	v_add_co_u32 v34, vcc_lo, v2, v4
	s_wait_alu 0xfffd
	v_add_co_ci_u32_e64 v35, null, 0, v5, vcc_lo
	v_dual_mov_b32 v5, 0 :: v_dual_mov_b32 v4, 0
	s_and_saveexec_b32 s19, s17
	s_cbranch_execz .LBB226_105
; %bb.104:
	global_load_b64 v[4:5], v[34:35], off
.LBB226_105:
	s_wait_alu 0xfffe
	s_or_b32 exec_lo, exec_lo, s19
	v_mov_b32_e32 v2, 0
	s_and_saveexec_b32 s17, s16
	s_cbranch_execz .LBB226_107
; %bb.106:
	global_load_b64 v[2:3], v[34:35], off offset:256
.LBB226_107:
	s_or_b32 exec_lo, exec_lo, s17
	v_dual_mov_b32 v7, 0 :: v_dual_mov_b32 v8, 0
	v_mov_b32_e32 v9, 0
	s_and_saveexec_b32 s16, s15
	s_cbranch_execz .LBB226_109
; %bb.108:
	global_load_b64 v[8:9], v[34:35], off offset:512
.LBB226_109:
	s_or_b32 exec_lo, exec_lo, s16
	v_mov_b32_e32 v6, 0
	s_and_saveexec_b32 s15, s14
	s_cbranch_execz .LBB226_111
; %bb.110:
	global_load_b64 v[6:7], v[34:35], off offset:768
.LBB226_111:
	s_or_b32 exec_lo, exec_lo, s15
	v_dual_mov_b32 v11, 0 :: v_dual_mov_b32 v12, 0
	v_mov_b32_e32 v13, 0
	s_and_saveexec_b32 s14, s13
	s_cbranch_execz .LBB226_113
; %bb.112:
	global_load_b64 v[12:13], v[34:35], off offset:1024
.LBB226_113:
	s_or_b32 exec_lo, exec_lo, s14
	v_mov_b32_e32 v10, 0
	s_and_saveexec_b32 s13, s12
	s_cbranch_execz .LBB226_115
; %bb.114:
	global_load_b64 v[10:11], v[34:35], off offset:1280
.LBB226_115:
	s_or_b32 exec_lo, exec_lo, s13
	v_dual_mov_b32 v15, 0 :: v_dual_mov_b32 v16, 0
	v_mov_b32_e32 v17, 0
	s_and_saveexec_b32 s12, s11
	s_cbranch_execz .LBB226_117
; %bb.116:
	global_load_b64 v[16:17], v[34:35], off offset:1536
.LBB226_117:
	s_or_b32 exec_lo, exec_lo, s12
	v_mov_b32_e32 v14, 0
	s_and_saveexec_b32 s11, s10
	s_cbranch_execz .LBB226_119
; %bb.118:
	global_load_b64 v[14:15], v[34:35], off offset:1792
.LBB226_119:
	s_or_b32 exec_lo, exec_lo, s11
	v_dual_mov_b32 v19, 0 :: v_dual_mov_b32 v20, 0
	v_mov_b32_e32 v21, 0
	s_and_saveexec_b32 s10, s9
	s_cbranch_execz .LBB226_121
; %bb.120:
	global_load_b64 v[20:21], v[34:35], off offset:2048
.LBB226_121:
	s_or_b32 exec_lo, exec_lo, s10
	v_mov_b32_e32 v18, 0
	s_and_saveexec_b32 s9, s8
	s_cbranch_execz .LBB226_123
; %bb.122:
	global_load_b64 v[18:19], v[34:35], off offset:2304
.LBB226_123:
	s_or_b32 exec_lo, exec_lo, s9
	v_dual_mov_b32 v23, 0 :: v_dual_mov_b32 v24, 0
	v_mov_b32_e32 v25, 0
	s_and_saveexec_b32 s8, s7
	s_cbranch_execz .LBB226_125
; %bb.124:
	global_load_b64 v[24:25], v[34:35], off offset:2560
.LBB226_125:
	s_or_b32 exec_lo, exec_lo, s8
	v_mov_b32_e32 v22, 0
	s_and_saveexec_b32 s7, s6
	s_cbranch_execz .LBB226_127
; %bb.126:
	global_load_b64 v[22:23], v[34:35], off offset:2816
.LBB226_127:
	s_or_b32 exec_lo, exec_lo, s7
	v_dual_mov_b32 v27, 0 :: v_dual_mov_b32 v28, 0
	v_mov_b32_e32 v29, 0
	s_and_saveexec_b32 s6, s5
	s_cbranch_execz .LBB226_129
; %bb.128:
	global_load_b64 v[28:29], v[34:35], off offset:3072
.LBB226_129:
	s_or_b32 exec_lo, exec_lo, s6
	v_mov_b32_e32 v26, 0
	s_and_saveexec_b32 s5, s4
	s_cbranch_execz .LBB226_131
; %bb.130:
	global_load_b64 v[26:27], v[34:35], off offset:3328
.LBB226_131:
	s_or_b32 exec_lo, exec_lo, s5
	v_dual_mov_b32 v31, 0 :: v_dual_mov_b32 v32, 0
	v_mov_b32_e32 v33, 0
	s_and_saveexec_b32 s4, s3
	s_cbranch_execz .LBB226_133
; %bb.132:
	global_load_b64 v[32:33], v[34:35], off offset:3584
.LBB226_133:
	s_or_b32 exec_lo, exec_lo, s4
	v_mov_b32_e32 v30, 0
	s_and_saveexec_b32 s3, s2
	s_cbranch_execz .LBB226_135
; %bb.134:
	global_load_b64 v[30:31], v[34:35], off offset:3840
.LBB226_135:
	s_wait_alu 0xfffe
	s_or_b32 exec_lo, exec_lo, s3
	v_dual_mov_b32 v35, 0 :: v_dual_lshlrev_b32 v46, 3, v1
	v_mov_b32_e32 v49, v1
	s_or_b32 s2, 0, 8
	s_mov_b32 s3, 0
	s_branch .LBB226_137
.LBB226_136:                            ;   in Loop: Header=BB226_137 Depth=1
	s_or_b32 exec_lo, exec_lo, s4
	v_add_nc_u32_e32 v49, 0x1000, v49
	s_addk_co_i32 s3, 0xf000
	s_add_co_i32 s2, s2, 16
	s_wait_alu 0xfffe
	s_cmp_eq_u32 s3, 0xffffc000
	s_wait_loadcnt 0x0
	s_wait_storecnt 0x0
	s_barrier_signal -1
	s_barrier_wait -1
	global_inv scope:SCOPE_SE
	s_cbranch_scc1 .LBB226_145
.LBB226_137:                            ; =>This Inner Loop Header: Depth=1
	s_wait_alu 0xfffe
	v_add_nc_u32_e32 v34, s3, v44
	v_add_nc_u32_e32 v53, s3, v43
	;; [unrolled: 1-line block ×5, first 2 shown]
	v_min_u32_e32 v34, 0x1000, v34
	v_add_nc_u32_e32 v62, s3, v42
	v_min_u32_e32 v53, 0x1000, v53
	v_min_u32_e32 v56, 0x1000, v56
	;; [unrolled: 1-line block ×3, first 2 shown]
	v_lshlrev_b32_e32 v34, 3, v34
	v_min_u32_e32 v61, 0x1000, v61
	v_min_u32_e32 v62, 0x1000, v62
	v_lshlrev_b32_e32 v53, 3, v53
	v_lshlrev_b32_e32 v56, 3, v56
	s_wait_loadcnt 0x0
	ds_store_b64 v34, v[4:5] offset:1024
	v_lshlrev_b32_e32 v34, 3, v59
	v_lshlrev_b32_e32 v59, 3, v61
	;; [unrolled: 1-line block ×3, first 2 shown]
	ds_store_b64 v53, v[2:3] offset:1024
	ds_store_b64 v56, v[8:9] offset:1024
	;; [unrolled: 1-line block ×5, first 2 shown]
	v_add_nc_u32_e32 v34, s3, v45
	v_add_nc_u32_e32 v53, s3, v48
	;; [unrolled: 1-line block ×5, first 2 shown]
	v_min_u32_e32 v34, 0x1000, v34
	v_min_u32_e32 v53, 0x1000, v53
	v_min_u32_e32 v56, 0x1000, v56
	v_min_u32_e32 v59, 0x1000, v59
	v_min_u32_e32 v61, 0x1000, v61
	v_lshlrev_b32_e32 v34, 3, v34
	v_lshlrev_b32_e32 v53, 3, v53
	;; [unrolled: 1-line block ×5, first 2 shown]
	ds_store_b64 v34, v[16:17] offset:1024
	ds_store_b64 v53, v[14:15] offset:1024
	;; [unrolled: 1-line block ×5, first 2 shown]
	v_add_nc_u32_e32 v34, s3, v60
	v_add_nc_u32_e32 v53, s3, v57
	;; [unrolled: 1-line block ×5, first 2 shown]
	v_min_u32_e32 v34, 0x1000, v34
	v_min_u32_e32 v53, 0x1000, v53
	;; [unrolled: 1-line block ×5, first 2 shown]
	v_lshlrev_b32_e32 v34, 3, v34
	v_lshlrev_b32_e32 v53, 3, v53
	;; [unrolled: 1-line block ×4, first 2 shown]
	s_mov_b32 s4, exec_lo
	v_lshlrev_b32_e32 v61, 3, v61
	ds_store_b64 v34, v[22:23] offset:1024
	ds_store_b64 v53, v[28:29] offset:1024
	;; [unrolled: 1-line block ×5, first 2 shown]
	s_wait_dscnt 0x0
	s_barrier_signal -1
	s_barrier_wait -1
	global_inv scope:SCOPE_SE
	v_cmpx_gt_u32_e64 s33, v49
	s_cbranch_execz .LBB226_139
; %bb.138:                              ;   in Loop: Header=BB226_137 Depth=1
	scratch_load_b32 v34, off, s2 offset:-8
	s_wait_loadcnt 0x0
	v_lshlrev_b32_e32 v34, 2, v34
	ds_load_b32 v34, v34
	ds_load_b64 v[61:62], v46 offset:1024
	s_wait_dscnt 0x1
	v_add_nc_u32_e32 v34, v49, v34
	s_delay_alu instid0(VALU_DEP_1) | instskip(NEXT) | instid1(VALU_DEP_1)
	v_lshlrev_b64_e32 v[63:64], 3, v[34:35]
	v_add_co_u32 v63, vcc_lo, s30, v63
	s_wait_alu 0xfffd
	s_delay_alu instid0(VALU_DEP_2)
	v_add_co_ci_u32_e64 v64, null, s31, v64, vcc_lo
	s_wait_dscnt 0x0
	global_store_b64 v[63:64], v[61:62], off
.LBB226_139:                            ;   in Loop: Header=BB226_137 Depth=1
	s_or_b32 exec_lo, exec_lo, s4
	v_add_nc_u32_e32 v34, 0x400, v49
	s_mov_b32 s4, exec_lo
	s_delay_alu instid0(VALU_DEP_1)
	v_cmpx_gt_u32_e64 s33, v34
	s_cbranch_execz .LBB226_141
; %bb.140:                              ;   in Loop: Header=BB226_137 Depth=1
	scratch_load_b32 v34, off, s2 offset:-4
	s_wait_loadcnt 0x0
	v_lshlrev_b32_e32 v34, 2, v34
	ds_load_b32 v34, v34
	ds_load_b64 v[61:62], v46 offset:9216
	s_wait_dscnt 0x1
	v_add3_u32 v34, v49, v34, 0x400
	s_delay_alu instid0(VALU_DEP_1) | instskip(NEXT) | instid1(VALU_DEP_1)
	v_lshlrev_b64_e32 v[63:64], 3, v[34:35]
	v_add_co_u32 v63, vcc_lo, s30, v63
	s_wait_alu 0xfffd
	s_delay_alu instid0(VALU_DEP_2)
	v_add_co_ci_u32_e64 v64, null, s31, v64, vcc_lo
	s_wait_dscnt 0x0
	global_store_b64 v[63:64], v[61:62], off
.LBB226_141:                            ;   in Loop: Header=BB226_137 Depth=1
	s_or_b32 exec_lo, exec_lo, s4
	v_add_nc_u32_e32 v34, 0x800, v49
	s_mov_b32 s4, exec_lo
	s_delay_alu instid0(VALU_DEP_1)
	v_cmpx_gt_u32_e64 s33, v34
	s_cbranch_execz .LBB226_143
; %bb.142:                              ;   in Loop: Header=BB226_137 Depth=1
	scratch_load_b32 v34, off, s2
	s_wait_loadcnt 0x0
	v_lshlrev_b32_e32 v34, 2, v34
	ds_load_b32 v34, v34
	ds_load_b64 v[61:62], v46 offset:17408
	s_wait_dscnt 0x1
	v_add3_u32 v34, v49, v34, 0x800
	s_delay_alu instid0(VALU_DEP_1) | instskip(NEXT) | instid1(VALU_DEP_1)
	v_lshlrev_b64_e32 v[63:64], 3, v[34:35]
	v_add_co_u32 v63, vcc_lo, s30, v63
	s_wait_alu 0xfffd
	s_delay_alu instid0(VALU_DEP_2)
	v_add_co_ci_u32_e64 v64, null, s31, v64, vcc_lo
	s_wait_dscnt 0x0
	global_store_b64 v[63:64], v[61:62], off
.LBB226_143:                            ;   in Loop: Header=BB226_137 Depth=1
	s_or_b32 exec_lo, exec_lo, s4
	v_add_nc_u32_e32 v34, 0xc00, v49
	s_mov_b32 s4, exec_lo
	s_delay_alu instid0(VALU_DEP_1)
	v_cmpx_gt_u32_e64 s33, v34
	s_cbranch_execz .LBB226_136
; %bb.144:                              ;   in Loop: Header=BB226_137 Depth=1
	scratch_load_b32 v34, off, s2 offset:4
	s_wait_loadcnt 0x0
	v_lshlrev_b32_e32 v34, 2, v34
	ds_load_b32 v34, v34
	ds_load_b64 v[61:62], v46 offset:25600
	s_wait_dscnt 0x1
	v_add3_u32 v34, v49, v34, 0xc00
	s_delay_alu instid0(VALU_DEP_1) | instskip(NEXT) | instid1(VALU_DEP_1)
	v_lshlrev_b64_e32 v[63:64], 3, v[34:35]
	v_add_co_u32 v63, vcc_lo, s30, v63
	s_wait_alu 0xfffd
	s_delay_alu instid0(VALU_DEP_2)
	v_add_co_ci_u32_e64 v64, null, s31, v64, vcc_lo
	s_wait_dscnt 0x0
	global_store_b64 v[63:64], v[61:62], off
	s_branch .LBB226_136
.LBB226_145:
	s_add_co_i32 s46, s46, -1
	s_wait_alu 0xfffe
	s_cmp_eq_u32 ttmp9, s46
	s_cselect_b32 s2, -1, 0
	s_xor_b32 s3, s18, -1
	s_wait_alu 0xfffe
	s_and_b32 s3, s3, s2
	s_wait_alu 0xfffe
	s_and_saveexec_b32 s2, s3
	s_cbranch_execz .LBB226_147
; %bb.146:
	ds_load_b32 v2, v51
	s_wait_dscnt 0x0
	v_add3_u32 v2, v38, v41, v2
	global_store_b32 v51, v2, s[38:39]
.LBB226_147:
	s_wait_alu 0xfffe
	s_or_b32 exec_lo, exec_lo, s2
	s_mov_b32 s2, 0
.LBB226_148:
	s_wait_alu 0xfffe
	s_and_b32 vcc_lo, exec_lo, s2
	s_wait_alu 0xfffe
	s_cbranch_vccz .LBB226_207
; %bb.149:
	v_lshlrev_b32_e32 v2, 4, v1
	s_lshl_b32 s6, ttmp9, 14
	s_mov_b32 s7, 0
	s_delay_alu instid0(SALU_CYCLE_1) | instskip(NEXT) | instid1(VALU_DEP_1)
	s_lshl_b64 s[2:3], s[6:7], 2
	v_and_b32_e32 v10, 0x3e00, v2
	v_lshlrev_b32_e32 v2, 2, v36
	s_wait_alu 0xfffe
	s_add_nc_u64 s[2:3], s[24:25], s[2:3]
	s_delay_alu instid0(VALU_DEP_2) | instskip(SKIP_4) | instid1(VALU_DEP_2)
	v_lshlrev_b32_e32 v3, 2, v10
	s_wait_alu 0xfffe
	v_add_co_u32 v2, s2, s2, v2
	s_wait_alu 0xf1ff
	v_add_co_ci_u32_e64 v4, null, s3, 0, s2
	v_add_co_u32 v2, vcc_lo, v2, v3
	s_wait_alu 0xfffd
	s_delay_alu instid0(VALU_DEP_2)
	v_add_co_ci_u32_e64 v3, null, 0, v4, vcc_lo
	s_clause 0xf
	global_load_b32 v11, v[2:3], off
	global_load_b32 v12, v[2:3], off offset:128
	global_load_b32 v13, v[2:3], off offset:256
	;; [unrolled: 1-line block ×15, first 2 shown]
	s_clause 0x1
	s_load_b32 s8, s[0:1], 0x58
	s_load_u16 s2, s[0:1], 0x66
	s_wait_kmcnt 0x0
	s_cmp_lt_u32 ttmp9, s8
	s_cselect_b32 s0, 12, 18
	s_lshl_b32 s1, -1, s41
	s_wait_alu 0xfffe
	s_not_b32 s9, s1
	s_mov_b32 s1, s7
	s_wait_alu 0xfffe
	s_add_nc_u64 s[0:1], s[44:45], s[0:1]
	s_load_u16 s1, s[0:1], 0x0
	s_wait_loadcnt 0xf
	v_lshrrev_b32_e32 v2, s40, v11
	s_delay_alu instid0(VALU_DEP_1) | instskip(SKIP_2) | instid1(VALU_DEP_3)
	v_and_b32_e32 v4, s9, v2
	v_bfe_u32 v2, v0, 10, 10
	v_bfe_u32 v0, v0, 20, 10
	v_and_b32_e32 v3, 1, v4
	v_lshlrev_b32_e32 v5, 30, v4
	v_lshlrev_b32_e32 v6, 29, v4
	;; [unrolled: 1-line block ×4, first 2 shown]
	v_add_co_u32 v3, s0, v3, -1
	s_wait_alu 0xf1ff
	v_cndmask_b32_e64 v8, 0, 1, s0
	v_not_b32_e32 v29, v5
	v_cmp_gt_i32_e64 s0, 0, v5
	v_not_b32_e32 v5, v6
	v_lshlrev_b32_e32 v27, 26, v4
	v_cmp_ne_u32_e32 vcc_lo, 0, v8
	v_ashrrev_i32_e32 v29, 31, v29
	v_lshlrev_b32_e32 v28, 25, v4
	v_ashrrev_i32_e32 v5, 31, v5
	v_lshlrev_b32_e32 v8, 24, v4
	s_wait_alu 0xfffd
	v_xor_b32_e32 v3, vcc_lo, v3
	v_cmp_gt_i32_e32 vcc_lo, 0, v6
	v_not_b32_e32 v6, v7
	s_wait_alu 0xf1ff
	v_xor_b32_e32 v29, s0, v29
	v_cmp_gt_i32_e64 s0, 0, v7
	v_and_b32_e32 v3, exec_lo, v3
	v_not_b32_e32 v7, v9
	v_ashrrev_i32_e32 v6, 31, v6
	s_wait_alu 0xfffd
	v_xor_b32_e32 v5, vcc_lo, v5
	v_cmp_gt_i32_e32 vcc_lo, 0, v9
	v_and_b32_e32 v3, v3, v29
	v_not_b32_e32 v9, v27
	v_ashrrev_i32_e32 v7, 31, v7
	s_wait_alu 0xf1ff
	v_xor_b32_e32 v6, s0, v6
	v_cmp_gt_i32_e64 s0, 0, v27
	v_and_b32_e32 v3, v3, v5
	v_not_b32_e32 v5, v28
	v_ashrrev_i32_e32 v9, 31, v9
	s_wait_alu 0xfffd
	v_xor_b32_e32 v7, vcc_lo, v7
	v_cmp_gt_i32_e32 vcc_lo, 0, v28
	v_and_b32_e32 v3, v3, v6
	v_ashrrev_i32_e32 v5, 31, v5
	s_wait_alu 0xf1ff
	v_xor_b32_e32 v9, s0, v9
	v_not_b32_e32 v6, v8
	v_mad_u32_u24 v0, v0, s2, v2
	v_and_b32_e32 v3, v3, v7
	s_wait_alu 0xfffd
	v_xor_b32_e32 v5, vcc_lo, v5
	v_cmp_gt_i32_e64 s0, 0, v8
	v_ashrrev_i32_e32 v6, 31, v6
	v_mul_lo_u32 v4, 0x84, v4
	v_and_b32_e32 v3, v3, v9
	v_mul_u32_u24_e32 v29, 36, v1
	v_mov_b32_e32 v7, 0
	s_wait_alu 0xf1ff
	v_xor_b32_e32 v6, s0, v6
	ds_store_2addr_b32 v29, v7, v7 offset0:32 offset1:33
	ds_store_2addr_b32 v29, v7, v7 offset0:34 offset1:35
	;; [unrolled: 1-line block ×4, first 2 shown]
	v_and_b32_e32 v5, v3, v5
	s_wait_kmcnt 0x0
	v_mad_co_u64_u32 v[2:3], null, v0, s1, v[1:2]
	ds_store_b32 v29, v7 offset:160
	s_wait_storecnt 0x0
	s_wait_loadcnt_dscnt 0x0
	v_and_b32_e32 v3, v5, v6
	s_barrier_signal -1
	s_barrier_wait -1
	global_inv scope:SCOPE_SE
	v_lshrrev_b32_e32 v2, 3, v2
	v_mbcnt_lo_u32_b32 v0, v3, 0
	v_cmp_ne_u32_e64 s0, 0, v3
	; wave barrier
	s_delay_alu instid0(VALU_DEP_3) | instskip(NEXT) | instid1(VALU_DEP_3)
	v_and_b32_e32 v2, 0x1ffffffc, v2
	v_cmp_eq_u32_e32 vcc_lo, 0, v0
	s_delay_alu instid0(VALU_DEP_2)
	v_add_nc_u32_e32 v30, v2, v4
	s_and_b32 s1, s0, vcc_lo
	s_wait_alu 0xfffe
	s_and_saveexec_b32 s0, s1
; %bb.150:
	v_bcnt_u32_b32 v3, v3, 0
	ds_store_b32 v30, v3 offset:128
; %bb.151:
	s_wait_alu 0xfffe
	s_or_b32 exec_lo, exec_lo, s0
	v_lshrrev_b32_e32 v3, s40, v12
	; wave barrier
	s_delay_alu instid0(VALU_DEP_1) | instskip(NEXT) | instid1(VALU_DEP_1)
	v_and_b32_e32 v3, s9, v3
	v_and_b32_e32 v5, 1, v3
	v_lshlrev_b32_e32 v6, 30, v3
	v_lshlrev_b32_e32 v7, 29, v3
	;; [unrolled: 1-line block ×4, first 2 shown]
	v_add_co_u32 v5, s0, v5, -1
	s_wait_alu 0xf1ff
	v_cndmask_b32_e64 v9, 0, 1, s0
	v_not_b32_e32 v32, v6
	v_cmp_gt_i32_e64 s0, 0, v6
	v_not_b32_e32 v6, v7
	v_lshlrev_b32_e32 v28, 26, v3
	v_cmp_ne_u32_e32 vcc_lo, 0, v9
	v_ashrrev_i32_e32 v9, 31, v32
	v_lshlrev_b32_e32 v31, 25, v3
	v_ashrrev_i32_e32 v6, 31, v6
	v_mul_lo_u32 v4, 0x84, v3
	s_wait_alu 0xfffd
	v_xor_b32_e32 v5, vcc_lo, v5
	v_cmp_gt_i32_e32 vcc_lo, 0, v7
	v_not_b32_e32 v7, v8
	s_wait_alu 0xf1ff
	v_xor_b32_e32 v9, s0, v9
	v_cmp_gt_i32_e64 s0, 0, v8
	v_and_b32_e32 v5, exec_lo, v5
	v_not_b32_e32 v8, v27
	v_ashrrev_i32_e32 v7, 31, v7
	s_wait_alu 0xfffd
	v_xor_b32_e32 v6, vcc_lo, v6
	v_cmp_gt_i32_e32 vcc_lo, 0, v27
	v_and_b32_e32 v5, v5, v9
	v_not_b32_e32 v9, v28
	v_ashrrev_i32_e32 v8, 31, v8
	s_wait_alu 0xf1ff
	v_xor_b32_e32 v7, s0, v7
	v_lshlrev_b32_e32 v3, 24, v3
	v_and_b32_e32 v5, v5, v6
	v_cmp_gt_i32_e64 s0, 0, v28
	v_not_b32_e32 v6, v31
	v_ashrrev_i32_e32 v9, 31, v9
	s_wait_alu 0xfffd
	v_xor_b32_e32 v8, vcc_lo, v8
	v_and_b32_e32 v5, v5, v7
	v_cmp_gt_i32_e32 vcc_lo, 0, v31
	v_not_b32_e32 v7, v3
	v_ashrrev_i32_e32 v6, 31, v6
	s_wait_alu 0xf1ff
	v_xor_b32_e32 v9, s0, v9
	v_and_b32_e32 v5, v5, v8
	v_cmp_gt_i32_e64 s0, 0, v3
	v_ashrrev_i32_e32 v3, 31, v7
	s_wait_alu 0xfffd
	v_xor_b32_e32 v6, vcc_lo, v6
	v_add_nc_u32_e32 v33, v2, v4
	v_and_b32_e32 v5, v5, v9
	s_wait_alu 0xf1ff
	v_xor_b32_e32 v3, s0, v3
	ds_load_b32 v27, v33 offset:128
	v_and_b32_e32 v4, v5, v6
	; wave barrier
	s_delay_alu instid0(VALU_DEP_1) | instskip(NEXT) | instid1(VALU_DEP_1)
	v_and_b32_e32 v3, v4, v3
	v_mbcnt_lo_u32_b32 v28, v3, 0
	v_cmp_ne_u32_e64 s0, 0, v3
	s_delay_alu instid0(VALU_DEP_2)
	v_cmp_eq_u32_e32 vcc_lo, 0, v28
	s_and_b32 s1, s0, vcc_lo
	s_wait_alu 0xfffe
	s_and_saveexec_b32 s0, s1
	s_cbranch_execz .LBB226_153
; %bb.152:
	s_wait_dscnt 0x0
	v_bcnt_u32_b32 v3, v3, v27
	ds_store_b32 v33, v3 offset:128
.LBB226_153:
	s_wait_alu 0xfffe
	s_or_b32 exec_lo, exec_lo, s0
	v_lshrrev_b32_e32 v3, s40, v13
	; wave barrier
	s_delay_alu instid0(VALU_DEP_1) | instskip(NEXT) | instid1(VALU_DEP_1)
	v_and_b32_e32 v3, s9, v3
	v_and_b32_e32 v5, 1, v3
	v_lshlrev_b32_e32 v6, 30, v3
	v_lshlrev_b32_e32 v7, 29, v3
	;; [unrolled: 1-line block ×4, first 2 shown]
	v_add_co_u32 v5, s0, v5, -1
	s_wait_alu 0xf1ff
	v_cndmask_b32_e64 v9, 0, 1, s0
	v_not_b32_e32 v35, v6
	v_cmp_gt_i32_e64 s0, 0, v6
	v_not_b32_e32 v6, v7
	v_lshlrev_b32_e32 v32, 26, v3
	v_cmp_ne_u32_e32 vcc_lo, 0, v9
	v_ashrrev_i32_e32 v9, 31, v35
	v_lshlrev_b32_e32 v34, 25, v3
	v_ashrrev_i32_e32 v6, 31, v6
	v_mul_lo_u32 v4, 0x84, v3
	s_wait_alu 0xfffd
	v_xor_b32_e32 v5, vcc_lo, v5
	v_cmp_gt_i32_e32 vcc_lo, 0, v7
	v_not_b32_e32 v7, v8
	s_wait_alu 0xf1ff
	v_xor_b32_e32 v9, s0, v9
	v_cmp_gt_i32_e64 s0, 0, v8
	v_and_b32_e32 v5, exec_lo, v5
	v_not_b32_e32 v8, v31
	v_ashrrev_i32_e32 v7, 31, v7
	s_wait_alu 0xfffd
	v_xor_b32_e32 v6, vcc_lo, v6
	v_cmp_gt_i32_e32 vcc_lo, 0, v31
	v_and_b32_e32 v5, v5, v9
	v_not_b32_e32 v9, v32
	v_ashrrev_i32_e32 v8, 31, v8
	s_wait_alu 0xf1ff
	v_xor_b32_e32 v7, s0, v7
	v_lshlrev_b32_e32 v3, 24, v3
	v_and_b32_e32 v5, v5, v6
	v_cmp_gt_i32_e64 s0, 0, v32
	v_not_b32_e32 v6, v34
	v_ashrrev_i32_e32 v9, 31, v9
	s_wait_alu 0xfffd
	v_xor_b32_e32 v8, vcc_lo, v8
	v_and_b32_e32 v5, v5, v7
	v_cmp_gt_i32_e32 vcc_lo, 0, v34
	v_not_b32_e32 v7, v3
	v_ashrrev_i32_e32 v6, 31, v6
	s_wait_alu 0xf1ff
	v_xor_b32_e32 v9, s0, v9
	v_and_b32_e32 v5, v5, v8
	v_cmp_gt_i32_e64 s0, 0, v3
	v_ashrrev_i32_e32 v3, 31, v7
	s_wait_alu 0xfffd
	v_xor_b32_e32 v6, vcc_lo, v6
	v_add_nc_u32_e32 v37, v2, v4
	v_and_b32_e32 v5, v5, v9
	s_wait_alu 0xf1ff
	v_xor_b32_e32 v3, s0, v3
	ds_load_b32 v31, v37 offset:128
	v_and_b32_e32 v4, v5, v6
	; wave barrier
	s_delay_alu instid0(VALU_DEP_1) | instskip(NEXT) | instid1(VALU_DEP_1)
	v_and_b32_e32 v3, v4, v3
	v_mbcnt_lo_u32_b32 v32, v3, 0
	v_cmp_ne_u32_e64 s0, 0, v3
	s_delay_alu instid0(VALU_DEP_2)
	v_cmp_eq_u32_e32 vcc_lo, 0, v32
	s_and_b32 s1, s0, vcc_lo
	s_wait_alu 0xfffe
	s_and_saveexec_b32 s0, s1
	s_cbranch_execz .LBB226_155
; %bb.154:
	s_wait_dscnt 0x0
	v_bcnt_u32_b32 v3, v3, v31
	ds_store_b32 v37, v3 offset:128
.LBB226_155:
	s_wait_alu 0xfffe
	s_or_b32 exec_lo, exec_lo, s0
	v_lshrrev_b32_e32 v3, s40, v14
	; wave barrier
	s_delay_alu instid0(VALU_DEP_1) | instskip(NEXT) | instid1(VALU_DEP_1)
	v_and_b32_e32 v3, s9, v3
	v_and_b32_e32 v5, 1, v3
	v_lshlrev_b32_e32 v6, 30, v3
	v_lshlrev_b32_e32 v7, 29, v3
	;; [unrolled: 1-line block ×4, first 2 shown]
	v_add_co_u32 v5, s0, v5, -1
	s_wait_alu 0xf1ff
	v_cndmask_b32_e64 v9, 0, 1, s0
	v_not_b32_e32 v39, v6
	v_cmp_gt_i32_e64 s0, 0, v6
	v_not_b32_e32 v6, v7
	v_lshlrev_b32_e32 v35, 26, v3
	v_cmp_ne_u32_e32 vcc_lo, 0, v9
	v_ashrrev_i32_e32 v9, 31, v39
	v_lshlrev_b32_e32 v38, 25, v3
	v_ashrrev_i32_e32 v6, 31, v6
	v_mul_lo_u32 v4, 0x84, v3
	s_wait_alu 0xfffd
	v_xor_b32_e32 v5, vcc_lo, v5
	v_cmp_gt_i32_e32 vcc_lo, 0, v7
	v_not_b32_e32 v7, v8
	s_wait_alu 0xf1ff
	v_xor_b32_e32 v9, s0, v9
	v_cmp_gt_i32_e64 s0, 0, v8
	v_and_b32_e32 v5, exec_lo, v5
	v_not_b32_e32 v8, v34
	v_ashrrev_i32_e32 v7, 31, v7
	s_wait_alu 0xfffd
	v_xor_b32_e32 v6, vcc_lo, v6
	v_cmp_gt_i32_e32 vcc_lo, 0, v34
	v_and_b32_e32 v5, v5, v9
	v_not_b32_e32 v9, v35
	v_ashrrev_i32_e32 v8, 31, v8
	s_wait_alu 0xf1ff
	v_xor_b32_e32 v7, s0, v7
	v_lshlrev_b32_e32 v3, 24, v3
	v_and_b32_e32 v5, v5, v6
	v_cmp_gt_i32_e64 s0, 0, v35
	v_not_b32_e32 v6, v38
	v_ashrrev_i32_e32 v9, 31, v9
	s_wait_alu 0xfffd
	v_xor_b32_e32 v8, vcc_lo, v8
	v_and_b32_e32 v5, v5, v7
	v_cmp_gt_i32_e32 vcc_lo, 0, v38
	v_not_b32_e32 v7, v3
	v_ashrrev_i32_e32 v6, 31, v6
	s_wait_alu 0xf1ff
	v_xor_b32_e32 v9, s0, v9
	v_and_b32_e32 v5, v5, v8
	v_cmp_gt_i32_e64 s0, 0, v3
	v_ashrrev_i32_e32 v3, 31, v7
	s_wait_alu 0xfffd
	v_xor_b32_e32 v6, vcc_lo, v6
	v_add_nc_u32_e32 v40, v2, v4
	v_and_b32_e32 v5, v5, v9
	s_wait_alu 0xf1ff
	v_xor_b32_e32 v3, s0, v3
	ds_load_b32 v34, v40 offset:128
	v_and_b32_e32 v4, v5, v6
	; wave barrier
	s_delay_alu instid0(VALU_DEP_1) | instskip(NEXT) | instid1(VALU_DEP_1)
	v_and_b32_e32 v3, v4, v3
	v_mbcnt_lo_u32_b32 v35, v3, 0
	v_cmp_ne_u32_e64 s0, 0, v3
	s_delay_alu instid0(VALU_DEP_2)
	v_cmp_eq_u32_e32 vcc_lo, 0, v35
	s_and_b32 s1, s0, vcc_lo
	s_wait_alu 0xfffe
	s_and_saveexec_b32 s0, s1
	s_cbranch_execz .LBB226_157
; %bb.156:
	s_wait_dscnt 0x0
	v_bcnt_u32_b32 v3, v3, v34
	ds_store_b32 v40, v3 offset:128
.LBB226_157:
	s_wait_alu 0xfffe
	s_or_b32 exec_lo, exec_lo, s0
	v_lshrrev_b32_e32 v3, s40, v15
	; wave barrier
	s_delay_alu instid0(VALU_DEP_1) | instskip(NEXT) | instid1(VALU_DEP_1)
	v_and_b32_e32 v3, s9, v3
	v_and_b32_e32 v5, 1, v3
	v_lshlrev_b32_e32 v6, 30, v3
	v_lshlrev_b32_e32 v7, 29, v3
	;; [unrolled: 1-line block ×4, first 2 shown]
	v_add_co_u32 v5, s0, v5, -1
	s_wait_alu 0xf1ff
	v_cndmask_b32_e64 v9, 0, 1, s0
	v_not_b32_e32 v42, v6
	v_cmp_gt_i32_e64 s0, 0, v6
	v_not_b32_e32 v6, v7
	v_lshlrev_b32_e32 v39, 26, v3
	v_cmp_ne_u32_e32 vcc_lo, 0, v9
	v_ashrrev_i32_e32 v9, 31, v42
	v_lshlrev_b32_e32 v41, 25, v3
	v_ashrrev_i32_e32 v6, 31, v6
	v_mul_lo_u32 v4, 0x84, v3
	s_wait_alu 0xfffd
	v_xor_b32_e32 v5, vcc_lo, v5
	v_cmp_gt_i32_e32 vcc_lo, 0, v7
	v_not_b32_e32 v7, v8
	s_wait_alu 0xf1ff
	v_xor_b32_e32 v9, s0, v9
	v_cmp_gt_i32_e64 s0, 0, v8
	v_and_b32_e32 v5, exec_lo, v5
	v_not_b32_e32 v8, v38
	v_ashrrev_i32_e32 v7, 31, v7
	s_wait_alu 0xfffd
	v_xor_b32_e32 v6, vcc_lo, v6
	v_cmp_gt_i32_e32 vcc_lo, 0, v38
	v_and_b32_e32 v5, v5, v9
	v_not_b32_e32 v9, v39
	v_ashrrev_i32_e32 v8, 31, v8
	s_wait_alu 0xf1ff
	v_xor_b32_e32 v7, s0, v7
	v_lshlrev_b32_e32 v3, 24, v3
	v_and_b32_e32 v5, v5, v6
	v_cmp_gt_i32_e64 s0, 0, v39
	v_not_b32_e32 v6, v41
	v_ashrrev_i32_e32 v9, 31, v9
	s_wait_alu 0xfffd
	v_xor_b32_e32 v8, vcc_lo, v8
	v_and_b32_e32 v5, v5, v7
	v_cmp_gt_i32_e32 vcc_lo, 0, v41
	v_not_b32_e32 v7, v3
	v_ashrrev_i32_e32 v6, 31, v6
	s_wait_alu 0xf1ff
	v_xor_b32_e32 v9, s0, v9
	v_and_b32_e32 v5, v5, v8
	v_cmp_gt_i32_e64 s0, 0, v3
	v_ashrrev_i32_e32 v3, 31, v7
	s_wait_alu 0xfffd
	v_xor_b32_e32 v6, vcc_lo, v6
	v_add_nc_u32_e32 v43, v2, v4
	v_and_b32_e32 v5, v5, v9
	s_wait_alu 0xf1ff
	v_xor_b32_e32 v3, s0, v3
	ds_load_b32 v38, v43 offset:128
	v_and_b32_e32 v4, v5, v6
	; wave barrier
	s_delay_alu instid0(VALU_DEP_1) | instskip(NEXT) | instid1(VALU_DEP_1)
	v_and_b32_e32 v3, v4, v3
	v_mbcnt_lo_u32_b32 v39, v3, 0
	v_cmp_ne_u32_e64 s0, 0, v3
	s_delay_alu instid0(VALU_DEP_2)
	v_cmp_eq_u32_e32 vcc_lo, 0, v39
	s_and_b32 s1, s0, vcc_lo
	s_wait_alu 0xfffe
	s_and_saveexec_b32 s0, s1
	s_cbranch_execz .LBB226_159
; %bb.158:
	s_wait_dscnt 0x0
	v_bcnt_u32_b32 v3, v3, v38
	ds_store_b32 v43, v3 offset:128
.LBB226_159:
	s_wait_alu 0xfffe
	s_or_b32 exec_lo, exec_lo, s0
	v_lshrrev_b32_e32 v3, s40, v16
	; wave barrier
	s_delay_alu instid0(VALU_DEP_1) | instskip(NEXT) | instid1(VALU_DEP_1)
	v_and_b32_e32 v3, s9, v3
	v_and_b32_e32 v5, 1, v3
	v_lshlrev_b32_e32 v6, 30, v3
	v_lshlrev_b32_e32 v7, 29, v3
	;; [unrolled: 1-line block ×4, first 2 shown]
	v_add_co_u32 v5, s0, v5, -1
	s_wait_alu 0xf1ff
	v_cndmask_b32_e64 v9, 0, 1, s0
	v_not_b32_e32 v45, v6
	v_cmp_gt_i32_e64 s0, 0, v6
	v_not_b32_e32 v6, v7
	v_lshlrev_b32_e32 v42, 26, v3
	v_cmp_ne_u32_e32 vcc_lo, 0, v9
	v_ashrrev_i32_e32 v9, 31, v45
	v_lshlrev_b32_e32 v44, 25, v3
	v_ashrrev_i32_e32 v6, 31, v6
	v_mul_lo_u32 v4, 0x84, v3
	s_wait_alu 0xfffd
	v_xor_b32_e32 v5, vcc_lo, v5
	v_cmp_gt_i32_e32 vcc_lo, 0, v7
	v_not_b32_e32 v7, v8
	s_wait_alu 0xf1ff
	v_xor_b32_e32 v9, s0, v9
	v_cmp_gt_i32_e64 s0, 0, v8
	v_and_b32_e32 v5, exec_lo, v5
	v_not_b32_e32 v8, v41
	v_ashrrev_i32_e32 v7, 31, v7
	s_wait_alu 0xfffd
	v_xor_b32_e32 v6, vcc_lo, v6
	v_cmp_gt_i32_e32 vcc_lo, 0, v41
	v_and_b32_e32 v5, v5, v9
	v_not_b32_e32 v9, v42
	v_ashrrev_i32_e32 v8, 31, v8
	s_wait_alu 0xf1ff
	v_xor_b32_e32 v7, s0, v7
	v_lshlrev_b32_e32 v3, 24, v3
	v_and_b32_e32 v5, v5, v6
	v_cmp_gt_i32_e64 s0, 0, v42
	v_not_b32_e32 v6, v44
	v_ashrrev_i32_e32 v9, 31, v9
	s_wait_alu 0xfffd
	v_xor_b32_e32 v8, vcc_lo, v8
	v_and_b32_e32 v5, v5, v7
	v_cmp_gt_i32_e32 vcc_lo, 0, v44
	v_not_b32_e32 v7, v3
	v_ashrrev_i32_e32 v6, 31, v6
	s_wait_alu 0xf1ff
	v_xor_b32_e32 v9, s0, v9
	v_and_b32_e32 v5, v5, v8
	v_cmp_gt_i32_e64 s0, 0, v3
	v_ashrrev_i32_e32 v3, 31, v7
	s_wait_alu 0xfffd
	v_xor_b32_e32 v6, vcc_lo, v6
	v_add_nc_u32_e32 v46, v2, v4
	v_and_b32_e32 v5, v5, v9
	s_wait_alu 0xf1ff
	v_xor_b32_e32 v3, s0, v3
	ds_load_b32 v41, v46 offset:128
	v_and_b32_e32 v4, v5, v6
	; wave barrier
	s_delay_alu instid0(VALU_DEP_1) | instskip(NEXT) | instid1(VALU_DEP_1)
	v_and_b32_e32 v3, v4, v3
	v_mbcnt_lo_u32_b32 v42, v3, 0
	v_cmp_ne_u32_e64 s0, 0, v3
	s_delay_alu instid0(VALU_DEP_2)
	v_cmp_eq_u32_e32 vcc_lo, 0, v42
	s_and_b32 s1, s0, vcc_lo
	s_wait_alu 0xfffe
	s_and_saveexec_b32 s0, s1
	s_cbranch_execz .LBB226_161
; %bb.160:
	s_wait_dscnt 0x0
	v_bcnt_u32_b32 v3, v3, v41
	ds_store_b32 v46, v3 offset:128
.LBB226_161:
	s_wait_alu 0xfffe
	s_or_b32 exec_lo, exec_lo, s0
	v_lshrrev_b32_e32 v3, s40, v17
	; wave barrier
	s_delay_alu instid0(VALU_DEP_1) | instskip(NEXT) | instid1(VALU_DEP_1)
	v_and_b32_e32 v3, s9, v3
	v_and_b32_e32 v5, 1, v3
	v_lshlrev_b32_e32 v6, 30, v3
	v_lshlrev_b32_e32 v7, 29, v3
	;; [unrolled: 1-line block ×4, first 2 shown]
	v_add_co_u32 v5, s0, v5, -1
	s_wait_alu 0xf1ff
	v_cndmask_b32_e64 v9, 0, 1, s0
	v_not_b32_e32 v48, v6
	v_cmp_gt_i32_e64 s0, 0, v6
	v_not_b32_e32 v6, v7
	v_lshlrev_b32_e32 v45, 26, v3
	v_cmp_ne_u32_e32 vcc_lo, 0, v9
	v_ashrrev_i32_e32 v9, 31, v48
	v_lshlrev_b32_e32 v47, 25, v3
	v_ashrrev_i32_e32 v6, 31, v6
	v_mul_lo_u32 v4, 0x84, v3
	s_wait_alu 0xfffd
	v_xor_b32_e32 v5, vcc_lo, v5
	v_cmp_gt_i32_e32 vcc_lo, 0, v7
	v_not_b32_e32 v7, v8
	s_wait_alu 0xf1ff
	v_xor_b32_e32 v9, s0, v9
	v_cmp_gt_i32_e64 s0, 0, v8
	v_and_b32_e32 v5, exec_lo, v5
	v_not_b32_e32 v8, v44
	v_ashrrev_i32_e32 v7, 31, v7
	s_wait_alu 0xfffd
	v_xor_b32_e32 v6, vcc_lo, v6
	v_cmp_gt_i32_e32 vcc_lo, 0, v44
	v_and_b32_e32 v5, v5, v9
	v_not_b32_e32 v9, v45
	v_ashrrev_i32_e32 v8, 31, v8
	s_wait_alu 0xf1ff
	v_xor_b32_e32 v7, s0, v7
	v_lshlrev_b32_e32 v3, 24, v3
	v_and_b32_e32 v5, v5, v6
	v_cmp_gt_i32_e64 s0, 0, v45
	v_not_b32_e32 v6, v47
	v_ashrrev_i32_e32 v9, 31, v9
	s_wait_alu 0xfffd
	v_xor_b32_e32 v8, vcc_lo, v8
	v_and_b32_e32 v5, v5, v7
	v_cmp_gt_i32_e32 vcc_lo, 0, v47
	v_not_b32_e32 v7, v3
	v_ashrrev_i32_e32 v6, 31, v6
	s_wait_alu 0xf1ff
	v_xor_b32_e32 v9, s0, v9
	v_and_b32_e32 v5, v5, v8
	v_cmp_gt_i32_e64 s0, 0, v3
	v_ashrrev_i32_e32 v3, 31, v7
	s_wait_alu 0xfffd
	v_xor_b32_e32 v6, vcc_lo, v6
	v_add_nc_u32_e32 v49, v2, v4
	v_and_b32_e32 v5, v5, v9
	s_wait_alu 0xf1ff
	v_xor_b32_e32 v3, s0, v3
	ds_load_b32 v44, v49 offset:128
	v_and_b32_e32 v4, v5, v6
	; wave barrier
	s_delay_alu instid0(VALU_DEP_1) | instskip(NEXT) | instid1(VALU_DEP_1)
	v_and_b32_e32 v3, v4, v3
	v_mbcnt_lo_u32_b32 v45, v3, 0
	v_cmp_ne_u32_e64 s0, 0, v3
	s_delay_alu instid0(VALU_DEP_2)
	v_cmp_eq_u32_e32 vcc_lo, 0, v45
	s_and_b32 s1, s0, vcc_lo
	s_wait_alu 0xfffe
	s_and_saveexec_b32 s0, s1
	s_cbranch_execz .LBB226_163
; %bb.162:
	s_wait_dscnt 0x0
	v_bcnt_u32_b32 v3, v3, v44
	ds_store_b32 v49, v3 offset:128
.LBB226_163:
	s_wait_alu 0xfffe
	s_or_b32 exec_lo, exec_lo, s0
	v_lshrrev_b32_e32 v3, s40, v18
	; wave barrier
	s_delay_alu instid0(VALU_DEP_1) | instskip(NEXT) | instid1(VALU_DEP_1)
	v_and_b32_e32 v3, s9, v3
	v_and_b32_e32 v5, 1, v3
	v_lshlrev_b32_e32 v6, 30, v3
	v_lshlrev_b32_e32 v7, 29, v3
	;; [unrolled: 1-line block ×4, first 2 shown]
	v_add_co_u32 v5, s0, v5, -1
	s_wait_alu 0xf1ff
	v_cndmask_b32_e64 v9, 0, 1, s0
	v_not_b32_e32 v51, v6
	v_cmp_gt_i32_e64 s0, 0, v6
	v_not_b32_e32 v6, v7
	v_lshlrev_b32_e32 v48, 26, v3
	v_cmp_ne_u32_e32 vcc_lo, 0, v9
	v_ashrrev_i32_e32 v9, 31, v51
	v_lshlrev_b32_e32 v50, 25, v3
	v_ashrrev_i32_e32 v6, 31, v6
	v_mul_lo_u32 v4, 0x84, v3
	s_wait_alu 0xfffd
	v_xor_b32_e32 v5, vcc_lo, v5
	v_cmp_gt_i32_e32 vcc_lo, 0, v7
	v_not_b32_e32 v7, v8
	s_wait_alu 0xf1ff
	v_xor_b32_e32 v9, s0, v9
	v_cmp_gt_i32_e64 s0, 0, v8
	v_and_b32_e32 v5, exec_lo, v5
	v_not_b32_e32 v8, v47
	v_ashrrev_i32_e32 v7, 31, v7
	s_wait_alu 0xfffd
	v_xor_b32_e32 v6, vcc_lo, v6
	v_cmp_gt_i32_e32 vcc_lo, 0, v47
	v_and_b32_e32 v5, v5, v9
	v_not_b32_e32 v9, v48
	v_ashrrev_i32_e32 v8, 31, v8
	s_wait_alu 0xf1ff
	v_xor_b32_e32 v7, s0, v7
	v_lshlrev_b32_e32 v3, 24, v3
	v_and_b32_e32 v5, v5, v6
	v_cmp_gt_i32_e64 s0, 0, v48
	v_not_b32_e32 v6, v50
	v_ashrrev_i32_e32 v9, 31, v9
	s_wait_alu 0xfffd
	v_xor_b32_e32 v8, vcc_lo, v8
	v_and_b32_e32 v5, v5, v7
	v_cmp_gt_i32_e32 vcc_lo, 0, v50
	v_not_b32_e32 v7, v3
	v_ashrrev_i32_e32 v6, 31, v6
	s_wait_alu 0xf1ff
	v_xor_b32_e32 v9, s0, v9
	v_and_b32_e32 v5, v5, v8
	v_cmp_gt_i32_e64 s0, 0, v3
	v_ashrrev_i32_e32 v3, 31, v7
	s_wait_alu 0xfffd
	v_xor_b32_e32 v6, vcc_lo, v6
	v_add_nc_u32_e32 v52, v2, v4
	v_and_b32_e32 v5, v5, v9
	s_wait_alu 0xf1ff
	v_xor_b32_e32 v3, s0, v3
	ds_load_b32 v47, v52 offset:128
	v_and_b32_e32 v4, v5, v6
	; wave barrier
	s_delay_alu instid0(VALU_DEP_1) | instskip(NEXT) | instid1(VALU_DEP_1)
	v_and_b32_e32 v3, v4, v3
	v_mbcnt_lo_u32_b32 v48, v3, 0
	v_cmp_ne_u32_e64 s0, 0, v3
	s_delay_alu instid0(VALU_DEP_2)
	v_cmp_eq_u32_e32 vcc_lo, 0, v48
	s_and_b32 s1, s0, vcc_lo
	s_wait_alu 0xfffe
	s_and_saveexec_b32 s0, s1
	s_cbranch_execz .LBB226_165
; %bb.164:
	s_wait_dscnt 0x0
	v_bcnt_u32_b32 v3, v3, v47
	ds_store_b32 v52, v3 offset:128
.LBB226_165:
	s_wait_alu 0xfffe
	s_or_b32 exec_lo, exec_lo, s0
	v_lshrrev_b32_e32 v3, s40, v19
	; wave barrier
	s_delay_alu instid0(VALU_DEP_1) | instskip(NEXT) | instid1(VALU_DEP_1)
	v_and_b32_e32 v3, s9, v3
	v_and_b32_e32 v5, 1, v3
	v_lshlrev_b32_e32 v6, 30, v3
	v_lshlrev_b32_e32 v7, 29, v3
	;; [unrolled: 1-line block ×4, first 2 shown]
	v_add_co_u32 v5, s0, v5, -1
	s_wait_alu 0xf1ff
	v_cndmask_b32_e64 v9, 0, 1, s0
	v_not_b32_e32 v54, v6
	v_cmp_gt_i32_e64 s0, 0, v6
	v_not_b32_e32 v6, v7
	v_lshlrev_b32_e32 v51, 26, v3
	v_cmp_ne_u32_e32 vcc_lo, 0, v9
	v_ashrrev_i32_e32 v9, 31, v54
	v_lshlrev_b32_e32 v53, 25, v3
	v_ashrrev_i32_e32 v6, 31, v6
	v_mul_lo_u32 v4, 0x84, v3
	s_wait_alu 0xfffd
	v_xor_b32_e32 v5, vcc_lo, v5
	v_cmp_gt_i32_e32 vcc_lo, 0, v7
	v_not_b32_e32 v7, v8
	s_wait_alu 0xf1ff
	v_xor_b32_e32 v9, s0, v9
	v_cmp_gt_i32_e64 s0, 0, v8
	v_and_b32_e32 v5, exec_lo, v5
	v_not_b32_e32 v8, v50
	v_ashrrev_i32_e32 v7, 31, v7
	s_wait_alu 0xfffd
	v_xor_b32_e32 v6, vcc_lo, v6
	v_cmp_gt_i32_e32 vcc_lo, 0, v50
	v_and_b32_e32 v5, v5, v9
	v_not_b32_e32 v9, v51
	v_ashrrev_i32_e32 v8, 31, v8
	s_wait_alu 0xf1ff
	v_xor_b32_e32 v7, s0, v7
	v_lshlrev_b32_e32 v3, 24, v3
	v_and_b32_e32 v5, v5, v6
	v_cmp_gt_i32_e64 s0, 0, v51
	v_not_b32_e32 v6, v53
	v_ashrrev_i32_e32 v9, 31, v9
	s_wait_alu 0xfffd
	v_xor_b32_e32 v8, vcc_lo, v8
	v_and_b32_e32 v5, v5, v7
	v_cmp_gt_i32_e32 vcc_lo, 0, v53
	v_not_b32_e32 v7, v3
	v_ashrrev_i32_e32 v6, 31, v6
	s_wait_alu 0xf1ff
	v_xor_b32_e32 v9, s0, v9
	v_and_b32_e32 v5, v5, v8
	v_cmp_gt_i32_e64 s0, 0, v3
	v_ashrrev_i32_e32 v3, 31, v7
	s_wait_alu 0xfffd
	v_xor_b32_e32 v6, vcc_lo, v6
	v_add_nc_u32_e32 v55, v2, v4
	v_and_b32_e32 v5, v5, v9
	s_wait_alu 0xf1ff
	v_xor_b32_e32 v3, s0, v3
	ds_load_b32 v50, v55 offset:128
	v_and_b32_e32 v4, v5, v6
	; wave barrier
	s_delay_alu instid0(VALU_DEP_1) | instskip(NEXT) | instid1(VALU_DEP_1)
	v_and_b32_e32 v3, v4, v3
	v_mbcnt_lo_u32_b32 v51, v3, 0
	v_cmp_ne_u32_e64 s0, 0, v3
	s_delay_alu instid0(VALU_DEP_2)
	v_cmp_eq_u32_e32 vcc_lo, 0, v51
	s_and_b32 s1, s0, vcc_lo
	s_wait_alu 0xfffe
	s_and_saveexec_b32 s0, s1
	s_cbranch_execz .LBB226_167
; %bb.166:
	s_wait_dscnt 0x0
	v_bcnt_u32_b32 v3, v3, v50
	ds_store_b32 v55, v3 offset:128
.LBB226_167:
	s_wait_alu 0xfffe
	s_or_b32 exec_lo, exec_lo, s0
	v_lshrrev_b32_e32 v3, s40, v20
	; wave barrier
	s_delay_alu instid0(VALU_DEP_1) | instskip(NEXT) | instid1(VALU_DEP_1)
	v_and_b32_e32 v3, s9, v3
	v_and_b32_e32 v5, 1, v3
	v_lshlrev_b32_e32 v6, 30, v3
	v_lshlrev_b32_e32 v7, 29, v3
	v_lshlrev_b32_e32 v8, 28, v3
	v_lshlrev_b32_e32 v53, 27, v3
	v_add_co_u32 v5, s0, v5, -1
	s_wait_alu 0xf1ff
	v_cndmask_b32_e64 v9, 0, 1, s0
	v_not_b32_e32 v57, v6
	v_cmp_gt_i32_e64 s0, 0, v6
	v_not_b32_e32 v6, v7
	v_lshlrev_b32_e32 v54, 26, v3
	v_cmp_ne_u32_e32 vcc_lo, 0, v9
	v_ashrrev_i32_e32 v9, 31, v57
	v_lshlrev_b32_e32 v56, 25, v3
	v_ashrrev_i32_e32 v6, 31, v6
	v_mul_lo_u32 v4, 0x84, v3
	s_wait_alu 0xfffd
	v_xor_b32_e32 v5, vcc_lo, v5
	v_cmp_gt_i32_e32 vcc_lo, 0, v7
	v_not_b32_e32 v7, v8
	s_wait_alu 0xf1ff
	v_xor_b32_e32 v9, s0, v9
	v_cmp_gt_i32_e64 s0, 0, v8
	v_and_b32_e32 v5, exec_lo, v5
	v_not_b32_e32 v8, v53
	v_ashrrev_i32_e32 v7, 31, v7
	s_wait_alu 0xfffd
	v_xor_b32_e32 v6, vcc_lo, v6
	v_cmp_gt_i32_e32 vcc_lo, 0, v53
	v_and_b32_e32 v5, v5, v9
	v_not_b32_e32 v9, v54
	v_ashrrev_i32_e32 v8, 31, v8
	s_wait_alu 0xf1ff
	v_xor_b32_e32 v7, s0, v7
	v_lshlrev_b32_e32 v3, 24, v3
	v_and_b32_e32 v5, v5, v6
	v_cmp_gt_i32_e64 s0, 0, v54
	v_not_b32_e32 v6, v56
	v_ashrrev_i32_e32 v9, 31, v9
	s_wait_alu 0xfffd
	v_xor_b32_e32 v8, vcc_lo, v8
	v_and_b32_e32 v5, v5, v7
	v_cmp_gt_i32_e32 vcc_lo, 0, v56
	v_not_b32_e32 v7, v3
	v_ashrrev_i32_e32 v6, 31, v6
	s_wait_alu 0xf1ff
	v_xor_b32_e32 v9, s0, v9
	v_and_b32_e32 v5, v5, v8
	v_cmp_gt_i32_e64 s0, 0, v3
	v_ashrrev_i32_e32 v3, 31, v7
	s_wait_alu 0xfffd
	v_xor_b32_e32 v6, vcc_lo, v6
	v_add_nc_u32_e32 v59, v2, v4
	v_and_b32_e32 v5, v5, v9
	s_wait_alu 0xf1ff
	v_xor_b32_e32 v3, s0, v3
	ds_load_b32 v53, v59 offset:128
	v_and_b32_e32 v4, v5, v6
	; wave barrier
	s_delay_alu instid0(VALU_DEP_1) | instskip(NEXT) | instid1(VALU_DEP_1)
	v_and_b32_e32 v3, v4, v3
	v_mbcnt_lo_u32_b32 v54, v3, 0
	v_cmp_ne_u32_e64 s0, 0, v3
	s_delay_alu instid0(VALU_DEP_2)
	v_cmp_eq_u32_e32 vcc_lo, 0, v54
	s_and_b32 s1, s0, vcc_lo
	s_wait_alu 0xfffe
	s_and_saveexec_b32 s0, s1
	s_cbranch_execz .LBB226_169
; %bb.168:
	s_wait_dscnt 0x0
	v_bcnt_u32_b32 v3, v3, v53
	ds_store_b32 v59, v3 offset:128
.LBB226_169:
	s_wait_alu 0xfffe
	s_or_b32 exec_lo, exec_lo, s0
	v_lshrrev_b32_e32 v3, s40, v21
	; wave barrier
	s_delay_alu instid0(VALU_DEP_1) | instskip(NEXT) | instid1(VALU_DEP_1)
	v_and_b32_e32 v3, s9, v3
	v_and_b32_e32 v5, 1, v3
	v_lshlrev_b32_e32 v6, 30, v3
	v_lshlrev_b32_e32 v7, 29, v3
	;; [unrolled: 1-line block ×4, first 2 shown]
	v_add_co_u32 v5, s0, v5, -1
	s_wait_alu 0xf1ff
	v_cndmask_b32_e64 v9, 0, 1, s0
	v_not_b32_e32 v60, v6
	v_cmp_gt_i32_e64 s0, 0, v6
	v_not_b32_e32 v6, v7
	v_lshlrev_b32_e32 v57, 26, v3
	v_cmp_ne_u32_e32 vcc_lo, 0, v9
	v_ashrrev_i32_e32 v9, 31, v60
	v_lshlrev_b32_e32 v58, 25, v3
	v_ashrrev_i32_e32 v6, 31, v6
	v_mul_lo_u32 v4, 0x84, v3
	s_wait_alu 0xfffd
	v_xor_b32_e32 v5, vcc_lo, v5
	v_cmp_gt_i32_e32 vcc_lo, 0, v7
	v_not_b32_e32 v7, v8
	s_wait_alu 0xf1ff
	v_xor_b32_e32 v9, s0, v9
	v_cmp_gt_i32_e64 s0, 0, v8
	v_and_b32_e32 v5, exec_lo, v5
	v_not_b32_e32 v8, v56
	v_ashrrev_i32_e32 v7, 31, v7
	s_wait_alu 0xfffd
	v_xor_b32_e32 v6, vcc_lo, v6
	v_cmp_gt_i32_e32 vcc_lo, 0, v56
	v_and_b32_e32 v5, v5, v9
	v_not_b32_e32 v9, v57
	v_ashrrev_i32_e32 v8, 31, v8
	s_wait_alu 0xf1ff
	v_xor_b32_e32 v7, s0, v7
	v_lshlrev_b32_e32 v3, 24, v3
	v_and_b32_e32 v5, v5, v6
	v_cmp_gt_i32_e64 s0, 0, v57
	v_not_b32_e32 v6, v58
	v_ashrrev_i32_e32 v9, 31, v9
	s_wait_alu 0xfffd
	v_xor_b32_e32 v8, vcc_lo, v8
	v_and_b32_e32 v5, v5, v7
	v_cmp_gt_i32_e32 vcc_lo, 0, v58
	v_not_b32_e32 v7, v3
	v_ashrrev_i32_e32 v6, 31, v6
	s_wait_alu 0xf1ff
	v_xor_b32_e32 v9, s0, v9
	v_and_b32_e32 v5, v5, v8
	v_cmp_gt_i32_e64 s0, 0, v3
	v_ashrrev_i32_e32 v3, 31, v7
	s_wait_alu 0xfffd
	v_xor_b32_e32 v6, vcc_lo, v6
	v_add_nc_u32_e32 v62, v2, v4
	v_and_b32_e32 v5, v5, v9
	s_wait_alu 0xf1ff
	v_xor_b32_e32 v3, s0, v3
	ds_load_b32 v56, v62 offset:128
	v_and_b32_e32 v4, v5, v6
	; wave barrier
	s_delay_alu instid0(VALU_DEP_1) | instskip(NEXT) | instid1(VALU_DEP_1)
	v_and_b32_e32 v3, v4, v3
	v_mbcnt_lo_u32_b32 v57, v3, 0
	v_cmp_ne_u32_e64 s0, 0, v3
	s_delay_alu instid0(VALU_DEP_2)
	v_cmp_eq_u32_e32 vcc_lo, 0, v57
	s_and_b32 s1, s0, vcc_lo
	s_wait_alu 0xfffe
	s_and_saveexec_b32 s0, s1
	s_cbranch_execz .LBB226_171
; %bb.170:
	s_wait_dscnt 0x0
	v_bcnt_u32_b32 v3, v3, v56
	ds_store_b32 v62, v3 offset:128
.LBB226_171:
	s_wait_alu 0xfffe
	s_or_b32 exec_lo, exec_lo, s0
	v_lshrrev_b32_e32 v3, s40, v22
	; wave barrier
	s_delay_alu instid0(VALU_DEP_1) | instskip(NEXT) | instid1(VALU_DEP_1)
	v_and_b32_e32 v3, s9, v3
	v_and_b32_e32 v5, 1, v3
	v_lshlrev_b32_e32 v6, 30, v3
	v_lshlrev_b32_e32 v7, 29, v3
	;; [unrolled: 1-line block ×4, first 2 shown]
	v_add_co_u32 v5, s0, v5, -1
	s_wait_alu 0xf1ff
	v_cndmask_b32_e64 v9, 0, 1, s0
	v_not_b32_e32 v63, v6
	v_cmp_gt_i32_e64 s0, 0, v6
	v_not_b32_e32 v6, v7
	v_lshlrev_b32_e32 v60, 26, v3
	v_cmp_ne_u32_e32 vcc_lo, 0, v9
	v_ashrrev_i32_e32 v9, 31, v63
	v_lshlrev_b32_e32 v61, 25, v3
	v_ashrrev_i32_e32 v6, 31, v6
	v_mul_lo_u32 v4, 0x84, v3
	s_wait_alu 0xfffd
	v_xor_b32_e32 v5, vcc_lo, v5
	v_cmp_gt_i32_e32 vcc_lo, 0, v7
	v_not_b32_e32 v7, v8
	s_wait_alu 0xf1ff
	v_xor_b32_e32 v9, s0, v9
	v_cmp_gt_i32_e64 s0, 0, v8
	v_and_b32_e32 v5, exec_lo, v5
	v_not_b32_e32 v8, v58
	v_ashrrev_i32_e32 v7, 31, v7
	s_wait_alu 0xfffd
	v_xor_b32_e32 v6, vcc_lo, v6
	v_cmp_gt_i32_e32 vcc_lo, 0, v58
	v_and_b32_e32 v5, v5, v9
	v_not_b32_e32 v9, v60
	v_ashrrev_i32_e32 v8, 31, v8
	s_wait_alu 0xf1ff
	v_xor_b32_e32 v7, s0, v7
	v_lshlrev_b32_e32 v3, 24, v3
	v_and_b32_e32 v5, v5, v6
	v_cmp_gt_i32_e64 s0, 0, v60
	v_not_b32_e32 v6, v61
	v_ashrrev_i32_e32 v9, 31, v9
	s_wait_alu 0xfffd
	v_xor_b32_e32 v8, vcc_lo, v8
	v_and_b32_e32 v5, v5, v7
	v_cmp_gt_i32_e32 vcc_lo, 0, v61
	v_not_b32_e32 v7, v3
	v_ashrrev_i32_e32 v6, 31, v6
	s_wait_alu 0xf1ff
	v_xor_b32_e32 v9, s0, v9
	v_and_b32_e32 v5, v5, v8
	v_cmp_gt_i32_e64 s0, 0, v3
	v_ashrrev_i32_e32 v3, 31, v7
	s_wait_alu 0xfffd
	v_xor_b32_e32 v6, vcc_lo, v6
	v_add_nc_u32_e32 v65, v2, v4
	v_and_b32_e32 v5, v5, v9
	s_wait_alu 0xf1ff
	v_xor_b32_e32 v3, s0, v3
	ds_load_b32 v60, v65 offset:128
	v_and_b32_e32 v4, v5, v6
	; wave barrier
	s_delay_alu instid0(VALU_DEP_1) | instskip(NEXT) | instid1(VALU_DEP_1)
	v_and_b32_e32 v3, v4, v3
	v_mbcnt_lo_u32_b32 v61, v3, 0
	v_cmp_ne_u32_e64 s0, 0, v3
	s_delay_alu instid0(VALU_DEP_2)
	v_cmp_eq_u32_e32 vcc_lo, 0, v61
	s_and_b32 s1, s0, vcc_lo
	s_wait_alu 0xfffe
	s_and_saveexec_b32 s0, s1
	s_cbranch_execz .LBB226_173
; %bb.172:
	s_wait_dscnt 0x0
	v_bcnt_u32_b32 v3, v3, v60
	ds_store_b32 v65, v3 offset:128
.LBB226_173:
	s_wait_alu 0xfffe
	s_or_b32 exec_lo, exec_lo, s0
	v_lshrrev_b32_e32 v3, s40, v23
	; wave barrier
	s_delay_alu instid0(VALU_DEP_1) | instskip(NEXT) | instid1(VALU_DEP_1)
	v_and_b32_e32 v3, s9, v3
	v_and_b32_e32 v5, 1, v3
	v_lshlrev_b32_e32 v6, 30, v3
	v_lshlrev_b32_e32 v7, 29, v3
	;; [unrolled: 1-line block ×4, first 2 shown]
	v_add_co_u32 v5, s0, v5, -1
	s_wait_alu 0xf1ff
	v_cndmask_b32_e64 v9, 0, 1, s0
	v_not_b32_e32 v66, v6
	v_cmp_gt_i32_e64 s0, 0, v6
	v_not_b32_e32 v6, v7
	v_lshlrev_b32_e32 v63, 26, v3
	v_cmp_ne_u32_e32 vcc_lo, 0, v9
	v_ashrrev_i32_e32 v9, 31, v66
	v_lshlrev_b32_e32 v64, 25, v3
	v_ashrrev_i32_e32 v6, 31, v6
	v_mul_lo_u32 v4, 0x84, v3
	s_wait_alu 0xfffd
	v_xor_b32_e32 v5, vcc_lo, v5
	v_cmp_gt_i32_e32 vcc_lo, 0, v7
	v_not_b32_e32 v7, v8
	s_wait_alu 0xf1ff
	v_xor_b32_e32 v9, s0, v9
	v_cmp_gt_i32_e64 s0, 0, v8
	v_and_b32_e32 v5, exec_lo, v5
	v_not_b32_e32 v8, v58
	v_ashrrev_i32_e32 v7, 31, v7
	s_wait_alu 0xfffd
	v_xor_b32_e32 v6, vcc_lo, v6
	v_cmp_gt_i32_e32 vcc_lo, 0, v58
	v_and_b32_e32 v5, v5, v9
	v_not_b32_e32 v9, v63
	v_ashrrev_i32_e32 v8, 31, v8
	s_wait_alu 0xf1ff
	v_xor_b32_e32 v7, s0, v7
	v_lshlrev_b32_e32 v3, 24, v3
	v_and_b32_e32 v5, v5, v6
	v_cmp_gt_i32_e64 s0, 0, v63
	v_not_b32_e32 v6, v64
	v_ashrrev_i32_e32 v9, 31, v9
	s_wait_alu 0xfffd
	v_xor_b32_e32 v8, vcc_lo, v8
	v_and_b32_e32 v5, v5, v7
	v_cmp_gt_i32_e32 vcc_lo, 0, v64
	v_not_b32_e32 v7, v3
	v_ashrrev_i32_e32 v6, 31, v6
	s_wait_alu 0xf1ff
	v_xor_b32_e32 v9, s0, v9
	v_and_b32_e32 v5, v5, v8
	v_cmp_gt_i32_e64 s0, 0, v3
	v_ashrrev_i32_e32 v3, 31, v7
	s_wait_alu 0xfffd
	v_xor_b32_e32 v6, vcc_lo, v6
	v_add_nc_u32_e32 v68, v2, v4
	v_and_b32_e32 v5, v5, v9
	s_wait_alu 0xf1ff
	v_xor_b32_e32 v3, s0, v3
	ds_load_b32 v63, v68 offset:128
	v_and_b32_e32 v4, v5, v6
	; wave barrier
	s_delay_alu instid0(VALU_DEP_1) | instskip(NEXT) | instid1(VALU_DEP_1)
	v_and_b32_e32 v3, v4, v3
	v_mbcnt_lo_u32_b32 v64, v3, 0
	v_cmp_ne_u32_e64 s0, 0, v3
	s_delay_alu instid0(VALU_DEP_2)
	v_cmp_eq_u32_e32 vcc_lo, 0, v64
	s_and_b32 s1, s0, vcc_lo
	s_wait_alu 0xfffe
	s_and_saveexec_b32 s0, s1
	s_cbranch_execz .LBB226_175
; %bb.174:
	s_wait_dscnt 0x0
	v_bcnt_u32_b32 v3, v3, v63
	ds_store_b32 v68, v3 offset:128
.LBB226_175:
	s_wait_alu 0xfffe
	s_or_b32 exec_lo, exec_lo, s0
	v_lshrrev_b32_e32 v3, s40, v24
	; wave barrier
	s_delay_alu instid0(VALU_DEP_1) | instskip(NEXT) | instid1(VALU_DEP_1)
	v_and_b32_e32 v3, s9, v3
	v_and_b32_e32 v5, 1, v3
	v_lshlrev_b32_e32 v6, 30, v3
	v_lshlrev_b32_e32 v7, 29, v3
	;; [unrolled: 1-line block ×4, first 2 shown]
	v_add_co_u32 v5, s0, v5, -1
	s_wait_alu 0xf1ff
	v_cndmask_b32_e64 v9, 0, 1, s0
	v_not_b32_e32 v69, v6
	v_cmp_gt_i32_e64 s0, 0, v6
	v_not_b32_e32 v6, v7
	v_lshlrev_b32_e32 v66, 26, v3
	v_cmp_ne_u32_e32 vcc_lo, 0, v9
	v_ashrrev_i32_e32 v9, 31, v69
	v_lshlrev_b32_e32 v67, 25, v3
	v_ashrrev_i32_e32 v6, 31, v6
	v_mul_lo_u32 v4, 0x84, v3
	s_wait_alu 0xfffd
	v_xor_b32_e32 v5, vcc_lo, v5
	v_cmp_gt_i32_e32 vcc_lo, 0, v7
	v_not_b32_e32 v7, v8
	s_wait_alu 0xf1ff
	v_xor_b32_e32 v9, s0, v9
	v_cmp_gt_i32_e64 s0, 0, v8
	v_and_b32_e32 v5, exec_lo, v5
	v_not_b32_e32 v8, v58
	v_ashrrev_i32_e32 v7, 31, v7
	s_wait_alu 0xfffd
	v_xor_b32_e32 v6, vcc_lo, v6
	v_cmp_gt_i32_e32 vcc_lo, 0, v58
	v_and_b32_e32 v5, v5, v9
	v_not_b32_e32 v9, v66
	v_ashrrev_i32_e32 v8, 31, v8
	s_wait_alu 0xf1ff
	v_xor_b32_e32 v7, s0, v7
	v_lshlrev_b32_e32 v3, 24, v3
	v_and_b32_e32 v5, v5, v6
	v_cmp_gt_i32_e64 s0, 0, v66
	v_not_b32_e32 v6, v67
	v_ashrrev_i32_e32 v9, 31, v9
	s_wait_alu 0xfffd
	v_xor_b32_e32 v8, vcc_lo, v8
	v_and_b32_e32 v5, v5, v7
	v_cmp_gt_i32_e32 vcc_lo, 0, v67
	v_not_b32_e32 v7, v3
	v_ashrrev_i32_e32 v6, 31, v6
	s_wait_alu 0xf1ff
	v_xor_b32_e32 v9, s0, v9
	v_and_b32_e32 v5, v5, v8
	v_cmp_gt_i32_e64 s0, 0, v3
	v_ashrrev_i32_e32 v3, 31, v7
	s_wait_alu 0xfffd
	v_xor_b32_e32 v6, vcc_lo, v6
	v_add_nc_u32_e32 v71, v2, v4
	v_and_b32_e32 v5, v5, v9
	s_wait_alu 0xf1ff
	v_xor_b32_e32 v3, s0, v3
	ds_load_b32 v66, v71 offset:128
	v_and_b32_e32 v4, v5, v6
	; wave barrier
	s_delay_alu instid0(VALU_DEP_1) | instskip(NEXT) | instid1(VALU_DEP_1)
	v_and_b32_e32 v3, v4, v3
	v_mbcnt_lo_u32_b32 v67, v3, 0
	v_cmp_ne_u32_e64 s0, 0, v3
	s_delay_alu instid0(VALU_DEP_2)
	v_cmp_eq_u32_e32 vcc_lo, 0, v67
	s_and_b32 s1, s0, vcc_lo
	s_wait_alu 0xfffe
	s_and_saveexec_b32 s0, s1
	s_cbranch_execz .LBB226_177
; %bb.176:
	s_wait_dscnt 0x0
	v_bcnt_u32_b32 v3, v3, v66
	ds_store_b32 v71, v3 offset:128
.LBB226_177:
	s_wait_alu 0xfffe
	s_or_b32 exec_lo, exec_lo, s0
	v_lshrrev_b32_e32 v3, s40, v25
	; wave barrier
	s_delay_alu instid0(VALU_DEP_1) | instskip(NEXT) | instid1(VALU_DEP_1)
	v_and_b32_e32 v3, s9, v3
	v_and_b32_e32 v5, 1, v3
	v_lshlrev_b32_e32 v6, 30, v3
	v_lshlrev_b32_e32 v7, 29, v3
	;; [unrolled: 1-line block ×4, first 2 shown]
	v_add_co_u32 v5, s0, v5, -1
	s_wait_alu 0xf1ff
	v_cndmask_b32_e64 v9, 0, 1, s0
	v_not_b32_e32 v72, v6
	v_cmp_gt_i32_e64 s0, 0, v6
	v_not_b32_e32 v6, v7
	v_lshlrev_b32_e32 v69, 26, v3
	v_cmp_ne_u32_e32 vcc_lo, 0, v9
	v_ashrrev_i32_e32 v9, 31, v72
	v_lshlrev_b32_e32 v70, 25, v3
	v_ashrrev_i32_e32 v6, 31, v6
	v_mul_lo_u32 v4, 0x84, v3
	s_wait_alu 0xfffd
	v_xor_b32_e32 v5, vcc_lo, v5
	v_cmp_gt_i32_e32 vcc_lo, 0, v7
	v_not_b32_e32 v7, v8
	s_wait_alu 0xf1ff
	v_xor_b32_e32 v9, s0, v9
	v_cmp_gt_i32_e64 s0, 0, v8
	v_and_b32_e32 v5, exec_lo, v5
	v_not_b32_e32 v8, v58
	v_ashrrev_i32_e32 v7, 31, v7
	s_wait_alu 0xfffd
	v_xor_b32_e32 v6, vcc_lo, v6
	v_cmp_gt_i32_e32 vcc_lo, 0, v58
	v_and_b32_e32 v5, v5, v9
	v_not_b32_e32 v9, v69
	v_ashrrev_i32_e32 v8, 31, v8
	s_wait_alu 0xf1ff
	v_xor_b32_e32 v7, s0, v7
	v_lshlrev_b32_e32 v3, 24, v3
	v_and_b32_e32 v5, v5, v6
	v_cmp_gt_i32_e64 s0, 0, v69
	v_not_b32_e32 v6, v70
	v_ashrrev_i32_e32 v9, 31, v9
	s_wait_alu 0xfffd
	v_xor_b32_e32 v8, vcc_lo, v8
	v_and_b32_e32 v5, v5, v7
	v_cmp_gt_i32_e32 vcc_lo, 0, v70
	v_not_b32_e32 v7, v3
	v_ashrrev_i32_e32 v6, 31, v6
	s_wait_alu 0xf1ff
	v_xor_b32_e32 v9, s0, v9
	v_and_b32_e32 v5, v5, v8
	v_cmp_gt_i32_e64 s0, 0, v3
	v_ashrrev_i32_e32 v3, 31, v7
	s_wait_alu 0xfffd
	v_xor_b32_e32 v6, vcc_lo, v6
	v_add_nc_u32_e32 v74, v2, v4
	v_and_b32_e32 v5, v5, v9
	s_wait_alu 0xf1ff
	v_xor_b32_e32 v3, s0, v3
	ds_load_b32 v69, v74 offset:128
	v_and_b32_e32 v4, v5, v6
	; wave barrier
	s_delay_alu instid0(VALU_DEP_1) | instskip(NEXT) | instid1(VALU_DEP_1)
	v_and_b32_e32 v3, v4, v3
	v_mbcnt_lo_u32_b32 v70, v3, 0
	v_cmp_ne_u32_e64 s0, 0, v3
	s_delay_alu instid0(VALU_DEP_2)
	v_cmp_eq_u32_e32 vcc_lo, 0, v70
	s_and_b32 s1, s0, vcc_lo
	s_wait_alu 0xfffe
	s_and_saveexec_b32 s0, s1
	s_cbranch_execz .LBB226_179
; %bb.178:
	s_wait_dscnt 0x0
	v_bcnt_u32_b32 v3, v3, v69
	ds_store_b32 v74, v3 offset:128
.LBB226_179:
	s_wait_alu 0xfffe
	s_or_b32 exec_lo, exec_lo, s0
	v_lshrrev_b32_e32 v3, s40, v26
	; wave barrier
	s_delay_alu instid0(VALU_DEP_1) | instskip(NEXT) | instid1(VALU_DEP_1)
	v_and_b32_e32 v3, s9, v3
	v_and_b32_e32 v5, 1, v3
	v_lshlrev_b32_e32 v6, 30, v3
	v_lshlrev_b32_e32 v7, 29, v3
	;; [unrolled: 1-line block ×4, first 2 shown]
	v_add_co_u32 v5, s0, v5, -1
	s_wait_alu 0xf1ff
	v_cndmask_b32_e64 v9, 0, 1, s0
	v_not_b32_e32 v75, v6
	v_cmp_gt_i32_e64 s0, 0, v6
	v_not_b32_e32 v6, v7
	v_lshlrev_b32_e32 v72, 26, v3
	v_cmp_ne_u32_e32 vcc_lo, 0, v9
	v_ashrrev_i32_e32 v9, 31, v75
	v_lshlrev_b32_e32 v73, 25, v3
	v_ashrrev_i32_e32 v6, 31, v6
	v_mul_lo_u32 v4, 0x84, v3
	s_wait_alu 0xfffd
	v_xor_b32_e32 v5, vcc_lo, v5
	v_cmp_gt_i32_e32 vcc_lo, 0, v7
	v_not_b32_e32 v7, v8
	s_wait_alu 0xf1ff
	v_xor_b32_e32 v9, s0, v9
	v_cmp_gt_i32_e64 s0, 0, v8
	v_and_b32_e32 v5, exec_lo, v5
	v_not_b32_e32 v8, v58
	v_ashrrev_i32_e32 v7, 31, v7
	s_wait_alu 0xfffd
	v_xor_b32_e32 v6, vcc_lo, v6
	v_cmp_gt_i32_e32 vcc_lo, 0, v58
	v_and_b32_e32 v5, v5, v9
	v_not_b32_e32 v9, v72
	v_ashrrev_i32_e32 v8, 31, v8
	s_wait_alu 0xf1ff
	v_xor_b32_e32 v7, s0, v7
	v_lshlrev_b32_e32 v3, 24, v3
	v_and_b32_e32 v5, v5, v6
	v_cmp_gt_i32_e64 s0, 0, v72
	v_not_b32_e32 v6, v73
	v_ashrrev_i32_e32 v9, 31, v9
	s_wait_alu 0xfffd
	v_xor_b32_e32 v8, vcc_lo, v8
	v_and_b32_e32 v5, v5, v7
	v_cmp_gt_i32_e32 vcc_lo, 0, v73
	v_not_b32_e32 v7, v3
	v_ashrrev_i32_e32 v6, 31, v6
	s_wait_alu 0xf1ff
	v_xor_b32_e32 v9, s0, v9
	v_and_b32_e32 v5, v5, v8
	v_cmp_gt_i32_e64 s0, 0, v3
	v_ashrrev_i32_e32 v3, 31, v7
	s_wait_alu 0xfffd
	v_xor_b32_e32 v6, vcc_lo, v6
	v_add_nc_u32_e32 v77, v2, v4
	v_and_b32_e32 v5, v5, v9
	s_wait_alu 0xf1ff
	v_xor_b32_e32 v2, s0, v3
	ds_load_b32 v72, v77 offset:128
	v_and_b32_e32 v3, v5, v6
	; wave barrier
	s_delay_alu instid0(VALU_DEP_1) | instskip(NEXT) | instid1(VALU_DEP_1)
	v_and_b32_e32 v2, v3, v2
	v_mbcnt_lo_u32_b32 v73, v2, 0
	v_cmp_ne_u32_e64 s0, 0, v2
	s_delay_alu instid0(VALU_DEP_2)
	v_cmp_eq_u32_e32 vcc_lo, 0, v73
	s_and_b32 s1, s0, vcc_lo
	s_wait_alu 0xfffe
	s_and_saveexec_b32 s0, s1
	s_cbranch_execz .LBB226_181
; %bb.180:
	s_wait_dscnt 0x0
	v_bcnt_u32_b32 v2, v2, v72
	ds_store_b32 v77, v2 offset:128
.LBB226_181:
	s_wait_alu 0xfffe
	s_or_b32 exec_lo, exec_lo, s0
	; wave barrier
	s_wait_loadcnt_dscnt 0x0
	s_barrier_signal -1
	s_barrier_wait -1
	global_inv scope:SCOPE_SE
	ds_load_2addr_b32 v[8:9], v29 offset0:32 offset1:33
	ds_load_2addr_b32 v[6:7], v29 offset0:34 offset1:35
	;; [unrolled: 1-line block ×4, first 2 shown]
	ds_load_b32 v58, v29 offset:160
	v_and_b32_e32 v78, 16, v36
	v_and_b32_e32 v79, 31, v1
	s_mov_b32 s5, exec_lo
	s_delay_alu instid0(VALU_DEP_2) | instskip(SKIP_3) | instid1(VALU_DEP_1)
	v_cmp_eq_u32_e64 s3, 0, v78
	s_wait_dscnt 0x3
	v_add3_u32 v75, v9, v8, v6
	s_wait_dscnt 0x2
	v_add3_u32 v75, v75, v7, v4
	s_wait_dscnt 0x1
	s_delay_alu instid0(VALU_DEP_1) | instskip(SKIP_1) | instid1(VALU_DEP_1)
	v_add3_u32 v75, v75, v5, v2
	s_wait_dscnt 0x0
	v_add3_u32 v58, v75, v3, v58
	v_and_b32_e32 v75, 15, v36
	s_delay_alu instid0(VALU_DEP_2) | instskip(NEXT) | instid1(VALU_DEP_2)
	v_mov_b32_dpp v76, v58 row_shr:1 row_mask:0xf bank_mask:0xf
	v_cmp_eq_u32_e32 vcc_lo, 0, v75
	v_cmp_lt_u32_e64 s0, 1, v75
	v_cmp_lt_u32_e64 s1, 3, v75
	;; [unrolled: 1-line block ×3, first 2 shown]
	s_wait_alu 0xfffd
	v_cndmask_b32_e64 v76, v76, 0, vcc_lo
	s_delay_alu instid0(VALU_DEP_1) | instskip(NEXT) | instid1(VALU_DEP_1)
	v_add_nc_u32_e32 v58, v76, v58
	v_mov_b32_dpp v76, v58 row_shr:2 row_mask:0xf bank_mask:0xf
	s_wait_alu 0xf1ff
	s_delay_alu instid0(VALU_DEP_1) | instskip(NEXT) | instid1(VALU_DEP_1)
	v_cndmask_b32_e64 v76, 0, v76, s0
	v_add_nc_u32_e32 v58, v58, v76
	s_delay_alu instid0(VALU_DEP_1) | instskip(NEXT) | instid1(VALU_DEP_1)
	v_mov_b32_dpp v76, v58 row_shr:4 row_mask:0xf bank_mask:0xf
	v_cndmask_b32_e64 v76, 0, v76, s1
	s_delay_alu instid0(VALU_DEP_1) | instskip(NEXT) | instid1(VALU_DEP_1)
	v_add_nc_u32_e32 v58, v58, v76
	v_mov_b32_dpp v76, v58 row_shr:8 row_mask:0xf bank_mask:0xf
	s_delay_alu instid0(VALU_DEP_1) | instskip(SKIP_1) | instid1(VALU_DEP_2)
	v_cndmask_b32_e64 v75, 0, v76, s2
	v_bfe_i32 v76, v36, 4, 1
	v_add_nc_u32_e32 v58, v58, v75
	ds_swizzle_b32 v75, v58 offset:swizzle(BROADCAST,32,15)
	s_wait_dscnt 0x0
	v_and_b32_e32 v75, v76, v75
	v_lshrrev_b32_e32 v76, 5, v1
	s_delay_alu instid0(VALU_DEP_2)
	v_add_nc_u32_e32 v75, v58, v75
	v_cmpx_eq_u32_e32 31, v79
; %bb.182:
	s_delay_alu instid0(VALU_DEP_3)
	v_lshlrev_b32_e32 v58, 2, v76
	ds_store_b32 v58, v75
; %bb.183:
	s_or_b32 exec_lo, exec_lo, s5
	v_cmp_lt_u32_e64 s4, 31, v1
	v_lshlrev_b32_e32 v58, 2, v1
	s_mov_b32 s10, exec_lo
	s_wait_loadcnt_dscnt 0x0
	s_barrier_signal -1
	s_barrier_wait -1
	global_inv scope:SCOPE_SE
	v_cmpx_gt_u32_e32 32, v1
	s_cbranch_execz .LBB226_185
; %bb.184:
	ds_load_b32 v78, v58
	s_wait_dscnt 0x0
	v_mov_b32_dpp v79, v78 row_shr:1 row_mask:0xf bank_mask:0xf
	s_delay_alu instid0(VALU_DEP_1) | instskip(NEXT) | instid1(VALU_DEP_1)
	v_cndmask_b32_e64 v79, v79, 0, vcc_lo
	v_add_nc_u32_e32 v78, v79, v78
	s_delay_alu instid0(VALU_DEP_1) | instskip(NEXT) | instid1(VALU_DEP_1)
	v_mov_b32_dpp v79, v78 row_shr:2 row_mask:0xf bank_mask:0xf
	v_cndmask_b32_e64 v79, 0, v79, s0
	s_delay_alu instid0(VALU_DEP_1) | instskip(NEXT) | instid1(VALU_DEP_1)
	v_add_nc_u32_e32 v78, v78, v79
	v_mov_b32_dpp v79, v78 row_shr:4 row_mask:0xf bank_mask:0xf
	s_delay_alu instid0(VALU_DEP_1) | instskip(NEXT) | instid1(VALU_DEP_1)
	v_cndmask_b32_e64 v79, 0, v79, s1
	v_add_nc_u32_e32 v78, v78, v79
	s_delay_alu instid0(VALU_DEP_1) | instskip(NEXT) | instid1(VALU_DEP_1)
	v_mov_b32_dpp v79, v78 row_shr:8 row_mask:0xf bank_mask:0xf
	v_cndmask_b32_e64 v79, 0, v79, s2
	s_delay_alu instid0(VALU_DEP_1) | instskip(SKIP_3) | instid1(VALU_DEP_1)
	v_add_nc_u32_e32 v78, v78, v79
	ds_swizzle_b32 v79, v78 offset:swizzle(BROADCAST,32,15)
	s_wait_dscnt 0x0
	v_cndmask_b32_e64 v79, v79, 0, s3
	v_add_nc_u32_e32 v78, v78, v79
	ds_store_b32 v58, v78
.LBB226_185:
	s_or_b32 exec_lo, exec_lo, s10
	v_mov_b32_e32 v78, 0
	s_wait_loadcnt_dscnt 0x0
	s_barrier_signal -1
	s_barrier_wait -1
	global_inv scope:SCOPE_SE
	s_and_saveexec_b32 s0, s4
; %bb.186:
	v_lshl_add_u32 v76, v76, 2, -4
	ds_load_b32 v78, v76
; %bb.187:
	s_wait_alu 0xfffe
	s_or_b32 exec_lo, exec_lo, s0
	v_sub_co_u32 v76, vcc_lo, v36, 1
	s_wait_dscnt 0x0
	v_add_nc_u32_e32 v75, v78, v75
	s_delay_alu instid0(VALU_DEP_2) | instskip(SKIP_1) | instid1(VALU_DEP_1)
	v_cmp_gt_i32_e64 s0, 0, v76
	s_wait_alu 0xf1ff
	v_cndmask_b32_e64 v76, v76, v36, s0
	v_cmp_lt_u32_e64 s0, 0xff, v1
	s_delay_alu instid0(VALU_DEP_2)
	v_lshlrev_b32_e32 v76, 2, v76
	ds_bpermute_b32 v75, v76, v75
	s_wait_dscnt 0x0
	s_wait_alu 0xfffd
	v_cndmask_b32_e32 v75, v75, v78, vcc_lo
	v_cmp_ne_u32_e32 vcc_lo, 0, v1
	s_wait_alu 0xfffd
	s_delay_alu instid0(VALU_DEP_2) | instskip(SKIP_1) | instid1(VALU_DEP_2)
	v_cndmask_b32_e32 v75, 0, v75, vcc_lo
	v_cmp_gt_u32_e32 vcc_lo, 0x100, v1
	v_add_nc_u32_e32 v8, v75, v8
	s_delay_alu instid0(VALU_DEP_1) | instskip(NEXT) | instid1(VALU_DEP_1)
	v_add_nc_u32_e32 v9, v8, v9
	v_add_nc_u32_e32 v6, v9, v6
	s_delay_alu instid0(VALU_DEP_1) | instskip(NEXT) | instid1(VALU_DEP_1)
	v_add_nc_u32_e32 v7, v6, v7
	;; [unrolled: 3-line block ×3, first 2 shown]
	v_add_nc_u32_e32 v2, v5, v2
	s_delay_alu instid0(VALU_DEP_1)
	v_add_nc_u32_e32 v3, v2, v3
	ds_store_2addr_b32 v29, v75, v8 offset0:32 offset1:33
	ds_store_2addr_b32 v29, v9, v6 offset0:34 offset1:35
	;; [unrolled: 1-line block ×4, first 2 shown]
	ds_store_b32 v29, v3 offset:160
	s_wait_loadcnt_dscnt 0x0
	s_barrier_signal -1
	s_barrier_wait -1
	global_inv scope:SCOPE_SE
	ds_load_b32 v8, v33 offset:128
	ds_load_b32 v9, v37 offset:128
	;; [unrolled: 1-line block ×16, first 2 shown]
                                        ; implicit-def: $vgpr37
                                        ; implicit-def: $vgpr40
	s_and_saveexec_b32 s2, vcc_lo
	s_cbranch_execz .LBB226_191
; %bb.188:
	v_mul_u32_u24_e32 v2, 0x84, v1
	v_add_nc_u32_e32 v3, 1, v1
	s_mov_b32 s3, exec_lo
	ds_load_b32 v37, v2 offset:128
	v_mov_b32_e32 v2, 0x4000
	v_cmpx_ne_u32_e32 0x100, v3
; %bb.189:
	v_mul_u32_u24_e32 v2, 0x84, v3
	ds_load_b32 v2, v2 offset:128
; %bb.190:
	s_wait_alu 0xfffe
	s_or_b32 exec_lo, exec_lo, s3
	s_wait_dscnt 0x0
	v_sub_nc_u32_e32 v40, v2, v37
.LBB226_191:
	s_wait_alu 0xfffe
	s_or_b32 exec_lo, exec_lo, s2
	v_mov_b32_e32 v3, 0
	s_wait_loadcnt_dscnt 0x0
	s_barrier_signal -1
	s_barrier_wait -1
	global_inv scope:SCOPE_SE
	s_and_saveexec_b32 s1, vcc_lo
	s_cbranch_execz .LBB226_201
; %bb.192:
	v_lshl_add_u32 v2, ttmp9, 8, v1
	v_mov_b32_e32 v65, 0
	s_mov_b32 s2, ttmp9
	s_mov_b32 s3, 0
                                        ; implicit-def: $sgpr4
	s_delay_alu instid0(VALU_DEP_2) | instskip(SKIP_1) | instid1(VALU_DEP_2)
	v_lshlrev_b64_e32 v[4:5], 2, v[2:3]
	v_or_b32_e32 v2, 2.0, v40
	v_add_co_u32 v4, vcc_lo, s34, v4
	s_wait_alu 0xfffd
	s_delay_alu instid0(VALU_DEP_3)
	v_add_co_ci_u32_e64 v5, null, s35, v5, vcc_lo
	global_store_b32 v[4:5], v2, off scope:SCOPE_DEV
	s_branch .LBB226_195
.LBB226_193:                            ;   in Loop: Header=BB226_195 Depth=1
	s_or_b32 exec_lo, exec_lo, s5
.LBB226_194:                            ;   in Loop: Header=BB226_195 Depth=1
	s_delay_alu instid0(SALU_CYCLE_1) | instskip(SKIP_2) | instid1(VALU_DEP_2)
	s_or_b32 exec_lo, exec_lo, s4
	v_and_b32_e32 v6, 0x3fffffff, v2
	v_cmp_gt_i32_e64 s4, -2.0, v2
	v_add_nc_u32_e32 v65, v6, v65
	s_and_b32 s5, exec_lo, s4
	s_delay_alu instid0(SALU_CYCLE_1)
	s_or_b32 s3, s5, s3
	s_wait_alu 0xfffe
	s_and_not1_b32 exec_lo, exec_lo, s3
	s_cbranch_execz .LBB226_200
.LBB226_195:                            ; =>This Loop Header: Depth=1
                                        ;     Child Loop BB226_198 Depth 2
	s_or_b32 s4, s4, exec_lo
	s_wait_alu 0xfffe
	s_cmp_eq_u32 s2, 0
	s_cbranch_scc1 .LBB226_199
; %bb.196:                              ;   in Loop: Header=BB226_195 Depth=1
	s_add_co_i32 s2, s2, -1
	s_mov_b32 s4, exec_lo
	s_wait_alu 0xfffe
	v_lshl_or_b32 v2, s2, 8, v1
	s_delay_alu instid0(VALU_DEP_1) | instskip(NEXT) | instid1(VALU_DEP_1)
	v_lshlrev_b64_e32 v[6:7], 2, v[2:3]
	v_add_co_u32 v6, vcc_lo, s34, v6
	s_wait_alu 0xfffd
	s_delay_alu instid0(VALU_DEP_2)
	v_add_co_ci_u32_e64 v7, null, s35, v7, vcc_lo
	global_load_b32 v2, v[6:7], off scope:SCOPE_DEV
	s_wait_loadcnt 0x0
	v_cmpx_gt_u32_e32 2.0, v2
	s_cbranch_execz .LBB226_194
; %bb.197:                              ;   in Loop: Header=BB226_195 Depth=1
	s_mov_b32 s5, 0
.LBB226_198:                            ;   Parent Loop BB226_195 Depth=1
                                        ; =>  This Inner Loop Header: Depth=2
	global_load_b32 v2, v[6:7], off scope:SCOPE_DEV
	s_wait_loadcnt 0x0
	v_cmp_lt_u32_e32 vcc_lo, 0x3fffffff, v2
	s_or_b32 s5, vcc_lo, s5
	s_delay_alu instid0(SALU_CYCLE_1)
	s_and_not1_b32 exec_lo, exec_lo, s5
	s_cbranch_execnz .LBB226_198
	s_branch .LBB226_193
.LBB226_199:                            ;   in Loop: Header=BB226_195 Depth=1
                                        ; implicit-def: $sgpr2
	s_and_b32 s5, exec_lo, s4
	s_delay_alu instid0(SALU_CYCLE_1)
	s_or_b32 s3, s5, s3
	s_wait_alu 0xfffe
	s_and_not1_b32 exec_lo, exec_lo, s3
	s_cbranch_execnz .LBB226_195
.LBB226_200:
	s_or_b32 exec_lo, exec_lo, s3
	v_add_nc_u32_e32 v2, v65, v40
	v_sub_nc_u32_e32 v3, v65, v37
	s_delay_alu instid0(VALU_DEP_2)
	v_or_b32_e32 v2, 0x80000000, v2
	global_store_b32 v[4:5], v2, off scope:SCOPE_DEV
	global_load_b32 v2, v58, s[36:37]
	s_wait_loadcnt 0x0
	v_add_nc_u32_e32 v2, v3, v2
	ds_store_b32 v58, v2
.LBB226_201:
	s_wait_alu 0xfffe
	s_or_b32 exec_lo, exec_lo, s1
	v_dual_mov_b32 v3, 0 :: v_dual_add_nc_u32 v0, v43, v0
	v_or_b32_e32 v4, 0x1c00, v1
	v_add3_u32 v43, v73, v62, v72
	v_add3_u32 v46, v70, v46, v69
	;; [unrolled: 1-line block ×15, first 2 shown]
	s_mov_b32 s2, 32
	s_mov_b32 s3, 0
	s_mov_b32 s5, -1
	s_mov_b32 s4, 0
.LBB226_202:                            ; =>This Inner Loop Header: Depth=1
	s_delay_alu instid0(SALU_CYCLE_1)
	v_add_nc_u32_e32 v2, s4, v0
	v_add_nc_u32_e32 v5, s4, v45
	v_add_nc_u32_e32 v6, s4, v42
	v_add_nc_u32_e32 v7, s4, v39
	v_add_nc_u32_e32 v8, s4, v38
	v_add_nc_u32_e32 v31, s4, v56
	v_add_nc_u32_e32 v32, s4, v55
	v_add_nc_u32_e32 v33, s4, v52
	v_add_nc_u32_e32 v34, s4, v49
	v_add_nc_u32_e32 v9, s4, v41
	v_add_nc_u32_e32 v27, s4, v44
	v_add_nc_u32_e32 v28, s4, v47
	v_add_nc_u32_e32 v29, s4, v50
	v_add_nc_u32_e32 v30, s4, v53
	v_add_nc_u32_e32 v35, s4, v46
	v_add_nc_u32_e32 v48, s4, v43
	v_min_u32_e32 v2, 0x2000, v2
	v_min_u32_e32 v5, 0x2000, v5
	;; [unrolled: 1-line block ×16, first 2 shown]
	v_lshlrev_b32_e32 v2, 2, v2
	v_lshlrev_b32_e32 v5, 2, v5
	;; [unrolled: 1-line block ×16, first 2 shown]
	ds_store_b32 v2, v11 offset:1024
	ds_store_b32 v5, v12 offset:1024
	;; [unrolled: 1-line block ×16, first 2 shown]
	s_wait_storecnt 0x0
	s_wait_loadcnt_dscnt 0x0
	s_barrier_signal -1
	s_barrier_wait -1
	global_inv scope:SCOPE_SE
	ds_load_2addr_stride64_b32 v[31:32], v58 offset0:4 offset1:20
	ds_load_2addr_stride64_b32 v[33:34], v58 offset0:36 offset1:52
	;; [unrolled: 1-line block ×4, first 2 shown]
	s_addk_co_i32 s4, 0xe000
	s_and_b32 vcc_lo, exec_lo, s5
	s_mov_b32 s5, 0
	s_wait_dscnt 0x3
	v_lshrrev_b32_e32 v2, s40, v31
	v_lshrrev_b32_e32 v6, s40, v32
	s_wait_dscnt 0x2
	v_lshrrev_b32_e32 v7, s40, v33
	v_lshrrev_b32_e32 v8, s40, v34
	s_wait_dscnt 0x1
	v_lshrrev_b32_e32 v9, s40, v59
	v_lshrrev_b32_e32 v28, s40, v60
	s_wait_dscnt 0x0
	v_lshrrev_b32_e32 v29, s40, v61
	v_lshrrev_b32_e32 v30, s40, v62
	v_and_b32_e32 v5, s9, v2
	v_and_b32_e32 v6, s9, v6
	;; [unrolled: 1-line block ×8, first 2 shown]
	v_lshlrev_b32_e32 v2, 2, v5
	v_lshlrev_b32_e32 v9, 2, v6
	;; [unrolled: 1-line block ×5, first 2 shown]
	s_clause 0x1
	scratch_store_b128 off, v[5:8], s3
	scratch_store_b128 off, v[27:30], s3 offset:16
	v_lshlrev_b32_e32 v54, 2, v28
	v_lshlrev_b32_e32 v57, 2, v29
	v_lshlrev_b32_e32 v63, 2, v30
	ds_load_b32 v2, v2
	ds_load_b32 v7, v9
	;; [unrolled: 1-line block ×8, first 2 shown]
	s_wait_alu 0xfffe
	s_mov_b32 s3, s2
	s_wait_dscnt 0x7
	v_add3_u32 v2, v4, v2, 0xffffe400
	s_delay_alu instid0(VALU_DEP_1) | instskip(SKIP_2) | instid1(VALU_DEP_1)
	v_lshlrev_b64_e32 v[5:6], 2, v[2:3]
	s_wait_dscnt 0x6
	v_add3_u32 v2, v4, v7, 0xffffe800
	v_lshlrev_b64_e32 v[7:8], 2, v[2:3]
	s_wait_dscnt 0x5
	v_add3_u32 v2, v4, v9, 0xffffec00
	v_add_co_u32 v5, s1, s26, v5
	s_wait_alu 0xf1ff
	v_add_co_ci_u32_e64 v6, null, s27, v6, s1
	s_delay_alu instid0(VALU_DEP_3)
	v_lshlrev_b64_e32 v[27:28], 2, v[2:3]
	s_wait_dscnt 0x4
	v_add3_u32 v2, v4, v29, 0xfffff000
	v_add_co_u32 v7, s1, s26, v7
	s_wait_alu 0xf1ff
	v_add_co_ci_u32_e64 v8, null, s27, v8, s1
	global_store_b32 v[5:6], v31, off
	v_lshlrev_b64_e32 v[5:6], 2, v[2:3]
	s_wait_dscnt 0x3
	v_add3_u32 v2, v4, v30, 0xfffff400
	global_store_b32 v[7:8], v32, off
	v_add_co_u32 v7, s1, s26, v27
	s_wait_alu 0xf1ff
	v_add_co_ci_u32_e64 v8, null, s27, v28, s1
	v_lshlrev_b64_e32 v[27:28], 2, v[2:3]
	s_wait_dscnt 0x2
	v_add3_u32 v2, v4, v35, 0xfffff800
	v_add_co_u32 v5, s1, s26, v5
	s_wait_alu 0xf1ff
	v_add_co_ci_u32_e64 v6, null, s27, v6, s1
	global_store_b32 v[7:8], v33, off
	v_lshlrev_b64_e32 v[7:8], 2, v[2:3]
	s_wait_dscnt 0x1
	v_add3_u32 v2, v4, v48, 0xfffffc00
	global_store_b32 v[5:6], v34, off
	v_add_co_u32 v5, s1, s26, v27
	s_wait_alu 0xf1ff
	v_add_co_ci_u32_e64 v6, null, s27, v28, s1
	v_lshlrev_b64_e32 v[27:28], 2, v[2:3]
	s_wait_dscnt 0x0
	v_add_nc_u32_e32 v2, v4, v51
	v_add_co_u32 v7, s1, s26, v7
	s_wait_alu 0xf1ff
	v_add_co_ci_u32_e64 v8, null, s27, v8, s1
	global_store_b32 v[5:6], v59, off
	v_lshlrev_b64_e32 v[5:6], 2, v[2:3]
	v_add_nc_u32_e32 v4, 0x2000, v4
	global_store_b32 v[7:8], v60, off
	v_add_co_u32 v7, s1, s26, v27
	s_wait_alu 0xf1ff
	v_add_co_ci_u32_e64 v8, null, s27, v28, s1
	v_add_co_u32 v5, s1, s26, v5
	s_wait_alu 0xf1ff
	v_add_co_ci_u32_e64 v6, null, s27, v6, s1
	s_clause 0x1
	global_store_b32 v[7:8], v61, off
	global_store_b32 v[5:6], v62, off
	s_wait_loadcnt 0x0
	s_wait_storecnt 0x0
	s_barrier_signal -1
	s_barrier_wait -1
	global_inv scope:SCOPE_SE
	s_cbranch_vccnz .LBB226_202
; %bb.203:
	v_dual_mov_b32 v35, 0 :: v_dual_lshlrev_b32 v2, 3, v36
	s_lshl_b64 s[2:3], s[6:7], 3
	v_lshlrev_b32_e32 v3, 3, v10
	s_wait_alu 0xfffe
	s_add_nc_u64 s[2:3], s[28:29], s[2:3]
	v_lshlrev_b32_e32 v36, 3, v1
	s_wait_alu 0xfffe
	v_add_co_u32 v2, s1, s2, v2
	s_wait_alu 0xf1ff
	v_add_co_ci_u32_e64 v4, null, s3, 0, s1
	v_or_b32_e32 v1, 0xc00, v1
	s_delay_alu instid0(VALU_DEP_3) | instskip(SKIP_1) | instid1(VALU_DEP_3)
	v_add_co_u32 v32, vcc_lo, v2, v3
	s_wait_alu 0xfffd
	v_add_co_ci_u32_e64 v33, null, 0, v4, vcc_lo
	s_or_b32 s1, 0, 8
	s_mov_b32 s2, 0
	s_clause 0xf
	global_load_b64 v[2:3], v[32:33], off
	global_load_b64 v[4:5], v[32:33], off offset:256
	global_load_b64 v[6:7], v[32:33], off offset:512
	;; [unrolled: 1-line block ×15, first 2 shown]
.LBB226_204:                            ; =>This Inner Loop Header: Depth=1
	s_wait_alu 0xfffe
	v_add_nc_u32_e32 v34, s2, v0
	v_add_nc_u32_e32 v48, s2, v45
	;; [unrolled: 1-line block ×16, first 2 shown]
	v_min_u32_e32 v34, 0x1000, v34
	v_min_u32_e32 v48, 0x1000, v48
	;; [unrolled: 1-line block ×16, first 2 shown]
	v_lshlrev_b32_e32 v34, 3, v34
	v_lshlrev_b32_e32 v48, 3, v48
	;; [unrolled: 1-line block ×16, first 2 shown]
	s_wait_loadcnt 0xf
	ds_store_b64 v34, v[2:3] offset:1024
	s_wait_loadcnt 0xe
	ds_store_b64 v48, v[4:5] offset:1024
	;; [unrolled: 2-line block ×16, first 2 shown]
	s_wait_dscnt 0x0
	s_barrier_signal -1
	s_barrier_wait -1
	global_inv scope:SCOPE_SE
	scratch_load_b128 v[59:62], off, s1 offset:-8
	ds_load_2addr_stride64_b64 v[63:66], v36 offset0:2 offset1:18
	ds_load_2addr_stride64_b64 v[67:70], v36 offset0:34 offset1:50
	s_addk_co_i32 s2, 0xf000
	s_add_co_i32 s1, s1, 16
	s_wait_alu 0xfffe
	s_cmp_lg_u32 s2, 0xffffc000
	s_wait_loadcnt 0x0
	v_lshlrev_b32_e32 v34, 2, v59
	v_lshlrev_b32_e32 v48, 2, v60
	;; [unrolled: 1-line block ×4, first 2 shown]
	ds_load_b32 v34, v34
	ds_load_b32 v48, v48
	;; [unrolled: 1-line block ×4, first 2 shown]
	s_wait_dscnt 0x3
	v_add3_u32 v34, v1, v34, 0xfffff400
	s_delay_alu instid0(VALU_DEP_1) | instskip(SKIP_2) | instid1(VALU_DEP_1)
	v_lshlrev_b64_e32 v[59:60], 3, v[34:35]
	s_wait_dscnt 0x2
	v_add3_u32 v34, v1, v48, 0xfffff800
	v_lshlrev_b64_e32 v[61:62], 3, v[34:35]
	s_wait_dscnt 0x1
	v_add3_u32 v34, v1, v51, 0xfffffc00
	v_add_co_u32 v59, vcc_lo, s30, v59
	s_wait_alu 0xfffd
	v_add_co_ci_u32_e64 v60, null, s31, v60, vcc_lo
	s_delay_alu instid0(VALU_DEP_3)
	v_lshlrev_b64_e32 v[71:72], 3, v[34:35]
	s_wait_dscnt 0x0
	v_add_nc_u32_e32 v34, v1, v54
	v_add_co_u32 v61, vcc_lo, s30, v61
	s_wait_alu 0xfffd
	v_add_co_ci_u32_e64 v62, null, s31, v62, vcc_lo
	global_store_b64 v[59:60], v[63:64], off
	v_lshlrev_b64_e32 v[59:60], 3, v[34:35]
	v_add_nc_u32_e32 v1, 0x1000, v1
	global_store_b64 v[61:62], v[65:66], off
	v_add_co_u32 v61, vcc_lo, s30, v71
	s_wait_alu 0xfffd
	v_add_co_ci_u32_e64 v62, null, s31, v72, vcc_lo
	v_add_co_u32 v59, vcc_lo, s30, v59
	s_wait_alu 0xfffd
	v_add_co_ci_u32_e64 v60, null, s31, v60, vcc_lo
	s_clause 0x1
	global_store_b64 v[61:62], v[67:68], off
	global_store_b64 v[59:60], v[69:70], off
	s_wait_storecnt 0x0
	s_barrier_signal -1
	s_barrier_wait -1
	global_inv scope:SCOPE_SE
	s_cbranch_scc1 .LBB226_204
; %bb.205:
	s_add_co_i32 s8, s8, -1
	s_wait_alu 0xfffe
	s_cmp_eq_u32 ttmp9, s8
	s_cselect_b32 s1, -1, 0
	s_xor_b32 s0, s0, -1
	s_wait_alu 0xfffe
	s_and_b32 s0, s0, s1
	s_wait_alu 0xfffe
	s_and_saveexec_b32 s1, s0
	s_cbranch_execz .LBB226_207
; %bb.206:
	ds_load_b32 v0, v58
	s_wait_dscnt 0x0
	v_add3_u32 v0, v37, v40, v0
	global_store_b32 v58, v0, s[38:39]
.LBB226_207:
	s_endpgm
	.section	.rodata,"a",@progbits
	.p2align	6, 0x0
	.amdhsa_kernel _ZN7rocprim17ROCPRIM_400000_NS6detail17trampoline_kernelINS0_14default_configENS1_35radix_sort_onesweep_config_selectorIjN6thrust23THRUST_200600_302600_NS5tupleIffNS6_9null_typeES8_S8_S8_S8_S8_S8_S8_EEEEZZNS1_29radix_sort_onesweep_iterationIS3_Lb0ENS6_6detail15normal_iteratorINS6_10device_ptrIjEEEESG_NSD_INSE_IS9_EEEESI_jNS0_19identity_decomposerENS1_16block_id_wrapperIjLb0EEEEE10hipError_tT1_PNSt15iterator_traitsISN_E10value_typeET2_T3_PNSO_IST_E10value_typeET4_T5_PSY_SZ_PNS1_23onesweep_lookback_stateEbbT6_jjT7_P12ihipStream_tbENKUlT_T0_SN_SS_E_clIPjSG_PS9_SI_EEDaS16_S17_SN_SS_EUlS16_E_NS1_11comp_targetILNS1_3genE10ELNS1_11target_archE1201ELNS1_3gpuE5ELNS1_3repE0EEENS1_47radix_sort_onesweep_sort_config_static_selectorELNS0_4arch9wavefront6targetE0EEEvSN_
		.amdhsa_group_segment_fixed_size 37000
		.amdhsa_private_segment_fixed_size 80
		.amdhsa_kernarg_size 344
		.amdhsa_user_sgpr_count 2
		.amdhsa_user_sgpr_dispatch_ptr 0
		.amdhsa_user_sgpr_queue_ptr 0
		.amdhsa_user_sgpr_kernarg_segment_ptr 1
		.amdhsa_user_sgpr_dispatch_id 0
		.amdhsa_user_sgpr_private_segment_size 0
		.amdhsa_wavefront_size32 1
		.amdhsa_uses_dynamic_stack 0
		.amdhsa_enable_private_segment 1
		.amdhsa_system_sgpr_workgroup_id_x 1
		.amdhsa_system_sgpr_workgroup_id_y 0
		.amdhsa_system_sgpr_workgroup_id_z 0
		.amdhsa_system_sgpr_workgroup_info 0
		.amdhsa_system_vgpr_workitem_id 2
		.amdhsa_next_free_vgpr 81
		.amdhsa_next_free_sgpr 49
		.amdhsa_reserve_vcc 1
		.amdhsa_float_round_mode_32 0
		.amdhsa_float_round_mode_16_64 0
		.amdhsa_float_denorm_mode_32 3
		.amdhsa_float_denorm_mode_16_64 3
		.amdhsa_fp16_overflow 0
		.amdhsa_workgroup_processor_mode 1
		.amdhsa_memory_ordered 1
		.amdhsa_forward_progress 1
		.amdhsa_inst_pref_size 172
		.amdhsa_round_robin_scheduling 0
		.amdhsa_exception_fp_ieee_invalid_op 0
		.amdhsa_exception_fp_denorm_src 0
		.amdhsa_exception_fp_ieee_div_zero 0
		.amdhsa_exception_fp_ieee_overflow 0
		.amdhsa_exception_fp_ieee_underflow 0
		.amdhsa_exception_fp_ieee_inexact 0
		.amdhsa_exception_int_div_zero 0
	.end_amdhsa_kernel
	.section	.text._ZN7rocprim17ROCPRIM_400000_NS6detail17trampoline_kernelINS0_14default_configENS1_35radix_sort_onesweep_config_selectorIjN6thrust23THRUST_200600_302600_NS5tupleIffNS6_9null_typeES8_S8_S8_S8_S8_S8_S8_EEEEZZNS1_29radix_sort_onesweep_iterationIS3_Lb0ENS6_6detail15normal_iteratorINS6_10device_ptrIjEEEESG_NSD_INSE_IS9_EEEESI_jNS0_19identity_decomposerENS1_16block_id_wrapperIjLb0EEEEE10hipError_tT1_PNSt15iterator_traitsISN_E10value_typeET2_T3_PNSO_IST_E10value_typeET4_T5_PSY_SZ_PNS1_23onesweep_lookback_stateEbbT6_jjT7_P12ihipStream_tbENKUlT_T0_SN_SS_E_clIPjSG_PS9_SI_EEDaS16_S17_SN_SS_EUlS16_E_NS1_11comp_targetILNS1_3genE10ELNS1_11target_archE1201ELNS1_3gpuE5ELNS1_3repE0EEENS1_47radix_sort_onesweep_sort_config_static_selectorELNS0_4arch9wavefront6targetE0EEEvSN_,"axG",@progbits,_ZN7rocprim17ROCPRIM_400000_NS6detail17trampoline_kernelINS0_14default_configENS1_35radix_sort_onesweep_config_selectorIjN6thrust23THRUST_200600_302600_NS5tupleIffNS6_9null_typeES8_S8_S8_S8_S8_S8_S8_EEEEZZNS1_29radix_sort_onesweep_iterationIS3_Lb0ENS6_6detail15normal_iteratorINS6_10device_ptrIjEEEESG_NSD_INSE_IS9_EEEESI_jNS0_19identity_decomposerENS1_16block_id_wrapperIjLb0EEEEE10hipError_tT1_PNSt15iterator_traitsISN_E10value_typeET2_T3_PNSO_IST_E10value_typeET4_T5_PSY_SZ_PNS1_23onesweep_lookback_stateEbbT6_jjT7_P12ihipStream_tbENKUlT_T0_SN_SS_E_clIPjSG_PS9_SI_EEDaS16_S17_SN_SS_EUlS16_E_NS1_11comp_targetILNS1_3genE10ELNS1_11target_archE1201ELNS1_3gpuE5ELNS1_3repE0EEENS1_47radix_sort_onesweep_sort_config_static_selectorELNS0_4arch9wavefront6targetE0EEEvSN_,comdat
.Lfunc_end226:
	.size	_ZN7rocprim17ROCPRIM_400000_NS6detail17trampoline_kernelINS0_14default_configENS1_35radix_sort_onesweep_config_selectorIjN6thrust23THRUST_200600_302600_NS5tupleIffNS6_9null_typeES8_S8_S8_S8_S8_S8_S8_EEEEZZNS1_29radix_sort_onesweep_iterationIS3_Lb0ENS6_6detail15normal_iteratorINS6_10device_ptrIjEEEESG_NSD_INSE_IS9_EEEESI_jNS0_19identity_decomposerENS1_16block_id_wrapperIjLb0EEEEE10hipError_tT1_PNSt15iterator_traitsISN_E10value_typeET2_T3_PNSO_IST_E10value_typeET4_T5_PSY_SZ_PNS1_23onesweep_lookback_stateEbbT6_jjT7_P12ihipStream_tbENKUlT_T0_SN_SS_E_clIPjSG_PS9_SI_EEDaS16_S17_SN_SS_EUlS16_E_NS1_11comp_targetILNS1_3genE10ELNS1_11target_archE1201ELNS1_3gpuE5ELNS1_3repE0EEENS1_47radix_sort_onesweep_sort_config_static_selectorELNS0_4arch9wavefront6targetE0EEEvSN_, .Lfunc_end226-_ZN7rocprim17ROCPRIM_400000_NS6detail17trampoline_kernelINS0_14default_configENS1_35radix_sort_onesweep_config_selectorIjN6thrust23THRUST_200600_302600_NS5tupleIffNS6_9null_typeES8_S8_S8_S8_S8_S8_S8_EEEEZZNS1_29radix_sort_onesweep_iterationIS3_Lb0ENS6_6detail15normal_iteratorINS6_10device_ptrIjEEEESG_NSD_INSE_IS9_EEEESI_jNS0_19identity_decomposerENS1_16block_id_wrapperIjLb0EEEEE10hipError_tT1_PNSt15iterator_traitsISN_E10value_typeET2_T3_PNSO_IST_E10value_typeET4_T5_PSY_SZ_PNS1_23onesweep_lookback_stateEbbT6_jjT7_P12ihipStream_tbENKUlT_T0_SN_SS_E_clIPjSG_PS9_SI_EEDaS16_S17_SN_SS_EUlS16_E_NS1_11comp_targetILNS1_3genE10ELNS1_11target_archE1201ELNS1_3gpuE5ELNS1_3repE0EEENS1_47radix_sort_onesweep_sort_config_static_selectorELNS0_4arch9wavefront6targetE0EEEvSN_
                                        ; -- End function
	.set _ZN7rocprim17ROCPRIM_400000_NS6detail17trampoline_kernelINS0_14default_configENS1_35radix_sort_onesweep_config_selectorIjN6thrust23THRUST_200600_302600_NS5tupleIffNS6_9null_typeES8_S8_S8_S8_S8_S8_S8_EEEEZZNS1_29radix_sort_onesweep_iterationIS3_Lb0ENS6_6detail15normal_iteratorINS6_10device_ptrIjEEEESG_NSD_INSE_IS9_EEEESI_jNS0_19identity_decomposerENS1_16block_id_wrapperIjLb0EEEEE10hipError_tT1_PNSt15iterator_traitsISN_E10value_typeET2_T3_PNSO_IST_E10value_typeET4_T5_PSY_SZ_PNS1_23onesweep_lookback_stateEbbT6_jjT7_P12ihipStream_tbENKUlT_T0_SN_SS_E_clIPjSG_PS9_SI_EEDaS16_S17_SN_SS_EUlS16_E_NS1_11comp_targetILNS1_3genE10ELNS1_11target_archE1201ELNS1_3gpuE5ELNS1_3repE0EEENS1_47radix_sort_onesweep_sort_config_static_selectorELNS0_4arch9wavefront6targetE0EEEvSN_.num_vgpr, 81
	.set _ZN7rocprim17ROCPRIM_400000_NS6detail17trampoline_kernelINS0_14default_configENS1_35radix_sort_onesweep_config_selectorIjN6thrust23THRUST_200600_302600_NS5tupleIffNS6_9null_typeES8_S8_S8_S8_S8_S8_S8_EEEEZZNS1_29radix_sort_onesweep_iterationIS3_Lb0ENS6_6detail15normal_iteratorINS6_10device_ptrIjEEEESG_NSD_INSE_IS9_EEEESI_jNS0_19identity_decomposerENS1_16block_id_wrapperIjLb0EEEEE10hipError_tT1_PNSt15iterator_traitsISN_E10value_typeET2_T3_PNSO_IST_E10value_typeET4_T5_PSY_SZ_PNS1_23onesweep_lookback_stateEbbT6_jjT7_P12ihipStream_tbENKUlT_T0_SN_SS_E_clIPjSG_PS9_SI_EEDaS16_S17_SN_SS_EUlS16_E_NS1_11comp_targetILNS1_3genE10ELNS1_11target_archE1201ELNS1_3gpuE5ELNS1_3repE0EEENS1_47radix_sort_onesweep_sort_config_static_selectorELNS0_4arch9wavefront6targetE0EEEvSN_.num_agpr, 0
	.set _ZN7rocprim17ROCPRIM_400000_NS6detail17trampoline_kernelINS0_14default_configENS1_35radix_sort_onesweep_config_selectorIjN6thrust23THRUST_200600_302600_NS5tupleIffNS6_9null_typeES8_S8_S8_S8_S8_S8_S8_EEEEZZNS1_29radix_sort_onesweep_iterationIS3_Lb0ENS6_6detail15normal_iteratorINS6_10device_ptrIjEEEESG_NSD_INSE_IS9_EEEESI_jNS0_19identity_decomposerENS1_16block_id_wrapperIjLb0EEEEE10hipError_tT1_PNSt15iterator_traitsISN_E10value_typeET2_T3_PNSO_IST_E10value_typeET4_T5_PSY_SZ_PNS1_23onesweep_lookback_stateEbbT6_jjT7_P12ihipStream_tbENKUlT_T0_SN_SS_E_clIPjSG_PS9_SI_EEDaS16_S17_SN_SS_EUlS16_E_NS1_11comp_targetILNS1_3genE10ELNS1_11target_archE1201ELNS1_3gpuE5ELNS1_3repE0EEENS1_47radix_sort_onesweep_sort_config_static_selectorELNS0_4arch9wavefront6targetE0EEEvSN_.numbered_sgpr, 49
	.set _ZN7rocprim17ROCPRIM_400000_NS6detail17trampoline_kernelINS0_14default_configENS1_35radix_sort_onesweep_config_selectorIjN6thrust23THRUST_200600_302600_NS5tupleIffNS6_9null_typeES8_S8_S8_S8_S8_S8_S8_EEEEZZNS1_29radix_sort_onesweep_iterationIS3_Lb0ENS6_6detail15normal_iteratorINS6_10device_ptrIjEEEESG_NSD_INSE_IS9_EEEESI_jNS0_19identity_decomposerENS1_16block_id_wrapperIjLb0EEEEE10hipError_tT1_PNSt15iterator_traitsISN_E10value_typeET2_T3_PNSO_IST_E10value_typeET4_T5_PSY_SZ_PNS1_23onesweep_lookback_stateEbbT6_jjT7_P12ihipStream_tbENKUlT_T0_SN_SS_E_clIPjSG_PS9_SI_EEDaS16_S17_SN_SS_EUlS16_E_NS1_11comp_targetILNS1_3genE10ELNS1_11target_archE1201ELNS1_3gpuE5ELNS1_3repE0EEENS1_47radix_sort_onesweep_sort_config_static_selectorELNS0_4arch9wavefront6targetE0EEEvSN_.num_named_barrier, 0
	.set _ZN7rocprim17ROCPRIM_400000_NS6detail17trampoline_kernelINS0_14default_configENS1_35radix_sort_onesweep_config_selectorIjN6thrust23THRUST_200600_302600_NS5tupleIffNS6_9null_typeES8_S8_S8_S8_S8_S8_S8_EEEEZZNS1_29radix_sort_onesweep_iterationIS3_Lb0ENS6_6detail15normal_iteratorINS6_10device_ptrIjEEEESG_NSD_INSE_IS9_EEEESI_jNS0_19identity_decomposerENS1_16block_id_wrapperIjLb0EEEEE10hipError_tT1_PNSt15iterator_traitsISN_E10value_typeET2_T3_PNSO_IST_E10value_typeET4_T5_PSY_SZ_PNS1_23onesweep_lookback_stateEbbT6_jjT7_P12ihipStream_tbENKUlT_T0_SN_SS_E_clIPjSG_PS9_SI_EEDaS16_S17_SN_SS_EUlS16_E_NS1_11comp_targetILNS1_3genE10ELNS1_11target_archE1201ELNS1_3gpuE5ELNS1_3repE0EEENS1_47radix_sort_onesweep_sort_config_static_selectorELNS0_4arch9wavefront6targetE0EEEvSN_.private_seg_size, 80
	.set _ZN7rocprim17ROCPRIM_400000_NS6detail17trampoline_kernelINS0_14default_configENS1_35radix_sort_onesweep_config_selectorIjN6thrust23THRUST_200600_302600_NS5tupleIffNS6_9null_typeES8_S8_S8_S8_S8_S8_S8_EEEEZZNS1_29radix_sort_onesweep_iterationIS3_Lb0ENS6_6detail15normal_iteratorINS6_10device_ptrIjEEEESG_NSD_INSE_IS9_EEEESI_jNS0_19identity_decomposerENS1_16block_id_wrapperIjLb0EEEEE10hipError_tT1_PNSt15iterator_traitsISN_E10value_typeET2_T3_PNSO_IST_E10value_typeET4_T5_PSY_SZ_PNS1_23onesweep_lookback_stateEbbT6_jjT7_P12ihipStream_tbENKUlT_T0_SN_SS_E_clIPjSG_PS9_SI_EEDaS16_S17_SN_SS_EUlS16_E_NS1_11comp_targetILNS1_3genE10ELNS1_11target_archE1201ELNS1_3gpuE5ELNS1_3repE0EEENS1_47radix_sort_onesweep_sort_config_static_selectorELNS0_4arch9wavefront6targetE0EEEvSN_.uses_vcc, 1
	.set _ZN7rocprim17ROCPRIM_400000_NS6detail17trampoline_kernelINS0_14default_configENS1_35radix_sort_onesweep_config_selectorIjN6thrust23THRUST_200600_302600_NS5tupleIffNS6_9null_typeES8_S8_S8_S8_S8_S8_S8_EEEEZZNS1_29radix_sort_onesweep_iterationIS3_Lb0ENS6_6detail15normal_iteratorINS6_10device_ptrIjEEEESG_NSD_INSE_IS9_EEEESI_jNS0_19identity_decomposerENS1_16block_id_wrapperIjLb0EEEEE10hipError_tT1_PNSt15iterator_traitsISN_E10value_typeET2_T3_PNSO_IST_E10value_typeET4_T5_PSY_SZ_PNS1_23onesweep_lookback_stateEbbT6_jjT7_P12ihipStream_tbENKUlT_T0_SN_SS_E_clIPjSG_PS9_SI_EEDaS16_S17_SN_SS_EUlS16_E_NS1_11comp_targetILNS1_3genE10ELNS1_11target_archE1201ELNS1_3gpuE5ELNS1_3repE0EEENS1_47radix_sort_onesweep_sort_config_static_selectorELNS0_4arch9wavefront6targetE0EEEvSN_.uses_flat_scratch, 1
	.set _ZN7rocprim17ROCPRIM_400000_NS6detail17trampoline_kernelINS0_14default_configENS1_35radix_sort_onesweep_config_selectorIjN6thrust23THRUST_200600_302600_NS5tupleIffNS6_9null_typeES8_S8_S8_S8_S8_S8_S8_EEEEZZNS1_29radix_sort_onesweep_iterationIS3_Lb0ENS6_6detail15normal_iteratorINS6_10device_ptrIjEEEESG_NSD_INSE_IS9_EEEESI_jNS0_19identity_decomposerENS1_16block_id_wrapperIjLb0EEEEE10hipError_tT1_PNSt15iterator_traitsISN_E10value_typeET2_T3_PNSO_IST_E10value_typeET4_T5_PSY_SZ_PNS1_23onesweep_lookback_stateEbbT6_jjT7_P12ihipStream_tbENKUlT_T0_SN_SS_E_clIPjSG_PS9_SI_EEDaS16_S17_SN_SS_EUlS16_E_NS1_11comp_targetILNS1_3genE10ELNS1_11target_archE1201ELNS1_3gpuE5ELNS1_3repE0EEENS1_47radix_sort_onesweep_sort_config_static_selectorELNS0_4arch9wavefront6targetE0EEEvSN_.has_dyn_sized_stack, 0
	.set _ZN7rocprim17ROCPRIM_400000_NS6detail17trampoline_kernelINS0_14default_configENS1_35radix_sort_onesweep_config_selectorIjN6thrust23THRUST_200600_302600_NS5tupleIffNS6_9null_typeES8_S8_S8_S8_S8_S8_S8_EEEEZZNS1_29radix_sort_onesweep_iterationIS3_Lb0ENS6_6detail15normal_iteratorINS6_10device_ptrIjEEEESG_NSD_INSE_IS9_EEEESI_jNS0_19identity_decomposerENS1_16block_id_wrapperIjLb0EEEEE10hipError_tT1_PNSt15iterator_traitsISN_E10value_typeET2_T3_PNSO_IST_E10value_typeET4_T5_PSY_SZ_PNS1_23onesweep_lookback_stateEbbT6_jjT7_P12ihipStream_tbENKUlT_T0_SN_SS_E_clIPjSG_PS9_SI_EEDaS16_S17_SN_SS_EUlS16_E_NS1_11comp_targetILNS1_3genE10ELNS1_11target_archE1201ELNS1_3gpuE5ELNS1_3repE0EEENS1_47radix_sort_onesweep_sort_config_static_selectorELNS0_4arch9wavefront6targetE0EEEvSN_.has_recursion, 0
	.set _ZN7rocprim17ROCPRIM_400000_NS6detail17trampoline_kernelINS0_14default_configENS1_35radix_sort_onesweep_config_selectorIjN6thrust23THRUST_200600_302600_NS5tupleIffNS6_9null_typeES8_S8_S8_S8_S8_S8_S8_EEEEZZNS1_29radix_sort_onesweep_iterationIS3_Lb0ENS6_6detail15normal_iteratorINS6_10device_ptrIjEEEESG_NSD_INSE_IS9_EEEESI_jNS0_19identity_decomposerENS1_16block_id_wrapperIjLb0EEEEE10hipError_tT1_PNSt15iterator_traitsISN_E10value_typeET2_T3_PNSO_IST_E10value_typeET4_T5_PSY_SZ_PNS1_23onesweep_lookback_stateEbbT6_jjT7_P12ihipStream_tbENKUlT_T0_SN_SS_E_clIPjSG_PS9_SI_EEDaS16_S17_SN_SS_EUlS16_E_NS1_11comp_targetILNS1_3genE10ELNS1_11target_archE1201ELNS1_3gpuE5ELNS1_3repE0EEENS1_47radix_sort_onesweep_sort_config_static_selectorELNS0_4arch9wavefront6targetE0EEEvSN_.has_indirect_call, 0
	.section	.AMDGPU.csdata,"",@progbits
; Kernel info:
; codeLenInByte = 21936
; TotalNumSgprs: 51
; NumVgprs: 81
; ScratchSize: 80
; MemoryBound: 0
; FloatMode: 240
; IeeeMode: 1
; LDSByteSize: 37000 bytes/workgroup (compile time only)
; SGPRBlocks: 0
; VGPRBlocks: 10
; NumSGPRsForWavesPerEU: 51
; NumVGPRsForWavesPerEU: 81
; Occupancy: 16
; WaveLimiterHint : 1
; COMPUTE_PGM_RSRC2:SCRATCH_EN: 1
; COMPUTE_PGM_RSRC2:USER_SGPR: 2
; COMPUTE_PGM_RSRC2:TRAP_HANDLER: 0
; COMPUTE_PGM_RSRC2:TGID_X_EN: 1
; COMPUTE_PGM_RSRC2:TGID_Y_EN: 0
; COMPUTE_PGM_RSRC2:TGID_Z_EN: 0
; COMPUTE_PGM_RSRC2:TIDIG_COMP_CNT: 2
	.section	.text._ZN7rocprim17ROCPRIM_400000_NS6detail17trampoline_kernelINS0_14default_configENS1_35radix_sort_onesweep_config_selectorIjN6thrust23THRUST_200600_302600_NS5tupleIffNS6_9null_typeES8_S8_S8_S8_S8_S8_S8_EEEEZZNS1_29radix_sort_onesweep_iterationIS3_Lb0ENS6_6detail15normal_iteratorINS6_10device_ptrIjEEEESG_NSD_INSE_IS9_EEEESI_jNS0_19identity_decomposerENS1_16block_id_wrapperIjLb0EEEEE10hipError_tT1_PNSt15iterator_traitsISN_E10value_typeET2_T3_PNSO_IST_E10value_typeET4_T5_PSY_SZ_PNS1_23onesweep_lookback_stateEbbT6_jjT7_P12ihipStream_tbENKUlT_T0_SN_SS_E_clIPjSG_PS9_SI_EEDaS16_S17_SN_SS_EUlS16_E_NS1_11comp_targetILNS1_3genE9ELNS1_11target_archE1100ELNS1_3gpuE3ELNS1_3repE0EEENS1_47radix_sort_onesweep_sort_config_static_selectorELNS0_4arch9wavefront6targetE0EEEvSN_,"axG",@progbits,_ZN7rocprim17ROCPRIM_400000_NS6detail17trampoline_kernelINS0_14default_configENS1_35radix_sort_onesweep_config_selectorIjN6thrust23THRUST_200600_302600_NS5tupleIffNS6_9null_typeES8_S8_S8_S8_S8_S8_S8_EEEEZZNS1_29radix_sort_onesweep_iterationIS3_Lb0ENS6_6detail15normal_iteratorINS6_10device_ptrIjEEEESG_NSD_INSE_IS9_EEEESI_jNS0_19identity_decomposerENS1_16block_id_wrapperIjLb0EEEEE10hipError_tT1_PNSt15iterator_traitsISN_E10value_typeET2_T3_PNSO_IST_E10value_typeET4_T5_PSY_SZ_PNS1_23onesweep_lookback_stateEbbT6_jjT7_P12ihipStream_tbENKUlT_T0_SN_SS_E_clIPjSG_PS9_SI_EEDaS16_S17_SN_SS_EUlS16_E_NS1_11comp_targetILNS1_3genE9ELNS1_11target_archE1100ELNS1_3gpuE3ELNS1_3repE0EEENS1_47radix_sort_onesweep_sort_config_static_selectorELNS0_4arch9wavefront6targetE0EEEvSN_,comdat
	.protected	_ZN7rocprim17ROCPRIM_400000_NS6detail17trampoline_kernelINS0_14default_configENS1_35radix_sort_onesweep_config_selectorIjN6thrust23THRUST_200600_302600_NS5tupleIffNS6_9null_typeES8_S8_S8_S8_S8_S8_S8_EEEEZZNS1_29radix_sort_onesweep_iterationIS3_Lb0ENS6_6detail15normal_iteratorINS6_10device_ptrIjEEEESG_NSD_INSE_IS9_EEEESI_jNS0_19identity_decomposerENS1_16block_id_wrapperIjLb0EEEEE10hipError_tT1_PNSt15iterator_traitsISN_E10value_typeET2_T3_PNSO_IST_E10value_typeET4_T5_PSY_SZ_PNS1_23onesweep_lookback_stateEbbT6_jjT7_P12ihipStream_tbENKUlT_T0_SN_SS_E_clIPjSG_PS9_SI_EEDaS16_S17_SN_SS_EUlS16_E_NS1_11comp_targetILNS1_3genE9ELNS1_11target_archE1100ELNS1_3gpuE3ELNS1_3repE0EEENS1_47radix_sort_onesweep_sort_config_static_selectorELNS0_4arch9wavefront6targetE0EEEvSN_ ; -- Begin function _ZN7rocprim17ROCPRIM_400000_NS6detail17trampoline_kernelINS0_14default_configENS1_35radix_sort_onesweep_config_selectorIjN6thrust23THRUST_200600_302600_NS5tupleIffNS6_9null_typeES8_S8_S8_S8_S8_S8_S8_EEEEZZNS1_29radix_sort_onesweep_iterationIS3_Lb0ENS6_6detail15normal_iteratorINS6_10device_ptrIjEEEESG_NSD_INSE_IS9_EEEESI_jNS0_19identity_decomposerENS1_16block_id_wrapperIjLb0EEEEE10hipError_tT1_PNSt15iterator_traitsISN_E10value_typeET2_T3_PNSO_IST_E10value_typeET4_T5_PSY_SZ_PNS1_23onesweep_lookback_stateEbbT6_jjT7_P12ihipStream_tbENKUlT_T0_SN_SS_E_clIPjSG_PS9_SI_EEDaS16_S17_SN_SS_EUlS16_E_NS1_11comp_targetILNS1_3genE9ELNS1_11target_archE1100ELNS1_3gpuE3ELNS1_3repE0EEENS1_47radix_sort_onesweep_sort_config_static_selectorELNS0_4arch9wavefront6targetE0EEEvSN_
	.globl	_ZN7rocprim17ROCPRIM_400000_NS6detail17trampoline_kernelINS0_14default_configENS1_35radix_sort_onesweep_config_selectorIjN6thrust23THRUST_200600_302600_NS5tupleIffNS6_9null_typeES8_S8_S8_S8_S8_S8_S8_EEEEZZNS1_29radix_sort_onesweep_iterationIS3_Lb0ENS6_6detail15normal_iteratorINS6_10device_ptrIjEEEESG_NSD_INSE_IS9_EEEESI_jNS0_19identity_decomposerENS1_16block_id_wrapperIjLb0EEEEE10hipError_tT1_PNSt15iterator_traitsISN_E10value_typeET2_T3_PNSO_IST_E10value_typeET4_T5_PSY_SZ_PNS1_23onesweep_lookback_stateEbbT6_jjT7_P12ihipStream_tbENKUlT_T0_SN_SS_E_clIPjSG_PS9_SI_EEDaS16_S17_SN_SS_EUlS16_E_NS1_11comp_targetILNS1_3genE9ELNS1_11target_archE1100ELNS1_3gpuE3ELNS1_3repE0EEENS1_47radix_sort_onesweep_sort_config_static_selectorELNS0_4arch9wavefront6targetE0EEEvSN_
	.p2align	8
	.type	_ZN7rocprim17ROCPRIM_400000_NS6detail17trampoline_kernelINS0_14default_configENS1_35radix_sort_onesweep_config_selectorIjN6thrust23THRUST_200600_302600_NS5tupleIffNS6_9null_typeES8_S8_S8_S8_S8_S8_S8_EEEEZZNS1_29radix_sort_onesweep_iterationIS3_Lb0ENS6_6detail15normal_iteratorINS6_10device_ptrIjEEEESG_NSD_INSE_IS9_EEEESI_jNS0_19identity_decomposerENS1_16block_id_wrapperIjLb0EEEEE10hipError_tT1_PNSt15iterator_traitsISN_E10value_typeET2_T3_PNSO_IST_E10value_typeET4_T5_PSY_SZ_PNS1_23onesweep_lookback_stateEbbT6_jjT7_P12ihipStream_tbENKUlT_T0_SN_SS_E_clIPjSG_PS9_SI_EEDaS16_S17_SN_SS_EUlS16_E_NS1_11comp_targetILNS1_3genE9ELNS1_11target_archE1100ELNS1_3gpuE3ELNS1_3repE0EEENS1_47radix_sort_onesweep_sort_config_static_selectorELNS0_4arch9wavefront6targetE0EEEvSN_,@function
_ZN7rocprim17ROCPRIM_400000_NS6detail17trampoline_kernelINS0_14default_configENS1_35radix_sort_onesweep_config_selectorIjN6thrust23THRUST_200600_302600_NS5tupleIffNS6_9null_typeES8_S8_S8_S8_S8_S8_S8_EEEEZZNS1_29radix_sort_onesweep_iterationIS3_Lb0ENS6_6detail15normal_iteratorINS6_10device_ptrIjEEEESG_NSD_INSE_IS9_EEEESI_jNS0_19identity_decomposerENS1_16block_id_wrapperIjLb0EEEEE10hipError_tT1_PNSt15iterator_traitsISN_E10value_typeET2_T3_PNSO_IST_E10value_typeET4_T5_PSY_SZ_PNS1_23onesweep_lookback_stateEbbT6_jjT7_P12ihipStream_tbENKUlT_T0_SN_SS_E_clIPjSG_PS9_SI_EEDaS16_S17_SN_SS_EUlS16_E_NS1_11comp_targetILNS1_3genE9ELNS1_11target_archE1100ELNS1_3gpuE3ELNS1_3repE0EEENS1_47radix_sort_onesweep_sort_config_static_selectorELNS0_4arch9wavefront6targetE0EEEvSN_: ; @_ZN7rocprim17ROCPRIM_400000_NS6detail17trampoline_kernelINS0_14default_configENS1_35radix_sort_onesweep_config_selectorIjN6thrust23THRUST_200600_302600_NS5tupleIffNS6_9null_typeES8_S8_S8_S8_S8_S8_S8_EEEEZZNS1_29radix_sort_onesweep_iterationIS3_Lb0ENS6_6detail15normal_iteratorINS6_10device_ptrIjEEEESG_NSD_INSE_IS9_EEEESI_jNS0_19identity_decomposerENS1_16block_id_wrapperIjLb0EEEEE10hipError_tT1_PNSt15iterator_traitsISN_E10value_typeET2_T3_PNSO_IST_E10value_typeET4_T5_PSY_SZ_PNS1_23onesweep_lookback_stateEbbT6_jjT7_P12ihipStream_tbENKUlT_T0_SN_SS_E_clIPjSG_PS9_SI_EEDaS16_S17_SN_SS_EUlS16_E_NS1_11comp_targetILNS1_3genE9ELNS1_11target_archE1100ELNS1_3gpuE3ELNS1_3repE0EEENS1_47radix_sort_onesweep_sort_config_static_selectorELNS0_4arch9wavefront6targetE0EEEvSN_
; %bb.0:
	.section	.rodata,"a",@progbits
	.p2align	6, 0x0
	.amdhsa_kernel _ZN7rocprim17ROCPRIM_400000_NS6detail17trampoline_kernelINS0_14default_configENS1_35radix_sort_onesweep_config_selectorIjN6thrust23THRUST_200600_302600_NS5tupleIffNS6_9null_typeES8_S8_S8_S8_S8_S8_S8_EEEEZZNS1_29radix_sort_onesweep_iterationIS3_Lb0ENS6_6detail15normal_iteratorINS6_10device_ptrIjEEEESG_NSD_INSE_IS9_EEEESI_jNS0_19identity_decomposerENS1_16block_id_wrapperIjLb0EEEEE10hipError_tT1_PNSt15iterator_traitsISN_E10value_typeET2_T3_PNSO_IST_E10value_typeET4_T5_PSY_SZ_PNS1_23onesweep_lookback_stateEbbT6_jjT7_P12ihipStream_tbENKUlT_T0_SN_SS_E_clIPjSG_PS9_SI_EEDaS16_S17_SN_SS_EUlS16_E_NS1_11comp_targetILNS1_3genE9ELNS1_11target_archE1100ELNS1_3gpuE3ELNS1_3repE0EEENS1_47radix_sort_onesweep_sort_config_static_selectorELNS0_4arch9wavefront6targetE0EEEvSN_
		.amdhsa_group_segment_fixed_size 0
		.amdhsa_private_segment_fixed_size 0
		.amdhsa_kernarg_size 88
		.amdhsa_user_sgpr_count 2
		.amdhsa_user_sgpr_dispatch_ptr 0
		.amdhsa_user_sgpr_queue_ptr 0
		.amdhsa_user_sgpr_kernarg_segment_ptr 1
		.amdhsa_user_sgpr_dispatch_id 0
		.amdhsa_user_sgpr_private_segment_size 0
		.amdhsa_wavefront_size32 1
		.amdhsa_uses_dynamic_stack 0
		.amdhsa_enable_private_segment 0
		.amdhsa_system_sgpr_workgroup_id_x 1
		.amdhsa_system_sgpr_workgroup_id_y 0
		.amdhsa_system_sgpr_workgroup_id_z 0
		.amdhsa_system_sgpr_workgroup_info 0
		.amdhsa_system_vgpr_workitem_id 0
		.amdhsa_next_free_vgpr 1
		.amdhsa_next_free_sgpr 1
		.amdhsa_reserve_vcc 0
		.amdhsa_float_round_mode_32 0
		.amdhsa_float_round_mode_16_64 0
		.amdhsa_float_denorm_mode_32 3
		.amdhsa_float_denorm_mode_16_64 3
		.amdhsa_fp16_overflow 0
		.amdhsa_workgroup_processor_mode 1
		.amdhsa_memory_ordered 1
		.amdhsa_forward_progress 1
		.amdhsa_inst_pref_size 0
		.amdhsa_round_robin_scheduling 0
		.amdhsa_exception_fp_ieee_invalid_op 0
		.amdhsa_exception_fp_denorm_src 0
		.amdhsa_exception_fp_ieee_div_zero 0
		.amdhsa_exception_fp_ieee_overflow 0
		.amdhsa_exception_fp_ieee_underflow 0
		.amdhsa_exception_fp_ieee_inexact 0
		.amdhsa_exception_int_div_zero 0
	.end_amdhsa_kernel
	.section	.text._ZN7rocprim17ROCPRIM_400000_NS6detail17trampoline_kernelINS0_14default_configENS1_35radix_sort_onesweep_config_selectorIjN6thrust23THRUST_200600_302600_NS5tupleIffNS6_9null_typeES8_S8_S8_S8_S8_S8_S8_EEEEZZNS1_29radix_sort_onesweep_iterationIS3_Lb0ENS6_6detail15normal_iteratorINS6_10device_ptrIjEEEESG_NSD_INSE_IS9_EEEESI_jNS0_19identity_decomposerENS1_16block_id_wrapperIjLb0EEEEE10hipError_tT1_PNSt15iterator_traitsISN_E10value_typeET2_T3_PNSO_IST_E10value_typeET4_T5_PSY_SZ_PNS1_23onesweep_lookback_stateEbbT6_jjT7_P12ihipStream_tbENKUlT_T0_SN_SS_E_clIPjSG_PS9_SI_EEDaS16_S17_SN_SS_EUlS16_E_NS1_11comp_targetILNS1_3genE9ELNS1_11target_archE1100ELNS1_3gpuE3ELNS1_3repE0EEENS1_47radix_sort_onesweep_sort_config_static_selectorELNS0_4arch9wavefront6targetE0EEEvSN_,"axG",@progbits,_ZN7rocprim17ROCPRIM_400000_NS6detail17trampoline_kernelINS0_14default_configENS1_35radix_sort_onesweep_config_selectorIjN6thrust23THRUST_200600_302600_NS5tupleIffNS6_9null_typeES8_S8_S8_S8_S8_S8_S8_EEEEZZNS1_29radix_sort_onesweep_iterationIS3_Lb0ENS6_6detail15normal_iteratorINS6_10device_ptrIjEEEESG_NSD_INSE_IS9_EEEESI_jNS0_19identity_decomposerENS1_16block_id_wrapperIjLb0EEEEE10hipError_tT1_PNSt15iterator_traitsISN_E10value_typeET2_T3_PNSO_IST_E10value_typeET4_T5_PSY_SZ_PNS1_23onesweep_lookback_stateEbbT6_jjT7_P12ihipStream_tbENKUlT_T0_SN_SS_E_clIPjSG_PS9_SI_EEDaS16_S17_SN_SS_EUlS16_E_NS1_11comp_targetILNS1_3genE9ELNS1_11target_archE1100ELNS1_3gpuE3ELNS1_3repE0EEENS1_47radix_sort_onesweep_sort_config_static_selectorELNS0_4arch9wavefront6targetE0EEEvSN_,comdat
.Lfunc_end227:
	.size	_ZN7rocprim17ROCPRIM_400000_NS6detail17trampoline_kernelINS0_14default_configENS1_35radix_sort_onesweep_config_selectorIjN6thrust23THRUST_200600_302600_NS5tupleIffNS6_9null_typeES8_S8_S8_S8_S8_S8_S8_EEEEZZNS1_29radix_sort_onesweep_iterationIS3_Lb0ENS6_6detail15normal_iteratorINS6_10device_ptrIjEEEESG_NSD_INSE_IS9_EEEESI_jNS0_19identity_decomposerENS1_16block_id_wrapperIjLb0EEEEE10hipError_tT1_PNSt15iterator_traitsISN_E10value_typeET2_T3_PNSO_IST_E10value_typeET4_T5_PSY_SZ_PNS1_23onesweep_lookback_stateEbbT6_jjT7_P12ihipStream_tbENKUlT_T0_SN_SS_E_clIPjSG_PS9_SI_EEDaS16_S17_SN_SS_EUlS16_E_NS1_11comp_targetILNS1_3genE9ELNS1_11target_archE1100ELNS1_3gpuE3ELNS1_3repE0EEENS1_47radix_sort_onesweep_sort_config_static_selectorELNS0_4arch9wavefront6targetE0EEEvSN_, .Lfunc_end227-_ZN7rocprim17ROCPRIM_400000_NS6detail17trampoline_kernelINS0_14default_configENS1_35radix_sort_onesweep_config_selectorIjN6thrust23THRUST_200600_302600_NS5tupleIffNS6_9null_typeES8_S8_S8_S8_S8_S8_S8_EEEEZZNS1_29radix_sort_onesweep_iterationIS3_Lb0ENS6_6detail15normal_iteratorINS6_10device_ptrIjEEEESG_NSD_INSE_IS9_EEEESI_jNS0_19identity_decomposerENS1_16block_id_wrapperIjLb0EEEEE10hipError_tT1_PNSt15iterator_traitsISN_E10value_typeET2_T3_PNSO_IST_E10value_typeET4_T5_PSY_SZ_PNS1_23onesweep_lookback_stateEbbT6_jjT7_P12ihipStream_tbENKUlT_T0_SN_SS_E_clIPjSG_PS9_SI_EEDaS16_S17_SN_SS_EUlS16_E_NS1_11comp_targetILNS1_3genE9ELNS1_11target_archE1100ELNS1_3gpuE3ELNS1_3repE0EEENS1_47radix_sort_onesweep_sort_config_static_selectorELNS0_4arch9wavefront6targetE0EEEvSN_
                                        ; -- End function
	.set _ZN7rocprim17ROCPRIM_400000_NS6detail17trampoline_kernelINS0_14default_configENS1_35radix_sort_onesweep_config_selectorIjN6thrust23THRUST_200600_302600_NS5tupleIffNS6_9null_typeES8_S8_S8_S8_S8_S8_S8_EEEEZZNS1_29radix_sort_onesweep_iterationIS3_Lb0ENS6_6detail15normal_iteratorINS6_10device_ptrIjEEEESG_NSD_INSE_IS9_EEEESI_jNS0_19identity_decomposerENS1_16block_id_wrapperIjLb0EEEEE10hipError_tT1_PNSt15iterator_traitsISN_E10value_typeET2_T3_PNSO_IST_E10value_typeET4_T5_PSY_SZ_PNS1_23onesweep_lookback_stateEbbT6_jjT7_P12ihipStream_tbENKUlT_T0_SN_SS_E_clIPjSG_PS9_SI_EEDaS16_S17_SN_SS_EUlS16_E_NS1_11comp_targetILNS1_3genE9ELNS1_11target_archE1100ELNS1_3gpuE3ELNS1_3repE0EEENS1_47radix_sort_onesweep_sort_config_static_selectorELNS0_4arch9wavefront6targetE0EEEvSN_.num_vgpr, 0
	.set _ZN7rocprim17ROCPRIM_400000_NS6detail17trampoline_kernelINS0_14default_configENS1_35radix_sort_onesweep_config_selectorIjN6thrust23THRUST_200600_302600_NS5tupleIffNS6_9null_typeES8_S8_S8_S8_S8_S8_S8_EEEEZZNS1_29radix_sort_onesweep_iterationIS3_Lb0ENS6_6detail15normal_iteratorINS6_10device_ptrIjEEEESG_NSD_INSE_IS9_EEEESI_jNS0_19identity_decomposerENS1_16block_id_wrapperIjLb0EEEEE10hipError_tT1_PNSt15iterator_traitsISN_E10value_typeET2_T3_PNSO_IST_E10value_typeET4_T5_PSY_SZ_PNS1_23onesweep_lookback_stateEbbT6_jjT7_P12ihipStream_tbENKUlT_T0_SN_SS_E_clIPjSG_PS9_SI_EEDaS16_S17_SN_SS_EUlS16_E_NS1_11comp_targetILNS1_3genE9ELNS1_11target_archE1100ELNS1_3gpuE3ELNS1_3repE0EEENS1_47radix_sort_onesweep_sort_config_static_selectorELNS0_4arch9wavefront6targetE0EEEvSN_.num_agpr, 0
	.set _ZN7rocprim17ROCPRIM_400000_NS6detail17trampoline_kernelINS0_14default_configENS1_35radix_sort_onesweep_config_selectorIjN6thrust23THRUST_200600_302600_NS5tupleIffNS6_9null_typeES8_S8_S8_S8_S8_S8_S8_EEEEZZNS1_29radix_sort_onesweep_iterationIS3_Lb0ENS6_6detail15normal_iteratorINS6_10device_ptrIjEEEESG_NSD_INSE_IS9_EEEESI_jNS0_19identity_decomposerENS1_16block_id_wrapperIjLb0EEEEE10hipError_tT1_PNSt15iterator_traitsISN_E10value_typeET2_T3_PNSO_IST_E10value_typeET4_T5_PSY_SZ_PNS1_23onesweep_lookback_stateEbbT6_jjT7_P12ihipStream_tbENKUlT_T0_SN_SS_E_clIPjSG_PS9_SI_EEDaS16_S17_SN_SS_EUlS16_E_NS1_11comp_targetILNS1_3genE9ELNS1_11target_archE1100ELNS1_3gpuE3ELNS1_3repE0EEENS1_47radix_sort_onesweep_sort_config_static_selectorELNS0_4arch9wavefront6targetE0EEEvSN_.numbered_sgpr, 0
	.set _ZN7rocprim17ROCPRIM_400000_NS6detail17trampoline_kernelINS0_14default_configENS1_35radix_sort_onesweep_config_selectorIjN6thrust23THRUST_200600_302600_NS5tupleIffNS6_9null_typeES8_S8_S8_S8_S8_S8_S8_EEEEZZNS1_29radix_sort_onesweep_iterationIS3_Lb0ENS6_6detail15normal_iteratorINS6_10device_ptrIjEEEESG_NSD_INSE_IS9_EEEESI_jNS0_19identity_decomposerENS1_16block_id_wrapperIjLb0EEEEE10hipError_tT1_PNSt15iterator_traitsISN_E10value_typeET2_T3_PNSO_IST_E10value_typeET4_T5_PSY_SZ_PNS1_23onesweep_lookback_stateEbbT6_jjT7_P12ihipStream_tbENKUlT_T0_SN_SS_E_clIPjSG_PS9_SI_EEDaS16_S17_SN_SS_EUlS16_E_NS1_11comp_targetILNS1_3genE9ELNS1_11target_archE1100ELNS1_3gpuE3ELNS1_3repE0EEENS1_47radix_sort_onesweep_sort_config_static_selectorELNS0_4arch9wavefront6targetE0EEEvSN_.num_named_barrier, 0
	.set _ZN7rocprim17ROCPRIM_400000_NS6detail17trampoline_kernelINS0_14default_configENS1_35radix_sort_onesweep_config_selectorIjN6thrust23THRUST_200600_302600_NS5tupleIffNS6_9null_typeES8_S8_S8_S8_S8_S8_S8_EEEEZZNS1_29radix_sort_onesweep_iterationIS3_Lb0ENS6_6detail15normal_iteratorINS6_10device_ptrIjEEEESG_NSD_INSE_IS9_EEEESI_jNS0_19identity_decomposerENS1_16block_id_wrapperIjLb0EEEEE10hipError_tT1_PNSt15iterator_traitsISN_E10value_typeET2_T3_PNSO_IST_E10value_typeET4_T5_PSY_SZ_PNS1_23onesweep_lookback_stateEbbT6_jjT7_P12ihipStream_tbENKUlT_T0_SN_SS_E_clIPjSG_PS9_SI_EEDaS16_S17_SN_SS_EUlS16_E_NS1_11comp_targetILNS1_3genE9ELNS1_11target_archE1100ELNS1_3gpuE3ELNS1_3repE0EEENS1_47radix_sort_onesweep_sort_config_static_selectorELNS0_4arch9wavefront6targetE0EEEvSN_.private_seg_size, 0
	.set _ZN7rocprim17ROCPRIM_400000_NS6detail17trampoline_kernelINS0_14default_configENS1_35radix_sort_onesweep_config_selectorIjN6thrust23THRUST_200600_302600_NS5tupleIffNS6_9null_typeES8_S8_S8_S8_S8_S8_S8_EEEEZZNS1_29radix_sort_onesweep_iterationIS3_Lb0ENS6_6detail15normal_iteratorINS6_10device_ptrIjEEEESG_NSD_INSE_IS9_EEEESI_jNS0_19identity_decomposerENS1_16block_id_wrapperIjLb0EEEEE10hipError_tT1_PNSt15iterator_traitsISN_E10value_typeET2_T3_PNSO_IST_E10value_typeET4_T5_PSY_SZ_PNS1_23onesweep_lookback_stateEbbT6_jjT7_P12ihipStream_tbENKUlT_T0_SN_SS_E_clIPjSG_PS9_SI_EEDaS16_S17_SN_SS_EUlS16_E_NS1_11comp_targetILNS1_3genE9ELNS1_11target_archE1100ELNS1_3gpuE3ELNS1_3repE0EEENS1_47radix_sort_onesweep_sort_config_static_selectorELNS0_4arch9wavefront6targetE0EEEvSN_.uses_vcc, 0
	.set _ZN7rocprim17ROCPRIM_400000_NS6detail17trampoline_kernelINS0_14default_configENS1_35radix_sort_onesweep_config_selectorIjN6thrust23THRUST_200600_302600_NS5tupleIffNS6_9null_typeES8_S8_S8_S8_S8_S8_S8_EEEEZZNS1_29radix_sort_onesweep_iterationIS3_Lb0ENS6_6detail15normal_iteratorINS6_10device_ptrIjEEEESG_NSD_INSE_IS9_EEEESI_jNS0_19identity_decomposerENS1_16block_id_wrapperIjLb0EEEEE10hipError_tT1_PNSt15iterator_traitsISN_E10value_typeET2_T3_PNSO_IST_E10value_typeET4_T5_PSY_SZ_PNS1_23onesweep_lookback_stateEbbT6_jjT7_P12ihipStream_tbENKUlT_T0_SN_SS_E_clIPjSG_PS9_SI_EEDaS16_S17_SN_SS_EUlS16_E_NS1_11comp_targetILNS1_3genE9ELNS1_11target_archE1100ELNS1_3gpuE3ELNS1_3repE0EEENS1_47radix_sort_onesweep_sort_config_static_selectorELNS0_4arch9wavefront6targetE0EEEvSN_.uses_flat_scratch, 0
	.set _ZN7rocprim17ROCPRIM_400000_NS6detail17trampoline_kernelINS0_14default_configENS1_35radix_sort_onesweep_config_selectorIjN6thrust23THRUST_200600_302600_NS5tupleIffNS6_9null_typeES8_S8_S8_S8_S8_S8_S8_EEEEZZNS1_29radix_sort_onesweep_iterationIS3_Lb0ENS6_6detail15normal_iteratorINS6_10device_ptrIjEEEESG_NSD_INSE_IS9_EEEESI_jNS0_19identity_decomposerENS1_16block_id_wrapperIjLb0EEEEE10hipError_tT1_PNSt15iterator_traitsISN_E10value_typeET2_T3_PNSO_IST_E10value_typeET4_T5_PSY_SZ_PNS1_23onesweep_lookback_stateEbbT6_jjT7_P12ihipStream_tbENKUlT_T0_SN_SS_E_clIPjSG_PS9_SI_EEDaS16_S17_SN_SS_EUlS16_E_NS1_11comp_targetILNS1_3genE9ELNS1_11target_archE1100ELNS1_3gpuE3ELNS1_3repE0EEENS1_47radix_sort_onesweep_sort_config_static_selectorELNS0_4arch9wavefront6targetE0EEEvSN_.has_dyn_sized_stack, 0
	.set _ZN7rocprim17ROCPRIM_400000_NS6detail17trampoline_kernelINS0_14default_configENS1_35radix_sort_onesweep_config_selectorIjN6thrust23THRUST_200600_302600_NS5tupleIffNS6_9null_typeES8_S8_S8_S8_S8_S8_S8_EEEEZZNS1_29radix_sort_onesweep_iterationIS3_Lb0ENS6_6detail15normal_iteratorINS6_10device_ptrIjEEEESG_NSD_INSE_IS9_EEEESI_jNS0_19identity_decomposerENS1_16block_id_wrapperIjLb0EEEEE10hipError_tT1_PNSt15iterator_traitsISN_E10value_typeET2_T3_PNSO_IST_E10value_typeET4_T5_PSY_SZ_PNS1_23onesweep_lookback_stateEbbT6_jjT7_P12ihipStream_tbENKUlT_T0_SN_SS_E_clIPjSG_PS9_SI_EEDaS16_S17_SN_SS_EUlS16_E_NS1_11comp_targetILNS1_3genE9ELNS1_11target_archE1100ELNS1_3gpuE3ELNS1_3repE0EEENS1_47radix_sort_onesweep_sort_config_static_selectorELNS0_4arch9wavefront6targetE0EEEvSN_.has_recursion, 0
	.set _ZN7rocprim17ROCPRIM_400000_NS6detail17trampoline_kernelINS0_14default_configENS1_35radix_sort_onesweep_config_selectorIjN6thrust23THRUST_200600_302600_NS5tupleIffNS6_9null_typeES8_S8_S8_S8_S8_S8_S8_EEEEZZNS1_29radix_sort_onesweep_iterationIS3_Lb0ENS6_6detail15normal_iteratorINS6_10device_ptrIjEEEESG_NSD_INSE_IS9_EEEESI_jNS0_19identity_decomposerENS1_16block_id_wrapperIjLb0EEEEE10hipError_tT1_PNSt15iterator_traitsISN_E10value_typeET2_T3_PNSO_IST_E10value_typeET4_T5_PSY_SZ_PNS1_23onesweep_lookback_stateEbbT6_jjT7_P12ihipStream_tbENKUlT_T0_SN_SS_E_clIPjSG_PS9_SI_EEDaS16_S17_SN_SS_EUlS16_E_NS1_11comp_targetILNS1_3genE9ELNS1_11target_archE1100ELNS1_3gpuE3ELNS1_3repE0EEENS1_47radix_sort_onesweep_sort_config_static_selectorELNS0_4arch9wavefront6targetE0EEEvSN_.has_indirect_call, 0
	.section	.AMDGPU.csdata,"",@progbits
; Kernel info:
; codeLenInByte = 0
; TotalNumSgprs: 0
; NumVgprs: 0
; ScratchSize: 0
; MemoryBound: 0
; FloatMode: 240
; IeeeMode: 1
; LDSByteSize: 0 bytes/workgroup (compile time only)
; SGPRBlocks: 0
; VGPRBlocks: 0
; NumSGPRsForWavesPerEU: 1
; NumVGPRsForWavesPerEU: 1
; Occupancy: 16
; WaveLimiterHint : 0
; COMPUTE_PGM_RSRC2:SCRATCH_EN: 0
; COMPUTE_PGM_RSRC2:USER_SGPR: 2
; COMPUTE_PGM_RSRC2:TRAP_HANDLER: 0
; COMPUTE_PGM_RSRC2:TGID_X_EN: 1
; COMPUTE_PGM_RSRC2:TGID_Y_EN: 0
; COMPUTE_PGM_RSRC2:TGID_Z_EN: 0
; COMPUTE_PGM_RSRC2:TIDIG_COMP_CNT: 0
	.section	.text._ZN7rocprim17ROCPRIM_400000_NS6detail17trampoline_kernelINS0_14default_configENS1_35radix_sort_onesweep_config_selectorIjN6thrust23THRUST_200600_302600_NS5tupleIffNS6_9null_typeES8_S8_S8_S8_S8_S8_S8_EEEEZZNS1_29radix_sort_onesweep_iterationIS3_Lb0ENS6_6detail15normal_iteratorINS6_10device_ptrIjEEEESG_NSD_INSE_IS9_EEEESI_jNS0_19identity_decomposerENS1_16block_id_wrapperIjLb0EEEEE10hipError_tT1_PNSt15iterator_traitsISN_E10value_typeET2_T3_PNSO_IST_E10value_typeET4_T5_PSY_SZ_PNS1_23onesweep_lookback_stateEbbT6_jjT7_P12ihipStream_tbENKUlT_T0_SN_SS_E_clIPjSG_PS9_SI_EEDaS16_S17_SN_SS_EUlS16_E_NS1_11comp_targetILNS1_3genE8ELNS1_11target_archE1030ELNS1_3gpuE2ELNS1_3repE0EEENS1_47radix_sort_onesweep_sort_config_static_selectorELNS0_4arch9wavefront6targetE0EEEvSN_,"axG",@progbits,_ZN7rocprim17ROCPRIM_400000_NS6detail17trampoline_kernelINS0_14default_configENS1_35radix_sort_onesweep_config_selectorIjN6thrust23THRUST_200600_302600_NS5tupleIffNS6_9null_typeES8_S8_S8_S8_S8_S8_S8_EEEEZZNS1_29radix_sort_onesweep_iterationIS3_Lb0ENS6_6detail15normal_iteratorINS6_10device_ptrIjEEEESG_NSD_INSE_IS9_EEEESI_jNS0_19identity_decomposerENS1_16block_id_wrapperIjLb0EEEEE10hipError_tT1_PNSt15iterator_traitsISN_E10value_typeET2_T3_PNSO_IST_E10value_typeET4_T5_PSY_SZ_PNS1_23onesweep_lookback_stateEbbT6_jjT7_P12ihipStream_tbENKUlT_T0_SN_SS_E_clIPjSG_PS9_SI_EEDaS16_S17_SN_SS_EUlS16_E_NS1_11comp_targetILNS1_3genE8ELNS1_11target_archE1030ELNS1_3gpuE2ELNS1_3repE0EEENS1_47radix_sort_onesweep_sort_config_static_selectorELNS0_4arch9wavefront6targetE0EEEvSN_,comdat
	.protected	_ZN7rocprim17ROCPRIM_400000_NS6detail17trampoline_kernelINS0_14default_configENS1_35radix_sort_onesweep_config_selectorIjN6thrust23THRUST_200600_302600_NS5tupleIffNS6_9null_typeES8_S8_S8_S8_S8_S8_S8_EEEEZZNS1_29radix_sort_onesweep_iterationIS3_Lb0ENS6_6detail15normal_iteratorINS6_10device_ptrIjEEEESG_NSD_INSE_IS9_EEEESI_jNS0_19identity_decomposerENS1_16block_id_wrapperIjLb0EEEEE10hipError_tT1_PNSt15iterator_traitsISN_E10value_typeET2_T3_PNSO_IST_E10value_typeET4_T5_PSY_SZ_PNS1_23onesweep_lookback_stateEbbT6_jjT7_P12ihipStream_tbENKUlT_T0_SN_SS_E_clIPjSG_PS9_SI_EEDaS16_S17_SN_SS_EUlS16_E_NS1_11comp_targetILNS1_3genE8ELNS1_11target_archE1030ELNS1_3gpuE2ELNS1_3repE0EEENS1_47radix_sort_onesweep_sort_config_static_selectorELNS0_4arch9wavefront6targetE0EEEvSN_ ; -- Begin function _ZN7rocprim17ROCPRIM_400000_NS6detail17trampoline_kernelINS0_14default_configENS1_35radix_sort_onesweep_config_selectorIjN6thrust23THRUST_200600_302600_NS5tupleIffNS6_9null_typeES8_S8_S8_S8_S8_S8_S8_EEEEZZNS1_29radix_sort_onesweep_iterationIS3_Lb0ENS6_6detail15normal_iteratorINS6_10device_ptrIjEEEESG_NSD_INSE_IS9_EEEESI_jNS0_19identity_decomposerENS1_16block_id_wrapperIjLb0EEEEE10hipError_tT1_PNSt15iterator_traitsISN_E10value_typeET2_T3_PNSO_IST_E10value_typeET4_T5_PSY_SZ_PNS1_23onesweep_lookback_stateEbbT6_jjT7_P12ihipStream_tbENKUlT_T0_SN_SS_E_clIPjSG_PS9_SI_EEDaS16_S17_SN_SS_EUlS16_E_NS1_11comp_targetILNS1_3genE8ELNS1_11target_archE1030ELNS1_3gpuE2ELNS1_3repE0EEENS1_47radix_sort_onesweep_sort_config_static_selectorELNS0_4arch9wavefront6targetE0EEEvSN_
	.globl	_ZN7rocprim17ROCPRIM_400000_NS6detail17trampoline_kernelINS0_14default_configENS1_35radix_sort_onesweep_config_selectorIjN6thrust23THRUST_200600_302600_NS5tupleIffNS6_9null_typeES8_S8_S8_S8_S8_S8_S8_EEEEZZNS1_29radix_sort_onesweep_iterationIS3_Lb0ENS6_6detail15normal_iteratorINS6_10device_ptrIjEEEESG_NSD_INSE_IS9_EEEESI_jNS0_19identity_decomposerENS1_16block_id_wrapperIjLb0EEEEE10hipError_tT1_PNSt15iterator_traitsISN_E10value_typeET2_T3_PNSO_IST_E10value_typeET4_T5_PSY_SZ_PNS1_23onesweep_lookback_stateEbbT6_jjT7_P12ihipStream_tbENKUlT_T0_SN_SS_E_clIPjSG_PS9_SI_EEDaS16_S17_SN_SS_EUlS16_E_NS1_11comp_targetILNS1_3genE8ELNS1_11target_archE1030ELNS1_3gpuE2ELNS1_3repE0EEENS1_47radix_sort_onesweep_sort_config_static_selectorELNS0_4arch9wavefront6targetE0EEEvSN_
	.p2align	8
	.type	_ZN7rocprim17ROCPRIM_400000_NS6detail17trampoline_kernelINS0_14default_configENS1_35radix_sort_onesweep_config_selectorIjN6thrust23THRUST_200600_302600_NS5tupleIffNS6_9null_typeES8_S8_S8_S8_S8_S8_S8_EEEEZZNS1_29radix_sort_onesweep_iterationIS3_Lb0ENS6_6detail15normal_iteratorINS6_10device_ptrIjEEEESG_NSD_INSE_IS9_EEEESI_jNS0_19identity_decomposerENS1_16block_id_wrapperIjLb0EEEEE10hipError_tT1_PNSt15iterator_traitsISN_E10value_typeET2_T3_PNSO_IST_E10value_typeET4_T5_PSY_SZ_PNS1_23onesweep_lookback_stateEbbT6_jjT7_P12ihipStream_tbENKUlT_T0_SN_SS_E_clIPjSG_PS9_SI_EEDaS16_S17_SN_SS_EUlS16_E_NS1_11comp_targetILNS1_3genE8ELNS1_11target_archE1030ELNS1_3gpuE2ELNS1_3repE0EEENS1_47radix_sort_onesweep_sort_config_static_selectorELNS0_4arch9wavefront6targetE0EEEvSN_,@function
_ZN7rocprim17ROCPRIM_400000_NS6detail17trampoline_kernelINS0_14default_configENS1_35radix_sort_onesweep_config_selectorIjN6thrust23THRUST_200600_302600_NS5tupleIffNS6_9null_typeES8_S8_S8_S8_S8_S8_S8_EEEEZZNS1_29radix_sort_onesweep_iterationIS3_Lb0ENS6_6detail15normal_iteratorINS6_10device_ptrIjEEEESG_NSD_INSE_IS9_EEEESI_jNS0_19identity_decomposerENS1_16block_id_wrapperIjLb0EEEEE10hipError_tT1_PNSt15iterator_traitsISN_E10value_typeET2_T3_PNSO_IST_E10value_typeET4_T5_PSY_SZ_PNS1_23onesweep_lookback_stateEbbT6_jjT7_P12ihipStream_tbENKUlT_T0_SN_SS_E_clIPjSG_PS9_SI_EEDaS16_S17_SN_SS_EUlS16_E_NS1_11comp_targetILNS1_3genE8ELNS1_11target_archE1030ELNS1_3gpuE2ELNS1_3repE0EEENS1_47radix_sort_onesweep_sort_config_static_selectorELNS0_4arch9wavefront6targetE0EEEvSN_: ; @_ZN7rocprim17ROCPRIM_400000_NS6detail17trampoline_kernelINS0_14default_configENS1_35radix_sort_onesweep_config_selectorIjN6thrust23THRUST_200600_302600_NS5tupleIffNS6_9null_typeES8_S8_S8_S8_S8_S8_S8_EEEEZZNS1_29radix_sort_onesweep_iterationIS3_Lb0ENS6_6detail15normal_iteratorINS6_10device_ptrIjEEEESG_NSD_INSE_IS9_EEEESI_jNS0_19identity_decomposerENS1_16block_id_wrapperIjLb0EEEEE10hipError_tT1_PNSt15iterator_traitsISN_E10value_typeET2_T3_PNSO_IST_E10value_typeET4_T5_PSY_SZ_PNS1_23onesweep_lookback_stateEbbT6_jjT7_P12ihipStream_tbENKUlT_T0_SN_SS_E_clIPjSG_PS9_SI_EEDaS16_S17_SN_SS_EUlS16_E_NS1_11comp_targetILNS1_3genE8ELNS1_11target_archE1030ELNS1_3gpuE2ELNS1_3repE0EEENS1_47radix_sort_onesweep_sort_config_static_selectorELNS0_4arch9wavefront6targetE0EEEvSN_
; %bb.0:
	.section	.rodata,"a",@progbits
	.p2align	6, 0x0
	.amdhsa_kernel _ZN7rocprim17ROCPRIM_400000_NS6detail17trampoline_kernelINS0_14default_configENS1_35radix_sort_onesweep_config_selectorIjN6thrust23THRUST_200600_302600_NS5tupleIffNS6_9null_typeES8_S8_S8_S8_S8_S8_S8_EEEEZZNS1_29radix_sort_onesweep_iterationIS3_Lb0ENS6_6detail15normal_iteratorINS6_10device_ptrIjEEEESG_NSD_INSE_IS9_EEEESI_jNS0_19identity_decomposerENS1_16block_id_wrapperIjLb0EEEEE10hipError_tT1_PNSt15iterator_traitsISN_E10value_typeET2_T3_PNSO_IST_E10value_typeET4_T5_PSY_SZ_PNS1_23onesweep_lookback_stateEbbT6_jjT7_P12ihipStream_tbENKUlT_T0_SN_SS_E_clIPjSG_PS9_SI_EEDaS16_S17_SN_SS_EUlS16_E_NS1_11comp_targetILNS1_3genE8ELNS1_11target_archE1030ELNS1_3gpuE2ELNS1_3repE0EEENS1_47radix_sort_onesweep_sort_config_static_selectorELNS0_4arch9wavefront6targetE0EEEvSN_
		.amdhsa_group_segment_fixed_size 0
		.amdhsa_private_segment_fixed_size 0
		.amdhsa_kernarg_size 88
		.amdhsa_user_sgpr_count 2
		.amdhsa_user_sgpr_dispatch_ptr 0
		.amdhsa_user_sgpr_queue_ptr 0
		.amdhsa_user_sgpr_kernarg_segment_ptr 1
		.amdhsa_user_sgpr_dispatch_id 0
		.amdhsa_user_sgpr_private_segment_size 0
		.amdhsa_wavefront_size32 1
		.amdhsa_uses_dynamic_stack 0
		.amdhsa_enable_private_segment 0
		.amdhsa_system_sgpr_workgroup_id_x 1
		.amdhsa_system_sgpr_workgroup_id_y 0
		.amdhsa_system_sgpr_workgroup_id_z 0
		.amdhsa_system_sgpr_workgroup_info 0
		.amdhsa_system_vgpr_workitem_id 0
		.amdhsa_next_free_vgpr 1
		.amdhsa_next_free_sgpr 1
		.amdhsa_reserve_vcc 0
		.amdhsa_float_round_mode_32 0
		.amdhsa_float_round_mode_16_64 0
		.amdhsa_float_denorm_mode_32 3
		.amdhsa_float_denorm_mode_16_64 3
		.amdhsa_fp16_overflow 0
		.amdhsa_workgroup_processor_mode 1
		.amdhsa_memory_ordered 1
		.amdhsa_forward_progress 1
		.amdhsa_inst_pref_size 0
		.amdhsa_round_robin_scheduling 0
		.amdhsa_exception_fp_ieee_invalid_op 0
		.amdhsa_exception_fp_denorm_src 0
		.amdhsa_exception_fp_ieee_div_zero 0
		.amdhsa_exception_fp_ieee_overflow 0
		.amdhsa_exception_fp_ieee_underflow 0
		.amdhsa_exception_fp_ieee_inexact 0
		.amdhsa_exception_int_div_zero 0
	.end_amdhsa_kernel
	.section	.text._ZN7rocprim17ROCPRIM_400000_NS6detail17trampoline_kernelINS0_14default_configENS1_35radix_sort_onesweep_config_selectorIjN6thrust23THRUST_200600_302600_NS5tupleIffNS6_9null_typeES8_S8_S8_S8_S8_S8_S8_EEEEZZNS1_29radix_sort_onesweep_iterationIS3_Lb0ENS6_6detail15normal_iteratorINS6_10device_ptrIjEEEESG_NSD_INSE_IS9_EEEESI_jNS0_19identity_decomposerENS1_16block_id_wrapperIjLb0EEEEE10hipError_tT1_PNSt15iterator_traitsISN_E10value_typeET2_T3_PNSO_IST_E10value_typeET4_T5_PSY_SZ_PNS1_23onesweep_lookback_stateEbbT6_jjT7_P12ihipStream_tbENKUlT_T0_SN_SS_E_clIPjSG_PS9_SI_EEDaS16_S17_SN_SS_EUlS16_E_NS1_11comp_targetILNS1_3genE8ELNS1_11target_archE1030ELNS1_3gpuE2ELNS1_3repE0EEENS1_47radix_sort_onesweep_sort_config_static_selectorELNS0_4arch9wavefront6targetE0EEEvSN_,"axG",@progbits,_ZN7rocprim17ROCPRIM_400000_NS6detail17trampoline_kernelINS0_14default_configENS1_35radix_sort_onesweep_config_selectorIjN6thrust23THRUST_200600_302600_NS5tupleIffNS6_9null_typeES8_S8_S8_S8_S8_S8_S8_EEEEZZNS1_29radix_sort_onesweep_iterationIS3_Lb0ENS6_6detail15normal_iteratorINS6_10device_ptrIjEEEESG_NSD_INSE_IS9_EEEESI_jNS0_19identity_decomposerENS1_16block_id_wrapperIjLb0EEEEE10hipError_tT1_PNSt15iterator_traitsISN_E10value_typeET2_T3_PNSO_IST_E10value_typeET4_T5_PSY_SZ_PNS1_23onesweep_lookback_stateEbbT6_jjT7_P12ihipStream_tbENKUlT_T0_SN_SS_E_clIPjSG_PS9_SI_EEDaS16_S17_SN_SS_EUlS16_E_NS1_11comp_targetILNS1_3genE8ELNS1_11target_archE1030ELNS1_3gpuE2ELNS1_3repE0EEENS1_47radix_sort_onesweep_sort_config_static_selectorELNS0_4arch9wavefront6targetE0EEEvSN_,comdat
.Lfunc_end228:
	.size	_ZN7rocprim17ROCPRIM_400000_NS6detail17trampoline_kernelINS0_14default_configENS1_35radix_sort_onesweep_config_selectorIjN6thrust23THRUST_200600_302600_NS5tupleIffNS6_9null_typeES8_S8_S8_S8_S8_S8_S8_EEEEZZNS1_29radix_sort_onesweep_iterationIS3_Lb0ENS6_6detail15normal_iteratorINS6_10device_ptrIjEEEESG_NSD_INSE_IS9_EEEESI_jNS0_19identity_decomposerENS1_16block_id_wrapperIjLb0EEEEE10hipError_tT1_PNSt15iterator_traitsISN_E10value_typeET2_T3_PNSO_IST_E10value_typeET4_T5_PSY_SZ_PNS1_23onesweep_lookback_stateEbbT6_jjT7_P12ihipStream_tbENKUlT_T0_SN_SS_E_clIPjSG_PS9_SI_EEDaS16_S17_SN_SS_EUlS16_E_NS1_11comp_targetILNS1_3genE8ELNS1_11target_archE1030ELNS1_3gpuE2ELNS1_3repE0EEENS1_47radix_sort_onesweep_sort_config_static_selectorELNS0_4arch9wavefront6targetE0EEEvSN_, .Lfunc_end228-_ZN7rocprim17ROCPRIM_400000_NS6detail17trampoline_kernelINS0_14default_configENS1_35radix_sort_onesweep_config_selectorIjN6thrust23THRUST_200600_302600_NS5tupleIffNS6_9null_typeES8_S8_S8_S8_S8_S8_S8_EEEEZZNS1_29radix_sort_onesweep_iterationIS3_Lb0ENS6_6detail15normal_iteratorINS6_10device_ptrIjEEEESG_NSD_INSE_IS9_EEEESI_jNS0_19identity_decomposerENS1_16block_id_wrapperIjLb0EEEEE10hipError_tT1_PNSt15iterator_traitsISN_E10value_typeET2_T3_PNSO_IST_E10value_typeET4_T5_PSY_SZ_PNS1_23onesweep_lookback_stateEbbT6_jjT7_P12ihipStream_tbENKUlT_T0_SN_SS_E_clIPjSG_PS9_SI_EEDaS16_S17_SN_SS_EUlS16_E_NS1_11comp_targetILNS1_3genE8ELNS1_11target_archE1030ELNS1_3gpuE2ELNS1_3repE0EEENS1_47radix_sort_onesweep_sort_config_static_selectorELNS0_4arch9wavefront6targetE0EEEvSN_
                                        ; -- End function
	.set _ZN7rocprim17ROCPRIM_400000_NS6detail17trampoline_kernelINS0_14default_configENS1_35radix_sort_onesweep_config_selectorIjN6thrust23THRUST_200600_302600_NS5tupleIffNS6_9null_typeES8_S8_S8_S8_S8_S8_S8_EEEEZZNS1_29radix_sort_onesweep_iterationIS3_Lb0ENS6_6detail15normal_iteratorINS6_10device_ptrIjEEEESG_NSD_INSE_IS9_EEEESI_jNS0_19identity_decomposerENS1_16block_id_wrapperIjLb0EEEEE10hipError_tT1_PNSt15iterator_traitsISN_E10value_typeET2_T3_PNSO_IST_E10value_typeET4_T5_PSY_SZ_PNS1_23onesweep_lookback_stateEbbT6_jjT7_P12ihipStream_tbENKUlT_T0_SN_SS_E_clIPjSG_PS9_SI_EEDaS16_S17_SN_SS_EUlS16_E_NS1_11comp_targetILNS1_3genE8ELNS1_11target_archE1030ELNS1_3gpuE2ELNS1_3repE0EEENS1_47radix_sort_onesweep_sort_config_static_selectorELNS0_4arch9wavefront6targetE0EEEvSN_.num_vgpr, 0
	.set _ZN7rocprim17ROCPRIM_400000_NS6detail17trampoline_kernelINS0_14default_configENS1_35radix_sort_onesweep_config_selectorIjN6thrust23THRUST_200600_302600_NS5tupleIffNS6_9null_typeES8_S8_S8_S8_S8_S8_S8_EEEEZZNS1_29radix_sort_onesweep_iterationIS3_Lb0ENS6_6detail15normal_iteratorINS6_10device_ptrIjEEEESG_NSD_INSE_IS9_EEEESI_jNS0_19identity_decomposerENS1_16block_id_wrapperIjLb0EEEEE10hipError_tT1_PNSt15iterator_traitsISN_E10value_typeET2_T3_PNSO_IST_E10value_typeET4_T5_PSY_SZ_PNS1_23onesweep_lookback_stateEbbT6_jjT7_P12ihipStream_tbENKUlT_T0_SN_SS_E_clIPjSG_PS9_SI_EEDaS16_S17_SN_SS_EUlS16_E_NS1_11comp_targetILNS1_3genE8ELNS1_11target_archE1030ELNS1_3gpuE2ELNS1_3repE0EEENS1_47radix_sort_onesweep_sort_config_static_selectorELNS0_4arch9wavefront6targetE0EEEvSN_.num_agpr, 0
	.set _ZN7rocprim17ROCPRIM_400000_NS6detail17trampoline_kernelINS0_14default_configENS1_35radix_sort_onesweep_config_selectorIjN6thrust23THRUST_200600_302600_NS5tupleIffNS6_9null_typeES8_S8_S8_S8_S8_S8_S8_EEEEZZNS1_29radix_sort_onesweep_iterationIS3_Lb0ENS6_6detail15normal_iteratorINS6_10device_ptrIjEEEESG_NSD_INSE_IS9_EEEESI_jNS0_19identity_decomposerENS1_16block_id_wrapperIjLb0EEEEE10hipError_tT1_PNSt15iterator_traitsISN_E10value_typeET2_T3_PNSO_IST_E10value_typeET4_T5_PSY_SZ_PNS1_23onesweep_lookback_stateEbbT6_jjT7_P12ihipStream_tbENKUlT_T0_SN_SS_E_clIPjSG_PS9_SI_EEDaS16_S17_SN_SS_EUlS16_E_NS1_11comp_targetILNS1_3genE8ELNS1_11target_archE1030ELNS1_3gpuE2ELNS1_3repE0EEENS1_47radix_sort_onesweep_sort_config_static_selectorELNS0_4arch9wavefront6targetE0EEEvSN_.numbered_sgpr, 0
	.set _ZN7rocprim17ROCPRIM_400000_NS6detail17trampoline_kernelINS0_14default_configENS1_35radix_sort_onesweep_config_selectorIjN6thrust23THRUST_200600_302600_NS5tupleIffNS6_9null_typeES8_S8_S8_S8_S8_S8_S8_EEEEZZNS1_29radix_sort_onesweep_iterationIS3_Lb0ENS6_6detail15normal_iteratorINS6_10device_ptrIjEEEESG_NSD_INSE_IS9_EEEESI_jNS0_19identity_decomposerENS1_16block_id_wrapperIjLb0EEEEE10hipError_tT1_PNSt15iterator_traitsISN_E10value_typeET2_T3_PNSO_IST_E10value_typeET4_T5_PSY_SZ_PNS1_23onesweep_lookback_stateEbbT6_jjT7_P12ihipStream_tbENKUlT_T0_SN_SS_E_clIPjSG_PS9_SI_EEDaS16_S17_SN_SS_EUlS16_E_NS1_11comp_targetILNS1_3genE8ELNS1_11target_archE1030ELNS1_3gpuE2ELNS1_3repE0EEENS1_47radix_sort_onesweep_sort_config_static_selectorELNS0_4arch9wavefront6targetE0EEEvSN_.num_named_barrier, 0
	.set _ZN7rocprim17ROCPRIM_400000_NS6detail17trampoline_kernelINS0_14default_configENS1_35radix_sort_onesweep_config_selectorIjN6thrust23THRUST_200600_302600_NS5tupleIffNS6_9null_typeES8_S8_S8_S8_S8_S8_S8_EEEEZZNS1_29radix_sort_onesweep_iterationIS3_Lb0ENS6_6detail15normal_iteratorINS6_10device_ptrIjEEEESG_NSD_INSE_IS9_EEEESI_jNS0_19identity_decomposerENS1_16block_id_wrapperIjLb0EEEEE10hipError_tT1_PNSt15iterator_traitsISN_E10value_typeET2_T3_PNSO_IST_E10value_typeET4_T5_PSY_SZ_PNS1_23onesweep_lookback_stateEbbT6_jjT7_P12ihipStream_tbENKUlT_T0_SN_SS_E_clIPjSG_PS9_SI_EEDaS16_S17_SN_SS_EUlS16_E_NS1_11comp_targetILNS1_3genE8ELNS1_11target_archE1030ELNS1_3gpuE2ELNS1_3repE0EEENS1_47radix_sort_onesweep_sort_config_static_selectorELNS0_4arch9wavefront6targetE0EEEvSN_.private_seg_size, 0
	.set _ZN7rocprim17ROCPRIM_400000_NS6detail17trampoline_kernelINS0_14default_configENS1_35radix_sort_onesweep_config_selectorIjN6thrust23THRUST_200600_302600_NS5tupleIffNS6_9null_typeES8_S8_S8_S8_S8_S8_S8_EEEEZZNS1_29radix_sort_onesweep_iterationIS3_Lb0ENS6_6detail15normal_iteratorINS6_10device_ptrIjEEEESG_NSD_INSE_IS9_EEEESI_jNS0_19identity_decomposerENS1_16block_id_wrapperIjLb0EEEEE10hipError_tT1_PNSt15iterator_traitsISN_E10value_typeET2_T3_PNSO_IST_E10value_typeET4_T5_PSY_SZ_PNS1_23onesweep_lookback_stateEbbT6_jjT7_P12ihipStream_tbENKUlT_T0_SN_SS_E_clIPjSG_PS9_SI_EEDaS16_S17_SN_SS_EUlS16_E_NS1_11comp_targetILNS1_3genE8ELNS1_11target_archE1030ELNS1_3gpuE2ELNS1_3repE0EEENS1_47radix_sort_onesweep_sort_config_static_selectorELNS0_4arch9wavefront6targetE0EEEvSN_.uses_vcc, 0
	.set _ZN7rocprim17ROCPRIM_400000_NS6detail17trampoline_kernelINS0_14default_configENS1_35radix_sort_onesweep_config_selectorIjN6thrust23THRUST_200600_302600_NS5tupleIffNS6_9null_typeES8_S8_S8_S8_S8_S8_S8_EEEEZZNS1_29radix_sort_onesweep_iterationIS3_Lb0ENS6_6detail15normal_iteratorINS6_10device_ptrIjEEEESG_NSD_INSE_IS9_EEEESI_jNS0_19identity_decomposerENS1_16block_id_wrapperIjLb0EEEEE10hipError_tT1_PNSt15iterator_traitsISN_E10value_typeET2_T3_PNSO_IST_E10value_typeET4_T5_PSY_SZ_PNS1_23onesweep_lookback_stateEbbT6_jjT7_P12ihipStream_tbENKUlT_T0_SN_SS_E_clIPjSG_PS9_SI_EEDaS16_S17_SN_SS_EUlS16_E_NS1_11comp_targetILNS1_3genE8ELNS1_11target_archE1030ELNS1_3gpuE2ELNS1_3repE0EEENS1_47radix_sort_onesweep_sort_config_static_selectorELNS0_4arch9wavefront6targetE0EEEvSN_.uses_flat_scratch, 0
	.set _ZN7rocprim17ROCPRIM_400000_NS6detail17trampoline_kernelINS0_14default_configENS1_35radix_sort_onesweep_config_selectorIjN6thrust23THRUST_200600_302600_NS5tupleIffNS6_9null_typeES8_S8_S8_S8_S8_S8_S8_EEEEZZNS1_29radix_sort_onesweep_iterationIS3_Lb0ENS6_6detail15normal_iteratorINS6_10device_ptrIjEEEESG_NSD_INSE_IS9_EEEESI_jNS0_19identity_decomposerENS1_16block_id_wrapperIjLb0EEEEE10hipError_tT1_PNSt15iterator_traitsISN_E10value_typeET2_T3_PNSO_IST_E10value_typeET4_T5_PSY_SZ_PNS1_23onesweep_lookback_stateEbbT6_jjT7_P12ihipStream_tbENKUlT_T0_SN_SS_E_clIPjSG_PS9_SI_EEDaS16_S17_SN_SS_EUlS16_E_NS1_11comp_targetILNS1_3genE8ELNS1_11target_archE1030ELNS1_3gpuE2ELNS1_3repE0EEENS1_47radix_sort_onesweep_sort_config_static_selectorELNS0_4arch9wavefront6targetE0EEEvSN_.has_dyn_sized_stack, 0
	.set _ZN7rocprim17ROCPRIM_400000_NS6detail17trampoline_kernelINS0_14default_configENS1_35radix_sort_onesweep_config_selectorIjN6thrust23THRUST_200600_302600_NS5tupleIffNS6_9null_typeES8_S8_S8_S8_S8_S8_S8_EEEEZZNS1_29radix_sort_onesweep_iterationIS3_Lb0ENS6_6detail15normal_iteratorINS6_10device_ptrIjEEEESG_NSD_INSE_IS9_EEEESI_jNS0_19identity_decomposerENS1_16block_id_wrapperIjLb0EEEEE10hipError_tT1_PNSt15iterator_traitsISN_E10value_typeET2_T3_PNSO_IST_E10value_typeET4_T5_PSY_SZ_PNS1_23onesweep_lookback_stateEbbT6_jjT7_P12ihipStream_tbENKUlT_T0_SN_SS_E_clIPjSG_PS9_SI_EEDaS16_S17_SN_SS_EUlS16_E_NS1_11comp_targetILNS1_3genE8ELNS1_11target_archE1030ELNS1_3gpuE2ELNS1_3repE0EEENS1_47radix_sort_onesweep_sort_config_static_selectorELNS0_4arch9wavefront6targetE0EEEvSN_.has_recursion, 0
	.set _ZN7rocprim17ROCPRIM_400000_NS6detail17trampoline_kernelINS0_14default_configENS1_35radix_sort_onesweep_config_selectorIjN6thrust23THRUST_200600_302600_NS5tupleIffNS6_9null_typeES8_S8_S8_S8_S8_S8_S8_EEEEZZNS1_29radix_sort_onesweep_iterationIS3_Lb0ENS6_6detail15normal_iteratorINS6_10device_ptrIjEEEESG_NSD_INSE_IS9_EEEESI_jNS0_19identity_decomposerENS1_16block_id_wrapperIjLb0EEEEE10hipError_tT1_PNSt15iterator_traitsISN_E10value_typeET2_T3_PNSO_IST_E10value_typeET4_T5_PSY_SZ_PNS1_23onesweep_lookback_stateEbbT6_jjT7_P12ihipStream_tbENKUlT_T0_SN_SS_E_clIPjSG_PS9_SI_EEDaS16_S17_SN_SS_EUlS16_E_NS1_11comp_targetILNS1_3genE8ELNS1_11target_archE1030ELNS1_3gpuE2ELNS1_3repE0EEENS1_47radix_sort_onesweep_sort_config_static_selectorELNS0_4arch9wavefront6targetE0EEEvSN_.has_indirect_call, 0
	.section	.AMDGPU.csdata,"",@progbits
; Kernel info:
; codeLenInByte = 0
; TotalNumSgprs: 0
; NumVgprs: 0
; ScratchSize: 0
; MemoryBound: 0
; FloatMode: 240
; IeeeMode: 1
; LDSByteSize: 0 bytes/workgroup (compile time only)
; SGPRBlocks: 0
; VGPRBlocks: 0
; NumSGPRsForWavesPerEU: 1
; NumVGPRsForWavesPerEU: 1
; Occupancy: 16
; WaveLimiterHint : 0
; COMPUTE_PGM_RSRC2:SCRATCH_EN: 0
; COMPUTE_PGM_RSRC2:USER_SGPR: 2
; COMPUTE_PGM_RSRC2:TRAP_HANDLER: 0
; COMPUTE_PGM_RSRC2:TGID_X_EN: 1
; COMPUTE_PGM_RSRC2:TGID_Y_EN: 0
; COMPUTE_PGM_RSRC2:TGID_Z_EN: 0
; COMPUTE_PGM_RSRC2:TIDIG_COMP_CNT: 0
	.section	.text._ZN6thrust23THRUST_200600_302600_NS11hip_rocprim14__parallel_for6kernelILj256ENS1_11__transform17unary_transform_fINS0_10device_ptrINS0_5tupleIffNS0_9null_typeES8_S8_S8_S8_S8_S8_S8_EEEESA_NS4_14no_stencil_tagENS0_8identityIS9_EENS4_21always_true_predicateEEElLj1EEEvT0_T1_SH_,"axG",@progbits,_ZN6thrust23THRUST_200600_302600_NS11hip_rocprim14__parallel_for6kernelILj256ENS1_11__transform17unary_transform_fINS0_10device_ptrINS0_5tupleIffNS0_9null_typeES8_S8_S8_S8_S8_S8_S8_EEEESA_NS4_14no_stencil_tagENS0_8identityIS9_EENS4_21always_true_predicateEEElLj1EEEvT0_T1_SH_,comdat
	.protected	_ZN6thrust23THRUST_200600_302600_NS11hip_rocprim14__parallel_for6kernelILj256ENS1_11__transform17unary_transform_fINS0_10device_ptrINS0_5tupleIffNS0_9null_typeES8_S8_S8_S8_S8_S8_S8_EEEESA_NS4_14no_stencil_tagENS0_8identityIS9_EENS4_21always_true_predicateEEElLj1EEEvT0_T1_SH_ ; -- Begin function _ZN6thrust23THRUST_200600_302600_NS11hip_rocprim14__parallel_for6kernelILj256ENS1_11__transform17unary_transform_fINS0_10device_ptrINS0_5tupleIffNS0_9null_typeES8_S8_S8_S8_S8_S8_S8_EEEESA_NS4_14no_stencil_tagENS0_8identityIS9_EENS4_21always_true_predicateEEElLj1EEEvT0_T1_SH_
	.globl	_ZN6thrust23THRUST_200600_302600_NS11hip_rocprim14__parallel_for6kernelILj256ENS1_11__transform17unary_transform_fINS0_10device_ptrINS0_5tupleIffNS0_9null_typeES8_S8_S8_S8_S8_S8_S8_EEEESA_NS4_14no_stencil_tagENS0_8identityIS9_EENS4_21always_true_predicateEEElLj1EEEvT0_T1_SH_
	.p2align	8
	.type	_ZN6thrust23THRUST_200600_302600_NS11hip_rocprim14__parallel_for6kernelILj256ENS1_11__transform17unary_transform_fINS0_10device_ptrINS0_5tupleIffNS0_9null_typeES8_S8_S8_S8_S8_S8_S8_EEEESA_NS4_14no_stencil_tagENS0_8identityIS9_EENS4_21always_true_predicateEEElLj1EEEvT0_T1_SH_,@function
_ZN6thrust23THRUST_200600_302600_NS11hip_rocprim14__parallel_for6kernelILj256ENS1_11__transform17unary_transform_fINS0_10device_ptrINS0_5tupleIffNS0_9null_typeES8_S8_S8_S8_S8_S8_S8_EEEESA_NS4_14no_stencil_tagENS0_8identityIS9_EENS4_21always_true_predicateEEElLj1EEEvT0_T1_SH_: ; @_ZN6thrust23THRUST_200600_302600_NS11hip_rocprim14__parallel_for6kernelILj256ENS1_11__transform17unary_transform_fINS0_10device_ptrINS0_5tupleIffNS0_9null_typeES8_S8_S8_S8_S8_S8_S8_EEEESA_NS4_14no_stencil_tagENS0_8identityIS9_EENS4_21always_true_predicateEEElLj1EEEvT0_T1_SH_
; %bb.0:
	s_clause 0x1
	s_load_b128 s[8:11], s[0:1], 0x18
	s_load_b128 s[0:3], s[0:1], 0x0
	s_lshl_b32 s4, ttmp9, 8
	s_mov_b32 s5, 0
	s_wait_kmcnt 0x0
	s_add_nc_u64 s[4:5], s[10:11], s[4:5]
	s_delay_alu instid0(SALU_CYCLE_1) | instskip(NEXT) | instid1(SALU_CYCLE_1)
	s_sub_nc_u64 s[6:7], s[8:9], s[4:5]
	v_cmp_gt_i64_e64 s7, 0x100, s[6:7]
	s_and_b32 s7, s7, exec_lo
	s_cselect_b32 s7, s6, 0x100
	s_mov_b32 s6, -1
	s_wait_alu 0xfffe
	s_cmp_eq_u32 s7, 0x100
	s_cbranch_scc0 .LBB229_3
; %bb.1:
	s_and_not1_b32 vcc_lo, exec_lo, s6
	s_cbranch_vccz .LBB229_6
.LBB229_2:
	s_endpgm
.LBB229_3:
	s_mov_b32 s6, exec_lo
	v_cmpx_gt_u32_e64 s7, v0
	s_cbranch_execz .LBB229_5
; %bb.4:
	v_add_co_u32 v1, s7, s4, v0
	s_wait_alu 0xf1ff
	v_add_co_ci_u32_e64 v2, null, s5, 0, s7
	s_delay_alu instid0(VALU_DEP_1) | instskip(NEXT) | instid1(VALU_DEP_1)
	v_lshlrev_b64_e32 v[1:2], 3, v[1:2]
	v_add_co_u32 v3, vcc_lo, s0, v1
	s_delay_alu instid0(VALU_DEP_1)
	v_add_co_ci_u32_e64 v4, null, s1, v2, vcc_lo
	v_add_co_u32 v1, vcc_lo, s2, v1
	s_wait_alu 0xfffd
	v_add_co_ci_u32_e64 v2, null, s3, v2, vcc_lo
	flat_load_b64 v[3:4], v[3:4]
	s_wait_loadcnt_dscnt 0x0
	flat_store_b64 v[1:2], v[3:4]
.LBB229_5:
	s_wait_alu 0xfffe
	s_or_b32 exec_lo, exec_lo, s6
	s_cbranch_execnz .LBB229_2
.LBB229_6:
	v_add_co_u32 v0, s4, s4, v0
	s_wait_alu 0xf1ff
	v_add_co_ci_u32_e64 v1, null, s5, 0, s4
	s_delay_alu instid0(VALU_DEP_1) | instskip(NEXT) | instid1(VALU_DEP_1)
	v_lshlrev_b64_e32 v[0:1], 3, v[0:1]
	v_add_co_u32 v2, vcc_lo, s0, v0
	s_wait_alu 0xfffd
	s_delay_alu instid0(VALU_DEP_2)
	v_add_co_ci_u32_e64 v3, null, s1, v1, vcc_lo
	v_add_co_u32 v0, vcc_lo, s2, v0
	s_wait_alu 0xfffd
	v_add_co_ci_u32_e64 v1, null, s3, v1, vcc_lo
	flat_load_b64 v[2:3], v[2:3]
	s_wait_loadcnt_dscnt 0x0
	flat_store_b64 v[0:1], v[2:3]
	s_endpgm
	.section	.rodata,"a",@progbits
	.p2align	6, 0x0
	.amdhsa_kernel _ZN6thrust23THRUST_200600_302600_NS11hip_rocprim14__parallel_for6kernelILj256ENS1_11__transform17unary_transform_fINS0_10device_ptrINS0_5tupleIffNS0_9null_typeES8_S8_S8_S8_S8_S8_S8_EEEESA_NS4_14no_stencil_tagENS0_8identityIS9_EENS4_21always_true_predicateEEElLj1EEEvT0_T1_SH_
		.amdhsa_group_segment_fixed_size 0
		.amdhsa_private_segment_fixed_size 0
		.amdhsa_kernarg_size 40
		.amdhsa_user_sgpr_count 2
		.amdhsa_user_sgpr_dispatch_ptr 0
		.amdhsa_user_sgpr_queue_ptr 0
		.amdhsa_user_sgpr_kernarg_segment_ptr 1
		.amdhsa_user_sgpr_dispatch_id 0
		.amdhsa_user_sgpr_private_segment_size 0
		.amdhsa_wavefront_size32 1
		.amdhsa_uses_dynamic_stack 0
		.amdhsa_enable_private_segment 0
		.amdhsa_system_sgpr_workgroup_id_x 1
		.amdhsa_system_sgpr_workgroup_id_y 0
		.amdhsa_system_sgpr_workgroup_id_z 0
		.amdhsa_system_sgpr_workgroup_info 0
		.amdhsa_system_vgpr_workitem_id 0
		.amdhsa_next_free_vgpr 5
		.amdhsa_next_free_sgpr 12
		.amdhsa_reserve_vcc 1
		.amdhsa_float_round_mode_32 0
		.amdhsa_float_round_mode_16_64 0
		.amdhsa_float_denorm_mode_32 3
		.amdhsa_float_denorm_mode_16_64 3
		.amdhsa_fp16_overflow 0
		.amdhsa_workgroup_processor_mode 1
		.amdhsa_memory_ordered 1
		.amdhsa_forward_progress 1
		.amdhsa_inst_pref_size 3
		.amdhsa_round_robin_scheduling 0
		.amdhsa_exception_fp_ieee_invalid_op 0
		.amdhsa_exception_fp_denorm_src 0
		.amdhsa_exception_fp_ieee_div_zero 0
		.amdhsa_exception_fp_ieee_overflow 0
		.amdhsa_exception_fp_ieee_underflow 0
		.amdhsa_exception_fp_ieee_inexact 0
		.amdhsa_exception_int_div_zero 0
	.end_amdhsa_kernel
	.section	.text._ZN6thrust23THRUST_200600_302600_NS11hip_rocprim14__parallel_for6kernelILj256ENS1_11__transform17unary_transform_fINS0_10device_ptrINS0_5tupleIffNS0_9null_typeES8_S8_S8_S8_S8_S8_S8_EEEESA_NS4_14no_stencil_tagENS0_8identityIS9_EENS4_21always_true_predicateEEElLj1EEEvT0_T1_SH_,"axG",@progbits,_ZN6thrust23THRUST_200600_302600_NS11hip_rocprim14__parallel_for6kernelILj256ENS1_11__transform17unary_transform_fINS0_10device_ptrINS0_5tupleIffNS0_9null_typeES8_S8_S8_S8_S8_S8_S8_EEEESA_NS4_14no_stencil_tagENS0_8identityIS9_EENS4_21always_true_predicateEEElLj1EEEvT0_T1_SH_,comdat
.Lfunc_end229:
	.size	_ZN6thrust23THRUST_200600_302600_NS11hip_rocprim14__parallel_for6kernelILj256ENS1_11__transform17unary_transform_fINS0_10device_ptrINS0_5tupleIffNS0_9null_typeES8_S8_S8_S8_S8_S8_S8_EEEESA_NS4_14no_stencil_tagENS0_8identityIS9_EENS4_21always_true_predicateEEElLj1EEEvT0_T1_SH_, .Lfunc_end229-_ZN6thrust23THRUST_200600_302600_NS11hip_rocprim14__parallel_for6kernelILj256ENS1_11__transform17unary_transform_fINS0_10device_ptrINS0_5tupleIffNS0_9null_typeES8_S8_S8_S8_S8_S8_S8_EEEESA_NS4_14no_stencil_tagENS0_8identityIS9_EENS4_21always_true_predicateEEElLj1EEEvT0_T1_SH_
                                        ; -- End function
	.set _ZN6thrust23THRUST_200600_302600_NS11hip_rocprim14__parallel_for6kernelILj256ENS1_11__transform17unary_transform_fINS0_10device_ptrINS0_5tupleIffNS0_9null_typeES8_S8_S8_S8_S8_S8_S8_EEEESA_NS4_14no_stencil_tagENS0_8identityIS9_EENS4_21always_true_predicateEEElLj1EEEvT0_T1_SH_.num_vgpr, 5
	.set _ZN6thrust23THRUST_200600_302600_NS11hip_rocprim14__parallel_for6kernelILj256ENS1_11__transform17unary_transform_fINS0_10device_ptrINS0_5tupleIffNS0_9null_typeES8_S8_S8_S8_S8_S8_S8_EEEESA_NS4_14no_stencil_tagENS0_8identityIS9_EENS4_21always_true_predicateEEElLj1EEEvT0_T1_SH_.num_agpr, 0
	.set _ZN6thrust23THRUST_200600_302600_NS11hip_rocprim14__parallel_for6kernelILj256ENS1_11__transform17unary_transform_fINS0_10device_ptrINS0_5tupleIffNS0_9null_typeES8_S8_S8_S8_S8_S8_S8_EEEESA_NS4_14no_stencil_tagENS0_8identityIS9_EENS4_21always_true_predicateEEElLj1EEEvT0_T1_SH_.numbered_sgpr, 12
	.set _ZN6thrust23THRUST_200600_302600_NS11hip_rocprim14__parallel_for6kernelILj256ENS1_11__transform17unary_transform_fINS0_10device_ptrINS0_5tupleIffNS0_9null_typeES8_S8_S8_S8_S8_S8_S8_EEEESA_NS4_14no_stencil_tagENS0_8identityIS9_EENS4_21always_true_predicateEEElLj1EEEvT0_T1_SH_.num_named_barrier, 0
	.set _ZN6thrust23THRUST_200600_302600_NS11hip_rocprim14__parallel_for6kernelILj256ENS1_11__transform17unary_transform_fINS0_10device_ptrINS0_5tupleIffNS0_9null_typeES8_S8_S8_S8_S8_S8_S8_EEEESA_NS4_14no_stencil_tagENS0_8identityIS9_EENS4_21always_true_predicateEEElLj1EEEvT0_T1_SH_.private_seg_size, 0
	.set _ZN6thrust23THRUST_200600_302600_NS11hip_rocprim14__parallel_for6kernelILj256ENS1_11__transform17unary_transform_fINS0_10device_ptrINS0_5tupleIffNS0_9null_typeES8_S8_S8_S8_S8_S8_S8_EEEESA_NS4_14no_stencil_tagENS0_8identityIS9_EENS4_21always_true_predicateEEElLj1EEEvT0_T1_SH_.uses_vcc, 1
	.set _ZN6thrust23THRUST_200600_302600_NS11hip_rocprim14__parallel_for6kernelILj256ENS1_11__transform17unary_transform_fINS0_10device_ptrINS0_5tupleIffNS0_9null_typeES8_S8_S8_S8_S8_S8_S8_EEEESA_NS4_14no_stencil_tagENS0_8identityIS9_EENS4_21always_true_predicateEEElLj1EEEvT0_T1_SH_.uses_flat_scratch, 0
	.set _ZN6thrust23THRUST_200600_302600_NS11hip_rocprim14__parallel_for6kernelILj256ENS1_11__transform17unary_transform_fINS0_10device_ptrINS0_5tupleIffNS0_9null_typeES8_S8_S8_S8_S8_S8_S8_EEEESA_NS4_14no_stencil_tagENS0_8identityIS9_EENS4_21always_true_predicateEEElLj1EEEvT0_T1_SH_.has_dyn_sized_stack, 0
	.set _ZN6thrust23THRUST_200600_302600_NS11hip_rocprim14__parallel_for6kernelILj256ENS1_11__transform17unary_transform_fINS0_10device_ptrINS0_5tupleIffNS0_9null_typeES8_S8_S8_S8_S8_S8_S8_EEEESA_NS4_14no_stencil_tagENS0_8identityIS9_EENS4_21always_true_predicateEEElLj1EEEvT0_T1_SH_.has_recursion, 0
	.set _ZN6thrust23THRUST_200600_302600_NS11hip_rocprim14__parallel_for6kernelILj256ENS1_11__transform17unary_transform_fINS0_10device_ptrINS0_5tupleIffNS0_9null_typeES8_S8_S8_S8_S8_S8_S8_EEEESA_NS4_14no_stencil_tagENS0_8identityIS9_EENS4_21always_true_predicateEEElLj1EEEvT0_T1_SH_.has_indirect_call, 0
	.section	.AMDGPU.csdata,"",@progbits
; Kernel info:
; codeLenInByte = 328
; TotalNumSgprs: 14
; NumVgprs: 5
; ScratchSize: 0
; MemoryBound: 0
; FloatMode: 240
; IeeeMode: 1
; LDSByteSize: 0 bytes/workgroup (compile time only)
; SGPRBlocks: 0
; VGPRBlocks: 0
; NumSGPRsForWavesPerEU: 14
; NumVGPRsForWavesPerEU: 5
; Occupancy: 16
; WaveLimiterHint : 0
; COMPUTE_PGM_RSRC2:SCRATCH_EN: 0
; COMPUTE_PGM_RSRC2:USER_SGPR: 2
; COMPUTE_PGM_RSRC2:TRAP_HANDLER: 0
; COMPUTE_PGM_RSRC2:TGID_X_EN: 1
; COMPUTE_PGM_RSRC2:TGID_Y_EN: 0
; COMPUTE_PGM_RSRC2:TGID_Z_EN: 0
; COMPUTE_PGM_RSRC2:TIDIG_COMP_CNT: 0
	.section	.text._ZN7rocprim17ROCPRIM_400000_NS6detail17trampoline_kernelINS0_14default_configENS1_27lower_bound_config_selectorIjjEEZNS1_14transform_implILb0ES3_S5_N6thrust23THRUST_200600_302600_NS17counting_iteratorIjNS8_11use_defaultESA_SA_EENS8_6detail15normal_iteratorINS8_10device_ptrIjEEEEZNS1_13binary_searchIS3_S5_SG_SB_SG_NS1_21lower_bound_search_opENSC_16wrapped_functionINS0_4lessIvEEbEEEE10hipError_tPvRmT1_T2_T3_mmT4_T5_P12ihipStream_tbEUlRKjE_EESN_SR_SS_mST_SW_bEUlT_E_NS1_11comp_targetILNS1_3genE0ELNS1_11target_archE4294967295ELNS1_3gpuE0ELNS1_3repE0EEENS1_30default_config_static_selectorELNS0_4arch9wavefront6targetE0EEEvSQ_,"axG",@progbits,_ZN7rocprim17ROCPRIM_400000_NS6detail17trampoline_kernelINS0_14default_configENS1_27lower_bound_config_selectorIjjEEZNS1_14transform_implILb0ES3_S5_N6thrust23THRUST_200600_302600_NS17counting_iteratorIjNS8_11use_defaultESA_SA_EENS8_6detail15normal_iteratorINS8_10device_ptrIjEEEEZNS1_13binary_searchIS3_S5_SG_SB_SG_NS1_21lower_bound_search_opENSC_16wrapped_functionINS0_4lessIvEEbEEEE10hipError_tPvRmT1_T2_T3_mmT4_T5_P12ihipStream_tbEUlRKjE_EESN_SR_SS_mST_SW_bEUlT_E_NS1_11comp_targetILNS1_3genE0ELNS1_11target_archE4294967295ELNS1_3gpuE0ELNS1_3repE0EEENS1_30default_config_static_selectorELNS0_4arch9wavefront6targetE0EEEvSQ_,comdat
	.protected	_ZN7rocprim17ROCPRIM_400000_NS6detail17trampoline_kernelINS0_14default_configENS1_27lower_bound_config_selectorIjjEEZNS1_14transform_implILb0ES3_S5_N6thrust23THRUST_200600_302600_NS17counting_iteratorIjNS8_11use_defaultESA_SA_EENS8_6detail15normal_iteratorINS8_10device_ptrIjEEEEZNS1_13binary_searchIS3_S5_SG_SB_SG_NS1_21lower_bound_search_opENSC_16wrapped_functionINS0_4lessIvEEbEEEE10hipError_tPvRmT1_T2_T3_mmT4_T5_P12ihipStream_tbEUlRKjE_EESN_SR_SS_mST_SW_bEUlT_E_NS1_11comp_targetILNS1_3genE0ELNS1_11target_archE4294967295ELNS1_3gpuE0ELNS1_3repE0EEENS1_30default_config_static_selectorELNS0_4arch9wavefront6targetE0EEEvSQ_ ; -- Begin function _ZN7rocprim17ROCPRIM_400000_NS6detail17trampoline_kernelINS0_14default_configENS1_27lower_bound_config_selectorIjjEEZNS1_14transform_implILb0ES3_S5_N6thrust23THRUST_200600_302600_NS17counting_iteratorIjNS8_11use_defaultESA_SA_EENS8_6detail15normal_iteratorINS8_10device_ptrIjEEEEZNS1_13binary_searchIS3_S5_SG_SB_SG_NS1_21lower_bound_search_opENSC_16wrapped_functionINS0_4lessIvEEbEEEE10hipError_tPvRmT1_T2_T3_mmT4_T5_P12ihipStream_tbEUlRKjE_EESN_SR_SS_mST_SW_bEUlT_E_NS1_11comp_targetILNS1_3genE0ELNS1_11target_archE4294967295ELNS1_3gpuE0ELNS1_3repE0EEENS1_30default_config_static_selectorELNS0_4arch9wavefront6targetE0EEEvSQ_
	.globl	_ZN7rocprim17ROCPRIM_400000_NS6detail17trampoline_kernelINS0_14default_configENS1_27lower_bound_config_selectorIjjEEZNS1_14transform_implILb0ES3_S5_N6thrust23THRUST_200600_302600_NS17counting_iteratorIjNS8_11use_defaultESA_SA_EENS8_6detail15normal_iteratorINS8_10device_ptrIjEEEEZNS1_13binary_searchIS3_S5_SG_SB_SG_NS1_21lower_bound_search_opENSC_16wrapped_functionINS0_4lessIvEEbEEEE10hipError_tPvRmT1_T2_T3_mmT4_T5_P12ihipStream_tbEUlRKjE_EESN_SR_SS_mST_SW_bEUlT_E_NS1_11comp_targetILNS1_3genE0ELNS1_11target_archE4294967295ELNS1_3gpuE0ELNS1_3repE0EEENS1_30default_config_static_selectorELNS0_4arch9wavefront6targetE0EEEvSQ_
	.p2align	8
	.type	_ZN7rocprim17ROCPRIM_400000_NS6detail17trampoline_kernelINS0_14default_configENS1_27lower_bound_config_selectorIjjEEZNS1_14transform_implILb0ES3_S5_N6thrust23THRUST_200600_302600_NS17counting_iteratorIjNS8_11use_defaultESA_SA_EENS8_6detail15normal_iteratorINS8_10device_ptrIjEEEEZNS1_13binary_searchIS3_S5_SG_SB_SG_NS1_21lower_bound_search_opENSC_16wrapped_functionINS0_4lessIvEEbEEEE10hipError_tPvRmT1_T2_T3_mmT4_T5_P12ihipStream_tbEUlRKjE_EESN_SR_SS_mST_SW_bEUlT_E_NS1_11comp_targetILNS1_3genE0ELNS1_11target_archE4294967295ELNS1_3gpuE0ELNS1_3repE0EEENS1_30default_config_static_selectorELNS0_4arch9wavefront6targetE0EEEvSQ_,@function
_ZN7rocprim17ROCPRIM_400000_NS6detail17trampoline_kernelINS0_14default_configENS1_27lower_bound_config_selectorIjjEEZNS1_14transform_implILb0ES3_S5_N6thrust23THRUST_200600_302600_NS17counting_iteratorIjNS8_11use_defaultESA_SA_EENS8_6detail15normal_iteratorINS8_10device_ptrIjEEEEZNS1_13binary_searchIS3_S5_SG_SB_SG_NS1_21lower_bound_search_opENSC_16wrapped_functionINS0_4lessIvEEbEEEE10hipError_tPvRmT1_T2_T3_mmT4_T5_P12ihipStream_tbEUlRKjE_EESN_SR_SS_mST_SW_bEUlT_E_NS1_11comp_targetILNS1_3genE0ELNS1_11target_archE4294967295ELNS1_3gpuE0ELNS1_3repE0EEENS1_30default_config_static_selectorELNS0_4arch9wavefront6targetE0EEEvSQ_: ; @_ZN7rocprim17ROCPRIM_400000_NS6detail17trampoline_kernelINS0_14default_configENS1_27lower_bound_config_selectorIjjEEZNS1_14transform_implILb0ES3_S5_N6thrust23THRUST_200600_302600_NS17counting_iteratorIjNS8_11use_defaultESA_SA_EENS8_6detail15normal_iteratorINS8_10device_ptrIjEEEEZNS1_13binary_searchIS3_S5_SG_SB_SG_NS1_21lower_bound_search_opENSC_16wrapped_functionINS0_4lessIvEEbEEEE10hipError_tPvRmT1_T2_T3_mmT4_T5_P12ihipStream_tbEUlRKjE_EESN_SR_SS_mST_SW_bEUlT_E_NS1_11comp_targetILNS1_3genE0ELNS1_11target_archE4294967295ELNS1_3gpuE0ELNS1_3repE0EEENS1_30default_config_static_selectorELNS0_4arch9wavefront6targetE0EEEvSQ_
; %bb.0:
	.section	.rodata,"a",@progbits
	.p2align	6, 0x0
	.amdhsa_kernel _ZN7rocprim17ROCPRIM_400000_NS6detail17trampoline_kernelINS0_14default_configENS1_27lower_bound_config_selectorIjjEEZNS1_14transform_implILb0ES3_S5_N6thrust23THRUST_200600_302600_NS17counting_iteratorIjNS8_11use_defaultESA_SA_EENS8_6detail15normal_iteratorINS8_10device_ptrIjEEEEZNS1_13binary_searchIS3_S5_SG_SB_SG_NS1_21lower_bound_search_opENSC_16wrapped_functionINS0_4lessIvEEbEEEE10hipError_tPvRmT1_T2_T3_mmT4_T5_P12ihipStream_tbEUlRKjE_EESN_SR_SS_mST_SW_bEUlT_E_NS1_11comp_targetILNS1_3genE0ELNS1_11target_archE4294967295ELNS1_3gpuE0ELNS1_3repE0EEENS1_30default_config_static_selectorELNS0_4arch9wavefront6targetE0EEEvSQ_
		.amdhsa_group_segment_fixed_size 0
		.amdhsa_private_segment_fixed_size 0
		.amdhsa_kernarg_size 56
		.amdhsa_user_sgpr_count 2
		.amdhsa_user_sgpr_dispatch_ptr 0
		.amdhsa_user_sgpr_queue_ptr 0
		.amdhsa_user_sgpr_kernarg_segment_ptr 1
		.amdhsa_user_sgpr_dispatch_id 0
		.amdhsa_user_sgpr_private_segment_size 0
		.amdhsa_wavefront_size32 1
		.amdhsa_uses_dynamic_stack 0
		.amdhsa_enable_private_segment 0
		.amdhsa_system_sgpr_workgroup_id_x 1
		.amdhsa_system_sgpr_workgroup_id_y 0
		.amdhsa_system_sgpr_workgroup_id_z 0
		.amdhsa_system_sgpr_workgroup_info 0
		.amdhsa_system_vgpr_workitem_id 0
		.amdhsa_next_free_vgpr 1
		.amdhsa_next_free_sgpr 1
		.amdhsa_reserve_vcc 0
		.amdhsa_float_round_mode_32 0
		.amdhsa_float_round_mode_16_64 0
		.amdhsa_float_denorm_mode_32 3
		.amdhsa_float_denorm_mode_16_64 3
		.amdhsa_fp16_overflow 0
		.amdhsa_workgroup_processor_mode 1
		.amdhsa_memory_ordered 1
		.amdhsa_forward_progress 1
		.amdhsa_inst_pref_size 0
		.amdhsa_round_robin_scheduling 0
		.amdhsa_exception_fp_ieee_invalid_op 0
		.amdhsa_exception_fp_denorm_src 0
		.amdhsa_exception_fp_ieee_div_zero 0
		.amdhsa_exception_fp_ieee_overflow 0
		.amdhsa_exception_fp_ieee_underflow 0
		.amdhsa_exception_fp_ieee_inexact 0
		.amdhsa_exception_int_div_zero 0
	.end_amdhsa_kernel
	.section	.text._ZN7rocprim17ROCPRIM_400000_NS6detail17trampoline_kernelINS0_14default_configENS1_27lower_bound_config_selectorIjjEEZNS1_14transform_implILb0ES3_S5_N6thrust23THRUST_200600_302600_NS17counting_iteratorIjNS8_11use_defaultESA_SA_EENS8_6detail15normal_iteratorINS8_10device_ptrIjEEEEZNS1_13binary_searchIS3_S5_SG_SB_SG_NS1_21lower_bound_search_opENSC_16wrapped_functionINS0_4lessIvEEbEEEE10hipError_tPvRmT1_T2_T3_mmT4_T5_P12ihipStream_tbEUlRKjE_EESN_SR_SS_mST_SW_bEUlT_E_NS1_11comp_targetILNS1_3genE0ELNS1_11target_archE4294967295ELNS1_3gpuE0ELNS1_3repE0EEENS1_30default_config_static_selectorELNS0_4arch9wavefront6targetE0EEEvSQ_,"axG",@progbits,_ZN7rocprim17ROCPRIM_400000_NS6detail17trampoline_kernelINS0_14default_configENS1_27lower_bound_config_selectorIjjEEZNS1_14transform_implILb0ES3_S5_N6thrust23THRUST_200600_302600_NS17counting_iteratorIjNS8_11use_defaultESA_SA_EENS8_6detail15normal_iteratorINS8_10device_ptrIjEEEEZNS1_13binary_searchIS3_S5_SG_SB_SG_NS1_21lower_bound_search_opENSC_16wrapped_functionINS0_4lessIvEEbEEEE10hipError_tPvRmT1_T2_T3_mmT4_T5_P12ihipStream_tbEUlRKjE_EESN_SR_SS_mST_SW_bEUlT_E_NS1_11comp_targetILNS1_3genE0ELNS1_11target_archE4294967295ELNS1_3gpuE0ELNS1_3repE0EEENS1_30default_config_static_selectorELNS0_4arch9wavefront6targetE0EEEvSQ_,comdat
.Lfunc_end230:
	.size	_ZN7rocprim17ROCPRIM_400000_NS6detail17trampoline_kernelINS0_14default_configENS1_27lower_bound_config_selectorIjjEEZNS1_14transform_implILb0ES3_S5_N6thrust23THRUST_200600_302600_NS17counting_iteratorIjNS8_11use_defaultESA_SA_EENS8_6detail15normal_iteratorINS8_10device_ptrIjEEEEZNS1_13binary_searchIS3_S5_SG_SB_SG_NS1_21lower_bound_search_opENSC_16wrapped_functionINS0_4lessIvEEbEEEE10hipError_tPvRmT1_T2_T3_mmT4_T5_P12ihipStream_tbEUlRKjE_EESN_SR_SS_mST_SW_bEUlT_E_NS1_11comp_targetILNS1_3genE0ELNS1_11target_archE4294967295ELNS1_3gpuE0ELNS1_3repE0EEENS1_30default_config_static_selectorELNS0_4arch9wavefront6targetE0EEEvSQ_, .Lfunc_end230-_ZN7rocprim17ROCPRIM_400000_NS6detail17trampoline_kernelINS0_14default_configENS1_27lower_bound_config_selectorIjjEEZNS1_14transform_implILb0ES3_S5_N6thrust23THRUST_200600_302600_NS17counting_iteratorIjNS8_11use_defaultESA_SA_EENS8_6detail15normal_iteratorINS8_10device_ptrIjEEEEZNS1_13binary_searchIS3_S5_SG_SB_SG_NS1_21lower_bound_search_opENSC_16wrapped_functionINS0_4lessIvEEbEEEE10hipError_tPvRmT1_T2_T3_mmT4_T5_P12ihipStream_tbEUlRKjE_EESN_SR_SS_mST_SW_bEUlT_E_NS1_11comp_targetILNS1_3genE0ELNS1_11target_archE4294967295ELNS1_3gpuE0ELNS1_3repE0EEENS1_30default_config_static_selectorELNS0_4arch9wavefront6targetE0EEEvSQ_
                                        ; -- End function
	.set _ZN7rocprim17ROCPRIM_400000_NS6detail17trampoline_kernelINS0_14default_configENS1_27lower_bound_config_selectorIjjEEZNS1_14transform_implILb0ES3_S5_N6thrust23THRUST_200600_302600_NS17counting_iteratorIjNS8_11use_defaultESA_SA_EENS8_6detail15normal_iteratorINS8_10device_ptrIjEEEEZNS1_13binary_searchIS3_S5_SG_SB_SG_NS1_21lower_bound_search_opENSC_16wrapped_functionINS0_4lessIvEEbEEEE10hipError_tPvRmT1_T2_T3_mmT4_T5_P12ihipStream_tbEUlRKjE_EESN_SR_SS_mST_SW_bEUlT_E_NS1_11comp_targetILNS1_3genE0ELNS1_11target_archE4294967295ELNS1_3gpuE0ELNS1_3repE0EEENS1_30default_config_static_selectorELNS0_4arch9wavefront6targetE0EEEvSQ_.num_vgpr, 0
	.set _ZN7rocprim17ROCPRIM_400000_NS6detail17trampoline_kernelINS0_14default_configENS1_27lower_bound_config_selectorIjjEEZNS1_14transform_implILb0ES3_S5_N6thrust23THRUST_200600_302600_NS17counting_iteratorIjNS8_11use_defaultESA_SA_EENS8_6detail15normal_iteratorINS8_10device_ptrIjEEEEZNS1_13binary_searchIS3_S5_SG_SB_SG_NS1_21lower_bound_search_opENSC_16wrapped_functionINS0_4lessIvEEbEEEE10hipError_tPvRmT1_T2_T3_mmT4_T5_P12ihipStream_tbEUlRKjE_EESN_SR_SS_mST_SW_bEUlT_E_NS1_11comp_targetILNS1_3genE0ELNS1_11target_archE4294967295ELNS1_3gpuE0ELNS1_3repE0EEENS1_30default_config_static_selectorELNS0_4arch9wavefront6targetE0EEEvSQ_.num_agpr, 0
	.set _ZN7rocprim17ROCPRIM_400000_NS6detail17trampoline_kernelINS0_14default_configENS1_27lower_bound_config_selectorIjjEEZNS1_14transform_implILb0ES3_S5_N6thrust23THRUST_200600_302600_NS17counting_iteratorIjNS8_11use_defaultESA_SA_EENS8_6detail15normal_iteratorINS8_10device_ptrIjEEEEZNS1_13binary_searchIS3_S5_SG_SB_SG_NS1_21lower_bound_search_opENSC_16wrapped_functionINS0_4lessIvEEbEEEE10hipError_tPvRmT1_T2_T3_mmT4_T5_P12ihipStream_tbEUlRKjE_EESN_SR_SS_mST_SW_bEUlT_E_NS1_11comp_targetILNS1_3genE0ELNS1_11target_archE4294967295ELNS1_3gpuE0ELNS1_3repE0EEENS1_30default_config_static_selectorELNS0_4arch9wavefront6targetE0EEEvSQ_.numbered_sgpr, 0
	.set _ZN7rocprim17ROCPRIM_400000_NS6detail17trampoline_kernelINS0_14default_configENS1_27lower_bound_config_selectorIjjEEZNS1_14transform_implILb0ES3_S5_N6thrust23THRUST_200600_302600_NS17counting_iteratorIjNS8_11use_defaultESA_SA_EENS8_6detail15normal_iteratorINS8_10device_ptrIjEEEEZNS1_13binary_searchIS3_S5_SG_SB_SG_NS1_21lower_bound_search_opENSC_16wrapped_functionINS0_4lessIvEEbEEEE10hipError_tPvRmT1_T2_T3_mmT4_T5_P12ihipStream_tbEUlRKjE_EESN_SR_SS_mST_SW_bEUlT_E_NS1_11comp_targetILNS1_3genE0ELNS1_11target_archE4294967295ELNS1_3gpuE0ELNS1_3repE0EEENS1_30default_config_static_selectorELNS0_4arch9wavefront6targetE0EEEvSQ_.num_named_barrier, 0
	.set _ZN7rocprim17ROCPRIM_400000_NS6detail17trampoline_kernelINS0_14default_configENS1_27lower_bound_config_selectorIjjEEZNS1_14transform_implILb0ES3_S5_N6thrust23THRUST_200600_302600_NS17counting_iteratorIjNS8_11use_defaultESA_SA_EENS8_6detail15normal_iteratorINS8_10device_ptrIjEEEEZNS1_13binary_searchIS3_S5_SG_SB_SG_NS1_21lower_bound_search_opENSC_16wrapped_functionINS0_4lessIvEEbEEEE10hipError_tPvRmT1_T2_T3_mmT4_T5_P12ihipStream_tbEUlRKjE_EESN_SR_SS_mST_SW_bEUlT_E_NS1_11comp_targetILNS1_3genE0ELNS1_11target_archE4294967295ELNS1_3gpuE0ELNS1_3repE0EEENS1_30default_config_static_selectorELNS0_4arch9wavefront6targetE0EEEvSQ_.private_seg_size, 0
	.set _ZN7rocprim17ROCPRIM_400000_NS6detail17trampoline_kernelINS0_14default_configENS1_27lower_bound_config_selectorIjjEEZNS1_14transform_implILb0ES3_S5_N6thrust23THRUST_200600_302600_NS17counting_iteratorIjNS8_11use_defaultESA_SA_EENS8_6detail15normal_iteratorINS8_10device_ptrIjEEEEZNS1_13binary_searchIS3_S5_SG_SB_SG_NS1_21lower_bound_search_opENSC_16wrapped_functionINS0_4lessIvEEbEEEE10hipError_tPvRmT1_T2_T3_mmT4_T5_P12ihipStream_tbEUlRKjE_EESN_SR_SS_mST_SW_bEUlT_E_NS1_11comp_targetILNS1_3genE0ELNS1_11target_archE4294967295ELNS1_3gpuE0ELNS1_3repE0EEENS1_30default_config_static_selectorELNS0_4arch9wavefront6targetE0EEEvSQ_.uses_vcc, 0
	.set _ZN7rocprim17ROCPRIM_400000_NS6detail17trampoline_kernelINS0_14default_configENS1_27lower_bound_config_selectorIjjEEZNS1_14transform_implILb0ES3_S5_N6thrust23THRUST_200600_302600_NS17counting_iteratorIjNS8_11use_defaultESA_SA_EENS8_6detail15normal_iteratorINS8_10device_ptrIjEEEEZNS1_13binary_searchIS3_S5_SG_SB_SG_NS1_21lower_bound_search_opENSC_16wrapped_functionINS0_4lessIvEEbEEEE10hipError_tPvRmT1_T2_T3_mmT4_T5_P12ihipStream_tbEUlRKjE_EESN_SR_SS_mST_SW_bEUlT_E_NS1_11comp_targetILNS1_3genE0ELNS1_11target_archE4294967295ELNS1_3gpuE0ELNS1_3repE0EEENS1_30default_config_static_selectorELNS0_4arch9wavefront6targetE0EEEvSQ_.uses_flat_scratch, 0
	.set _ZN7rocprim17ROCPRIM_400000_NS6detail17trampoline_kernelINS0_14default_configENS1_27lower_bound_config_selectorIjjEEZNS1_14transform_implILb0ES3_S5_N6thrust23THRUST_200600_302600_NS17counting_iteratorIjNS8_11use_defaultESA_SA_EENS8_6detail15normal_iteratorINS8_10device_ptrIjEEEEZNS1_13binary_searchIS3_S5_SG_SB_SG_NS1_21lower_bound_search_opENSC_16wrapped_functionINS0_4lessIvEEbEEEE10hipError_tPvRmT1_T2_T3_mmT4_T5_P12ihipStream_tbEUlRKjE_EESN_SR_SS_mST_SW_bEUlT_E_NS1_11comp_targetILNS1_3genE0ELNS1_11target_archE4294967295ELNS1_3gpuE0ELNS1_3repE0EEENS1_30default_config_static_selectorELNS0_4arch9wavefront6targetE0EEEvSQ_.has_dyn_sized_stack, 0
	.set _ZN7rocprim17ROCPRIM_400000_NS6detail17trampoline_kernelINS0_14default_configENS1_27lower_bound_config_selectorIjjEEZNS1_14transform_implILb0ES3_S5_N6thrust23THRUST_200600_302600_NS17counting_iteratorIjNS8_11use_defaultESA_SA_EENS8_6detail15normal_iteratorINS8_10device_ptrIjEEEEZNS1_13binary_searchIS3_S5_SG_SB_SG_NS1_21lower_bound_search_opENSC_16wrapped_functionINS0_4lessIvEEbEEEE10hipError_tPvRmT1_T2_T3_mmT4_T5_P12ihipStream_tbEUlRKjE_EESN_SR_SS_mST_SW_bEUlT_E_NS1_11comp_targetILNS1_3genE0ELNS1_11target_archE4294967295ELNS1_3gpuE0ELNS1_3repE0EEENS1_30default_config_static_selectorELNS0_4arch9wavefront6targetE0EEEvSQ_.has_recursion, 0
	.set _ZN7rocprim17ROCPRIM_400000_NS6detail17trampoline_kernelINS0_14default_configENS1_27lower_bound_config_selectorIjjEEZNS1_14transform_implILb0ES3_S5_N6thrust23THRUST_200600_302600_NS17counting_iteratorIjNS8_11use_defaultESA_SA_EENS8_6detail15normal_iteratorINS8_10device_ptrIjEEEEZNS1_13binary_searchIS3_S5_SG_SB_SG_NS1_21lower_bound_search_opENSC_16wrapped_functionINS0_4lessIvEEbEEEE10hipError_tPvRmT1_T2_T3_mmT4_T5_P12ihipStream_tbEUlRKjE_EESN_SR_SS_mST_SW_bEUlT_E_NS1_11comp_targetILNS1_3genE0ELNS1_11target_archE4294967295ELNS1_3gpuE0ELNS1_3repE0EEENS1_30default_config_static_selectorELNS0_4arch9wavefront6targetE0EEEvSQ_.has_indirect_call, 0
	.section	.AMDGPU.csdata,"",@progbits
; Kernel info:
; codeLenInByte = 0
; TotalNumSgprs: 0
; NumVgprs: 0
; ScratchSize: 0
; MemoryBound: 0
; FloatMode: 240
; IeeeMode: 1
; LDSByteSize: 0 bytes/workgroup (compile time only)
; SGPRBlocks: 0
; VGPRBlocks: 0
; NumSGPRsForWavesPerEU: 1
; NumVGPRsForWavesPerEU: 1
; Occupancy: 16
; WaveLimiterHint : 0
; COMPUTE_PGM_RSRC2:SCRATCH_EN: 0
; COMPUTE_PGM_RSRC2:USER_SGPR: 2
; COMPUTE_PGM_RSRC2:TRAP_HANDLER: 0
; COMPUTE_PGM_RSRC2:TGID_X_EN: 1
; COMPUTE_PGM_RSRC2:TGID_Y_EN: 0
; COMPUTE_PGM_RSRC2:TGID_Z_EN: 0
; COMPUTE_PGM_RSRC2:TIDIG_COMP_CNT: 0
	.section	.text._ZN7rocprim17ROCPRIM_400000_NS6detail17trampoline_kernelINS0_14default_configENS1_27lower_bound_config_selectorIjjEEZNS1_14transform_implILb0ES3_S5_N6thrust23THRUST_200600_302600_NS17counting_iteratorIjNS8_11use_defaultESA_SA_EENS8_6detail15normal_iteratorINS8_10device_ptrIjEEEEZNS1_13binary_searchIS3_S5_SG_SB_SG_NS1_21lower_bound_search_opENSC_16wrapped_functionINS0_4lessIvEEbEEEE10hipError_tPvRmT1_T2_T3_mmT4_T5_P12ihipStream_tbEUlRKjE_EESN_SR_SS_mST_SW_bEUlT_E_NS1_11comp_targetILNS1_3genE5ELNS1_11target_archE942ELNS1_3gpuE9ELNS1_3repE0EEENS1_30default_config_static_selectorELNS0_4arch9wavefront6targetE0EEEvSQ_,"axG",@progbits,_ZN7rocprim17ROCPRIM_400000_NS6detail17trampoline_kernelINS0_14default_configENS1_27lower_bound_config_selectorIjjEEZNS1_14transform_implILb0ES3_S5_N6thrust23THRUST_200600_302600_NS17counting_iteratorIjNS8_11use_defaultESA_SA_EENS8_6detail15normal_iteratorINS8_10device_ptrIjEEEEZNS1_13binary_searchIS3_S5_SG_SB_SG_NS1_21lower_bound_search_opENSC_16wrapped_functionINS0_4lessIvEEbEEEE10hipError_tPvRmT1_T2_T3_mmT4_T5_P12ihipStream_tbEUlRKjE_EESN_SR_SS_mST_SW_bEUlT_E_NS1_11comp_targetILNS1_3genE5ELNS1_11target_archE942ELNS1_3gpuE9ELNS1_3repE0EEENS1_30default_config_static_selectorELNS0_4arch9wavefront6targetE0EEEvSQ_,comdat
	.protected	_ZN7rocprim17ROCPRIM_400000_NS6detail17trampoline_kernelINS0_14default_configENS1_27lower_bound_config_selectorIjjEEZNS1_14transform_implILb0ES3_S5_N6thrust23THRUST_200600_302600_NS17counting_iteratorIjNS8_11use_defaultESA_SA_EENS8_6detail15normal_iteratorINS8_10device_ptrIjEEEEZNS1_13binary_searchIS3_S5_SG_SB_SG_NS1_21lower_bound_search_opENSC_16wrapped_functionINS0_4lessIvEEbEEEE10hipError_tPvRmT1_T2_T3_mmT4_T5_P12ihipStream_tbEUlRKjE_EESN_SR_SS_mST_SW_bEUlT_E_NS1_11comp_targetILNS1_3genE5ELNS1_11target_archE942ELNS1_3gpuE9ELNS1_3repE0EEENS1_30default_config_static_selectorELNS0_4arch9wavefront6targetE0EEEvSQ_ ; -- Begin function _ZN7rocprim17ROCPRIM_400000_NS6detail17trampoline_kernelINS0_14default_configENS1_27lower_bound_config_selectorIjjEEZNS1_14transform_implILb0ES3_S5_N6thrust23THRUST_200600_302600_NS17counting_iteratorIjNS8_11use_defaultESA_SA_EENS8_6detail15normal_iteratorINS8_10device_ptrIjEEEEZNS1_13binary_searchIS3_S5_SG_SB_SG_NS1_21lower_bound_search_opENSC_16wrapped_functionINS0_4lessIvEEbEEEE10hipError_tPvRmT1_T2_T3_mmT4_T5_P12ihipStream_tbEUlRKjE_EESN_SR_SS_mST_SW_bEUlT_E_NS1_11comp_targetILNS1_3genE5ELNS1_11target_archE942ELNS1_3gpuE9ELNS1_3repE0EEENS1_30default_config_static_selectorELNS0_4arch9wavefront6targetE0EEEvSQ_
	.globl	_ZN7rocprim17ROCPRIM_400000_NS6detail17trampoline_kernelINS0_14default_configENS1_27lower_bound_config_selectorIjjEEZNS1_14transform_implILb0ES3_S5_N6thrust23THRUST_200600_302600_NS17counting_iteratorIjNS8_11use_defaultESA_SA_EENS8_6detail15normal_iteratorINS8_10device_ptrIjEEEEZNS1_13binary_searchIS3_S5_SG_SB_SG_NS1_21lower_bound_search_opENSC_16wrapped_functionINS0_4lessIvEEbEEEE10hipError_tPvRmT1_T2_T3_mmT4_T5_P12ihipStream_tbEUlRKjE_EESN_SR_SS_mST_SW_bEUlT_E_NS1_11comp_targetILNS1_3genE5ELNS1_11target_archE942ELNS1_3gpuE9ELNS1_3repE0EEENS1_30default_config_static_selectorELNS0_4arch9wavefront6targetE0EEEvSQ_
	.p2align	8
	.type	_ZN7rocprim17ROCPRIM_400000_NS6detail17trampoline_kernelINS0_14default_configENS1_27lower_bound_config_selectorIjjEEZNS1_14transform_implILb0ES3_S5_N6thrust23THRUST_200600_302600_NS17counting_iteratorIjNS8_11use_defaultESA_SA_EENS8_6detail15normal_iteratorINS8_10device_ptrIjEEEEZNS1_13binary_searchIS3_S5_SG_SB_SG_NS1_21lower_bound_search_opENSC_16wrapped_functionINS0_4lessIvEEbEEEE10hipError_tPvRmT1_T2_T3_mmT4_T5_P12ihipStream_tbEUlRKjE_EESN_SR_SS_mST_SW_bEUlT_E_NS1_11comp_targetILNS1_3genE5ELNS1_11target_archE942ELNS1_3gpuE9ELNS1_3repE0EEENS1_30default_config_static_selectorELNS0_4arch9wavefront6targetE0EEEvSQ_,@function
_ZN7rocprim17ROCPRIM_400000_NS6detail17trampoline_kernelINS0_14default_configENS1_27lower_bound_config_selectorIjjEEZNS1_14transform_implILb0ES3_S5_N6thrust23THRUST_200600_302600_NS17counting_iteratorIjNS8_11use_defaultESA_SA_EENS8_6detail15normal_iteratorINS8_10device_ptrIjEEEEZNS1_13binary_searchIS3_S5_SG_SB_SG_NS1_21lower_bound_search_opENSC_16wrapped_functionINS0_4lessIvEEbEEEE10hipError_tPvRmT1_T2_T3_mmT4_T5_P12ihipStream_tbEUlRKjE_EESN_SR_SS_mST_SW_bEUlT_E_NS1_11comp_targetILNS1_3genE5ELNS1_11target_archE942ELNS1_3gpuE9ELNS1_3repE0EEENS1_30default_config_static_selectorELNS0_4arch9wavefront6targetE0EEEvSQ_: ; @_ZN7rocprim17ROCPRIM_400000_NS6detail17trampoline_kernelINS0_14default_configENS1_27lower_bound_config_selectorIjjEEZNS1_14transform_implILb0ES3_S5_N6thrust23THRUST_200600_302600_NS17counting_iteratorIjNS8_11use_defaultESA_SA_EENS8_6detail15normal_iteratorINS8_10device_ptrIjEEEEZNS1_13binary_searchIS3_S5_SG_SB_SG_NS1_21lower_bound_search_opENSC_16wrapped_functionINS0_4lessIvEEbEEEE10hipError_tPvRmT1_T2_T3_mmT4_T5_P12ihipStream_tbEUlRKjE_EESN_SR_SS_mST_SW_bEUlT_E_NS1_11comp_targetILNS1_3genE5ELNS1_11target_archE942ELNS1_3gpuE9ELNS1_3repE0EEENS1_30default_config_static_selectorELNS0_4arch9wavefront6targetE0EEEvSQ_
; %bb.0:
	.section	.rodata,"a",@progbits
	.p2align	6, 0x0
	.amdhsa_kernel _ZN7rocprim17ROCPRIM_400000_NS6detail17trampoline_kernelINS0_14default_configENS1_27lower_bound_config_selectorIjjEEZNS1_14transform_implILb0ES3_S5_N6thrust23THRUST_200600_302600_NS17counting_iteratorIjNS8_11use_defaultESA_SA_EENS8_6detail15normal_iteratorINS8_10device_ptrIjEEEEZNS1_13binary_searchIS3_S5_SG_SB_SG_NS1_21lower_bound_search_opENSC_16wrapped_functionINS0_4lessIvEEbEEEE10hipError_tPvRmT1_T2_T3_mmT4_T5_P12ihipStream_tbEUlRKjE_EESN_SR_SS_mST_SW_bEUlT_E_NS1_11comp_targetILNS1_3genE5ELNS1_11target_archE942ELNS1_3gpuE9ELNS1_3repE0EEENS1_30default_config_static_selectorELNS0_4arch9wavefront6targetE0EEEvSQ_
		.amdhsa_group_segment_fixed_size 0
		.amdhsa_private_segment_fixed_size 0
		.amdhsa_kernarg_size 56
		.amdhsa_user_sgpr_count 2
		.amdhsa_user_sgpr_dispatch_ptr 0
		.amdhsa_user_sgpr_queue_ptr 0
		.amdhsa_user_sgpr_kernarg_segment_ptr 1
		.amdhsa_user_sgpr_dispatch_id 0
		.amdhsa_user_sgpr_private_segment_size 0
		.amdhsa_wavefront_size32 1
		.amdhsa_uses_dynamic_stack 0
		.amdhsa_enable_private_segment 0
		.amdhsa_system_sgpr_workgroup_id_x 1
		.amdhsa_system_sgpr_workgroup_id_y 0
		.amdhsa_system_sgpr_workgroup_id_z 0
		.amdhsa_system_sgpr_workgroup_info 0
		.amdhsa_system_vgpr_workitem_id 0
		.amdhsa_next_free_vgpr 1
		.amdhsa_next_free_sgpr 1
		.amdhsa_reserve_vcc 0
		.amdhsa_float_round_mode_32 0
		.amdhsa_float_round_mode_16_64 0
		.amdhsa_float_denorm_mode_32 3
		.amdhsa_float_denorm_mode_16_64 3
		.amdhsa_fp16_overflow 0
		.amdhsa_workgroup_processor_mode 1
		.amdhsa_memory_ordered 1
		.amdhsa_forward_progress 1
		.amdhsa_inst_pref_size 0
		.amdhsa_round_robin_scheduling 0
		.amdhsa_exception_fp_ieee_invalid_op 0
		.amdhsa_exception_fp_denorm_src 0
		.amdhsa_exception_fp_ieee_div_zero 0
		.amdhsa_exception_fp_ieee_overflow 0
		.amdhsa_exception_fp_ieee_underflow 0
		.amdhsa_exception_fp_ieee_inexact 0
		.amdhsa_exception_int_div_zero 0
	.end_amdhsa_kernel
	.section	.text._ZN7rocprim17ROCPRIM_400000_NS6detail17trampoline_kernelINS0_14default_configENS1_27lower_bound_config_selectorIjjEEZNS1_14transform_implILb0ES3_S5_N6thrust23THRUST_200600_302600_NS17counting_iteratorIjNS8_11use_defaultESA_SA_EENS8_6detail15normal_iteratorINS8_10device_ptrIjEEEEZNS1_13binary_searchIS3_S5_SG_SB_SG_NS1_21lower_bound_search_opENSC_16wrapped_functionINS0_4lessIvEEbEEEE10hipError_tPvRmT1_T2_T3_mmT4_T5_P12ihipStream_tbEUlRKjE_EESN_SR_SS_mST_SW_bEUlT_E_NS1_11comp_targetILNS1_3genE5ELNS1_11target_archE942ELNS1_3gpuE9ELNS1_3repE0EEENS1_30default_config_static_selectorELNS0_4arch9wavefront6targetE0EEEvSQ_,"axG",@progbits,_ZN7rocprim17ROCPRIM_400000_NS6detail17trampoline_kernelINS0_14default_configENS1_27lower_bound_config_selectorIjjEEZNS1_14transform_implILb0ES3_S5_N6thrust23THRUST_200600_302600_NS17counting_iteratorIjNS8_11use_defaultESA_SA_EENS8_6detail15normal_iteratorINS8_10device_ptrIjEEEEZNS1_13binary_searchIS3_S5_SG_SB_SG_NS1_21lower_bound_search_opENSC_16wrapped_functionINS0_4lessIvEEbEEEE10hipError_tPvRmT1_T2_T3_mmT4_T5_P12ihipStream_tbEUlRKjE_EESN_SR_SS_mST_SW_bEUlT_E_NS1_11comp_targetILNS1_3genE5ELNS1_11target_archE942ELNS1_3gpuE9ELNS1_3repE0EEENS1_30default_config_static_selectorELNS0_4arch9wavefront6targetE0EEEvSQ_,comdat
.Lfunc_end231:
	.size	_ZN7rocprim17ROCPRIM_400000_NS6detail17trampoline_kernelINS0_14default_configENS1_27lower_bound_config_selectorIjjEEZNS1_14transform_implILb0ES3_S5_N6thrust23THRUST_200600_302600_NS17counting_iteratorIjNS8_11use_defaultESA_SA_EENS8_6detail15normal_iteratorINS8_10device_ptrIjEEEEZNS1_13binary_searchIS3_S5_SG_SB_SG_NS1_21lower_bound_search_opENSC_16wrapped_functionINS0_4lessIvEEbEEEE10hipError_tPvRmT1_T2_T3_mmT4_T5_P12ihipStream_tbEUlRKjE_EESN_SR_SS_mST_SW_bEUlT_E_NS1_11comp_targetILNS1_3genE5ELNS1_11target_archE942ELNS1_3gpuE9ELNS1_3repE0EEENS1_30default_config_static_selectorELNS0_4arch9wavefront6targetE0EEEvSQ_, .Lfunc_end231-_ZN7rocprim17ROCPRIM_400000_NS6detail17trampoline_kernelINS0_14default_configENS1_27lower_bound_config_selectorIjjEEZNS1_14transform_implILb0ES3_S5_N6thrust23THRUST_200600_302600_NS17counting_iteratorIjNS8_11use_defaultESA_SA_EENS8_6detail15normal_iteratorINS8_10device_ptrIjEEEEZNS1_13binary_searchIS3_S5_SG_SB_SG_NS1_21lower_bound_search_opENSC_16wrapped_functionINS0_4lessIvEEbEEEE10hipError_tPvRmT1_T2_T3_mmT4_T5_P12ihipStream_tbEUlRKjE_EESN_SR_SS_mST_SW_bEUlT_E_NS1_11comp_targetILNS1_3genE5ELNS1_11target_archE942ELNS1_3gpuE9ELNS1_3repE0EEENS1_30default_config_static_selectorELNS0_4arch9wavefront6targetE0EEEvSQ_
                                        ; -- End function
	.set _ZN7rocprim17ROCPRIM_400000_NS6detail17trampoline_kernelINS0_14default_configENS1_27lower_bound_config_selectorIjjEEZNS1_14transform_implILb0ES3_S5_N6thrust23THRUST_200600_302600_NS17counting_iteratorIjNS8_11use_defaultESA_SA_EENS8_6detail15normal_iteratorINS8_10device_ptrIjEEEEZNS1_13binary_searchIS3_S5_SG_SB_SG_NS1_21lower_bound_search_opENSC_16wrapped_functionINS0_4lessIvEEbEEEE10hipError_tPvRmT1_T2_T3_mmT4_T5_P12ihipStream_tbEUlRKjE_EESN_SR_SS_mST_SW_bEUlT_E_NS1_11comp_targetILNS1_3genE5ELNS1_11target_archE942ELNS1_3gpuE9ELNS1_3repE0EEENS1_30default_config_static_selectorELNS0_4arch9wavefront6targetE0EEEvSQ_.num_vgpr, 0
	.set _ZN7rocprim17ROCPRIM_400000_NS6detail17trampoline_kernelINS0_14default_configENS1_27lower_bound_config_selectorIjjEEZNS1_14transform_implILb0ES3_S5_N6thrust23THRUST_200600_302600_NS17counting_iteratorIjNS8_11use_defaultESA_SA_EENS8_6detail15normal_iteratorINS8_10device_ptrIjEEEEZNS1_13binary_searchIS3_S5_SG_SB_SG_NS1_21lower_bound_search_opENSC_16wrapped_functionINS0_4lessIvEEbEEEE10hipError_tPvRmT1_T2_T3_mmT4_T5_P12ihipStream_tbEUlRKjE_EESN_SR_SS_mST_SW_bEUlT_E_NS1_11comp_targetILNS1_3genE5ELNS1_11target_archE942ELNS1_3gpuE9ELNS1_3repE0EEENS1_30default_config_static_selectorELNS0_4arch9wavefront6targetE0EEEvSQ_.num_agpr, 0
	.set _ZN7rocprim17ROCPRIM_400000_NS6detail17trampoline_kernelINS0_14default_configENS1_27lower_bound_config_selectorIjjEEZNS1_14transform_implILb0ES3_S5_N6thrust23THRUST_200600_302600_NS17counting_iteratorIjNS8_11use_defaultESA_SA_EENS8_6detail15normal_iteratorINS8_10device_ptrIjEEEEZNS1_13binary_searchIS3_S5_SG_SB_SG_NS1_21lower_bound_search_opENSC_16wrapped_functionINS0_4lessIvEEbEEEE10hipError_tPvRmT1_T2_T3_mmT4_T5_P12ihipStream_tbEUlRKjE_EESN_SR_SS_mST_SW_bEUlT_E_NS1_11comp_targetILNS1_3genE5ELNS1_11target_archE942ELNS1_3gpuE9ELNS1_3repE0EEENS1_30default_config_static_selectorELNS0_4arch9wavefront6targetE0EEEvSQ_.numbered_sgpr, 0
	.set _ZN7rocprim17ROCPRIM_400000_NS6detail17trampoline_kernelINS0_14default_configENS1_27lower_bound_config_selectorIjjEEZNS1_14transform_implILb0ES3_S5_N6thrust23THRUST_200600_302600_NS17counting_iteratorIjNS8_11use_defaultESA_SA_EENS8_6detail15normal_iteratorINS8_10device_ptrIjEEEEZNS1_13binary_searchIS3_S5_SG_SB_SG_NS1_21lower_bound_search_opENSC_16wrapped_functionINS0_4lessIvEEbEEEE10hipError_tPvRmT1_T2_T3_mmT4_T5_P12ihipStream_tbEUlRKjE_EESN_SR_SS_mST_SW_bEUlT_E_NS1_11comp_targetILNS1_3genE5ELNS1_11target_archE942ELNS1_3gpuE9ELNS1_3repE0EEENS1_30default_config_static_selectorELNS0_4arch9wavefront6targetE0EEEvSQ_.num_named_barrier, 0
	.set _ZN7rocprim17ROCPRIM_400000_NS6detail17trampoline_kernelINS0_14default_configENS1_27lower_bound_config_selectorIjjEEZNS1_14transform_implILb0ES3_S5_N6thrust23THRUST_200600_302600_NS17counting_iteratorIjNS8_11use_defaultESA_SA_EENS8_6detail15normal_iteratorINS8_10device_ptrIjEEEEZNS1_13binary_searchIS3_S5_SG_SB_SG_NS1_21lower_bound_search_opENSC_16wrapped_functionINS0_4lessIvEEbEEEE10hipError_tPvRmT1_T2_T3_mmT4_T5_P12ihipStream_tbEUlRKjE_EESN_SR_SS_mST_SW_bEUlT_E_NS1_11comp_targetILNS1_3genE5ELNS1_11target_archE942ELNS1_3gpuE9ELNS1_3repE0EEENS1_30default_config_static_selectorELNS0_4arch9wavefront6targetE0EEEvSQ_.private_seg_size, 0
	.set _ZN7rocprim17ROCPRIM_400000_NS6detail17trampoline_kernelINS0_14default_configENS1_27lower_bound_config_selectorIjjEEZNS1_14transform_implILb0ES3_S5_N6thrust23THRUST_200600_302600_NS17counting_iteratorIjNS8_11use_defaultESA_SA_EENS8_6detail15normal_iteratorINS8_10device_ptrIjEEEEZNS1_13binary_searchIS3_S5_SG_SB_SG_NS1_21lower_bound_search_opENSC_16wrapped_functionINS0_4lessIvEEbEEEE10hipError_tPvRmT1_T2_T3_mmT4_T5_P12ihipStream_tbEUlRKjE_EESN_SR_SS_mST_SW_bEUlT_E_NS1_11comp_targetILNS1_3genE5ELNS1_11target_archE942ELNS1_3gpuE9ELNS1_3repE0EEENS1_30default_config_static_selectorELNS0_4arch9wavefront6targetE0EEEvSQ_.uses_vcc, 0
	.set _ZN7rocprim17ROCPRIM_400000_NS6detail17trampoline_kernelINS0_14default_configENS1_27lower_bound_config_selectorIjjEEZNS1_14transform_implILb0ES3_S5_N6thrust23THRUST_200600_302600_NS17counting_iteratorIjNS8_11use_defaultESA_SA_EENS8_6detail15normal_iteratorINS8_10device_ptrIjEEEEZNS1_13binary_searchIS3_S5_SG_SB_SG_NS1_21lower_bound_search_opENSC_16wrapped_functionINS0_4lessIvEEbEEEE10hipError_tPvRmT1_T2_T3_mmT4_T5_P12ihipStream_tbEUlRKjE_EESN_SR_SS_mST_SW_bEUlT_E_NS1_11comp_targetILNS1_3genE5ELNS1_11target_archE942ELNS1_3gpuE9ELNS1_3repE0EEENS1_30default_config_static_selectorELNS0_4arch9wavefront6targetE0EEEvSQ_.uses_flat_scratch, 0
	.set _ZN7rocprim17ROCPRIM_400000_NS6detail17trampoline_kernelINS0_14default_configENS1_27lower_bound_config_selectorIjjEEZNS1_14transform_implILb0ES3_S5_N6thrust23THRUST_200600_302600_NS17counting_iteratorIjNS8_11use_defaultESA_SA_EENS8_6detail15normal_iteratorINS8_10device_ptrIjEEEEZNS1_13binary_searchIS3_S5_SG_SB_SG_NS1_21lower_bound_search_opENSC_16wrapped_functionINS0_4lessIvEEbEEEE10hipError_tPvRmT1_T2_T3_mmT4_T5_P12ihipStream_tbEUlRKjE_EESN_SR_SS_mST_SW_bEUlT_E_NS1_11comp_targetILNS1_3genE5ELNS1_11target_archE942ELNS1_3gpuE9ELNS1_3repE0EEENS1_30default_config_static_selectorELNS0_4arch9wavefront6targetE0EEEvSQ_.has_dyn_sized_stack, 0
	.set _ZN7rocprim17ROCPRIM_400000_NS6detail17trampoline_kernelINS0_14default_configENS1_27lower_bound_config_selectorIjjEEZNS1_14transform_implILb0ES3_S5_N6thrust23THRUST_200600_302600_NS17counting_iteratorIjNS8_11use_defaultESA_SA_EENS8_6detail15normal_iteratorINS8_10device_ptrIjEEEEZNS1_13binary_searchIS3_S5_SG_SB_SG_NS1_21lower_bound_search_opENSC_16wrapped_functionINS0_4lessIvEEbEEEE10hipError_tPvRmT1_T2_T3_mmT4_T5_P12ihipStream_tbEUlRKjE_EESN_SR_SS_mST_SW_bEUlT_E_NS1_11comp_targetILNS1_3genE5ELNS1_11target_archE942ELNS1_3gpuE9ELNS1_3repE0EEENS1_30default_config_static_selectorELNS0_4arch9wavefront6targetE0EEEvSQ_.has_recursion, 0
	.set _ZN7rocprim17ROCPRIM_400000_NS6detail17trampoline_kernelINS0_14default_configENS1_27lower_bound_config_selectorIjjEEZNS1_14transform_implILb0ES3_S5_N6thrust23THRUST_200600_302600_NS17counting_iteratorIjNS8_11use_defaultESA_SA_EENS8_6detail15normal_iteratorINS8_10device_ptrIjEEEEZNS1_13binary_searchIS3_S5_SG_SB_SG_NS1_21lower_bound_search_opENSC_16wrapped_functionINS0_4lessIvEEbEEEE10hipError_tPvRmT1_T2_T3_mmT4_T5_P12ihipStream_tbEUlRKjE_EESN_SR_SS_mST_SW_bEUlT_E_NS1_11comp_targetILNS1_3genE5ELNS1_11target_archE942ELNS1_3gpuE9ELNS1_3repE0EEENS1_30default_config_static_selectorELNS0_4arch9wavefront6targetE0EEEvSQ_.has_indirect_call, 0
	.section	.AMDGPU.csdata,"",@progbits
; Kernel info:
; codeLenInByte = 0
; TotalNumSgprs: 0
; NumVgprs: 0
; ScratchSize: 0
; MemoryBound: 0
; FloatMode: 240
; IeeeMode: 1
; LDSByteSize: 0 bytes/workgroup (compile time only)
; SGPRBlocks: 0
; VGPRBlocks: 0
; NumSGPRsForWavesPerEU: 1
; NumVGPRsForWavesPerEU: 1
; Occupancy: 16
; WaveLimiterHint : 0
; COMPUTE_PGM_RSRC2:SCRATCH_EN: 0
; COMPUTE_PGM_RSRC2:USER_SGPR: 2
; COMPUTE_PGM_RSRC2:TRAP_HANDLER: 0
; COMPUTE_PGM_RSRC2:TGID_X_EN: 1
; COMPUTE_PGM_RSRC2:TGID_Y_EN: 0
; COMPUTE_PGM_RSRC2:TGID_Z_EN: 0
; COMPUTE_PGM_RSRC2:TIDIG_COMP_CNT: 0
	.section	.text._ZN7rocprim17ROCPRIM_400000_NS6detail17trampoline_kernelINS0_14default_configENS1_27lower_bound_config_selectorIjjEEZNS1_14transform_implILb0ES3_S5_N6thrust23THRUST_200600_302600_NS17counting_iteratorIjNS8_11use_defaultESA_SA_EENS8_6detail15normal_iteratorINS8_10device_ptrIjEEEEZNS1_13binary_searchIS3_S5_SG_SB_SG_NS1_21lower_bound_search_opENSC_16wrapped_functionINS0_4lessIvEEbEEEE10hipError_tPvRmT1_T2_T3_mmT4_T5_P12ihipStream_tbEUlRKjE_EESN_SR_SS_mST_SW_bEUlT_E_NS1_11comp_targetILNS1_3genE4ELNS1_11target_archE910ELNS1_3gpuE8ELNS1_3repE0EEENS1_30default_config_static_selectorELNS0_4arch9wavefront6targetE0EEEvSQ_,"axG",@progbits,_ZN7rocprim17ROCPRIM_400000_NS6detail17trampoline_kernelINS0_14default_configENS1_27lower_bound_config_selectorIjjEEZNS1_14transform_implILb0ES3_S5_N6thrust23THRUST_200600_302600_NS17counting_iteratorIjNS8_11use_defaultESA_SA_EENS8_6detail15normal_iteratorINS8_10device_ptrIjEEEEZNS1_13binary_searchIS3_S5_SG_SB_SG_NS1_21lower_bound_search_opENSC_16wrapped_functionINS0_4lessIvEEbEEEE10hipError_tPvRmT1_T2_T3_mmT4_T5_P12ihipStream_tbEUlRKjE_EESN_SR_SS_mST_SW_bEUlT_E_NS1_11comp_targetILNS1_3genE4ELNS1_11target_archE910ELNS1_3gpuE8ELNS1_3repE0EEENS1_30default_config_static_selectorELNS0_4arch9wavefront6targetE0EEEvSQ_,comdat
	.protected	_ZN7rocprim17ROCPRIM_400000_NS6detail17trampoline_kernelINS0_14default_configENS1_27lower_bound_config_selectorIjjEEZNS1_14transform_implILb0ES3_S5_N6thrust23THRUST_200600_302600_NS17counting_iteratorIjNS8_11use_defaultESA_SA_EENS8_6detail15normal_iteratorINS8_10device_ptrIjEEEEZNS1_13binary_searchIS3_S5_SG_SB_SG_NS1_21lower_bound_search_opENSC_16wrapped_functionINS0_4lessIvEEbEEEE10hipError_tPvRmT1_T2_T3_mmT4_T5_P12ihipStream_tbEUlRKjE_EESN_SR_SS_mST_SW_bEUlT_E_NS1_11comp_targetILNS1_3genE4ELNS1_11target_archE910ELNS1_3gpuE8ELNS1_3repE0EEENS1_30default_config_static_selectorELNS0_4arch9wavefront6targetE0EEEvSQ_ ; -- Begin function _ZN7rocprim17ROCPRIM_400000_NS6detail17trampoline_kernelINS0_14default_configENS1_27lower_bound_config_selectorIjjEEZNS1_14transform_implILb0ES3_S5_N6thrust23THRUST_200600_302600_NS17counting_iteratorIjNS8_11use_defaultESA_SA_EENS8_6detail15normal_iteratorINS8_10device_ptrIjEEEEZNS1_13binary_searchIS3_S5_SG_SB_SG_NS1_21lower_bound_search_opENSC_16wrapped_functionINS0_4lessIvEEbEEEE10hipError_tPvRmT1_T2_T3_mmT4_T5_P12ihipStream_tbEUlRKjE_EESN_SR_SS_mST_SW_bEUlT_E_NS1_11comp_targetILNS1_3genE4ELNS1_11target_archE910ELNS1_3gpuE8ELNS1_3repE0EEENS1_30default_config_static_selectorELNS0_4arch9wavefront6targetE0EEEvSQ_
	.globl	_ZN7rocprim17ROCPRIM_400000_NS6detail17trampoline_kernelINS0_14default_configENS1_27lower_bound_config_selectorIjjEEZNS1_14transform_implILb0ES3_S5_N6thrust23THRUST_200600_302600_NS17counting_iteratorIjNS8_11use_defaultESA_SA_EENS8_6detail15normal_iteratorINS8_10device_ptrIjEEEEZNS1_13binary_searchIS3_S5_SG_SB_SG_NS1_21lower_bound_search_opENSC_16wrapped_functionINS0_4lessIvEEbEEEE10hipError_tPvRmT1_T2_T3_mmT4_T5_P12ihipStream_tbEUlRKjE_EESN_SR_SS_mST_SW_bEUlT_E_NS1_11comp_targetILNS1_3genE4ELNS1_11target_archE910ELNS1_3gpuE8ELNS1_3repE0EEENS1_30default_config_static_selectorELNS0_4arch9wavefront6targetE0EEEvSQ_
	.p2align	8
	.type	_ZN7rocprim17ROCPRIM_400000_NS6detail17trampoline_kernelINS0_14default_configENS1_27lower_bound_config_selectorIjjEEZNS1_14transform_implILb0ES3_S5_N6thrust23THRUST_200600_302600_NS17counting_iteratorIjNS8_11use_defaultESA_SA_EENS8_6detail15normal_iteratorINS8_10device_ptrIjEEEEZNS1_13binary_searchIS3_S5_SG_SB_SG_NS1_21lower_bound_search_opENSC_16wrapped_functionINS0_4lessIvEEbEEEE10hipError_tPvRmT1_T2_T3_mmT4_T5_P12ihipStream_tbEUlRKjE_EESN_SR_SS_mST_SW_bEUlT_E_NS1_11comp_targetILNS1_3genE4ELNS1_11target_archE910ELNS1_3gpuE8ELNS1_3repE0EEENS1_30default_config_static_selectorELNS0_4arch9wavefront6targetE0EEEvSQ_,@function
_ZN7rocprim17ROCPRIM_400000_NS6detail17trampoline_kernelINS0_14default_configENS1_27lower_bound_config_selectorIjjEEZNS1_14transform_implILb0ES3_S5_N6thrust23THRUST_200600_302600_NS17counting_iteratorIjNS8_11use_defaultESA_SA_EENS8_6detail15normal_iteratorINS8_10device_ptrIjEEEEZNS1_13binary_searchIS3_S5_SG_SB_SG_NS1_21lower_bound_search_opENSC_16wrapped_functionINS0_4lessIvEEbEEEE10hipError_tPvRmT1_T2_T3_mmT4_T5_P12ihipStream_tbEUlRKjE_EESN_SR_SS_mST_SW_bEUlT_E_NS1_11comp_targetILNS1_3genE4ELNS1_11target_archE910ELNS1_3gpuE8ELNS1_3repE0EEENS1_30default_config_static_selectorELNS0_4arch9wavefront6targetE0EEEvSQ_: ; @_ZN7rocprim17ROCPRIM_400000_NS6detail17trampoline_kernelINS0_14default_configENS1_27lower_bound_config_selectorIjjEEZNS1_14transform_implILb0ES3_S5_N6thrust23THRUST_200600_302600_NS17counting_iteratorIjNS8_11use_defaultESA_SA_EENS8_6detail15normal_iteratorINS8_10device_ptrIjEEEEZNS1_13binary_searchIS3_S5_SG_SB_SG_NS1_21lower_bound_search_opENSC_16wrapped_functionINS0_4lessIvEEbEEEE10hipError_tPvRmT1_T2_T3_mmT4_T5_P12ihipStream_tbEUlRKjE_EESN_SR_SS_mST_SW_bEUlT_E_NS1_11comp_targetILNS1_3genE4ELNS1_11target_archE910ELNS1_3gpuE8ELNS1_3repE0EEENS1_30default_config_static_selectorELNS0_4arch9wavefront6targetE0EEEvSQ_
; %bb.0:
	.section	.rodata,"a",@progbits
	.p2align	6, 0x0
	.amdhsa_kernel _ZN7rocprim17ROCPRIM_400000_NS6detail17trampoline_kernelINS0_14default_configENS1_27lower_bound_config_selectorIjjEEZNS1_14transform_implILb0ES3_S5_N6thrust23THRUST_200600_302600_NS17counting_iteratorIjNS8_11use_defaultESA_SA_EENS8_6detail15normal_iteratorINS8_10device_ptrIjEEEEZNS1_13binary_searchIS3_S5_SG_SB_SG_NS1_21lower_bound_search_opENSC_16wrapped_functionINS0_4lessIvEEbEEEE10hipError_tPvRmT1_T2_T3_mmT4_T5_P12ihipStream_tbEUlRKjE_EESN_SR_SS_mST_SW_bEUlT_E_NS1_11comp_targetILNS1_3genE4ELNS1_11target_archE910ELNS1_3gpuE8ELNS1_3repE0EEENS1_30default_config_static_selectorELNS0_4arch9wavefront6targetE0EEEvSQ_
		.amdhsa_group_segment_fixed_size 0
		.amdhsa_private_segment_fixed_size 0
		.amdhsa_kernarg_size 56
		.amdhsa_user_sgpr_count 2
		.amdhsa_user_sgpr_dispatch_ptr 0
		.amdhsa_user_sgpr_queue_ptr 0
		.amdhsa_user_sgpr_kernarg_segment_ptr 1
		.amdhsa_user_sgpr_dispatch_id 0
		.amdhsa_user_sgpr_private_segment_size 0
		.amdhsa_wavefront_size32 1
		.amdhsa_uses_dynamic_stack 0
		.amdhsa_enable_private_segment 0
		.amdhsa_system_sgpr_workgroup_id_x 1
		.amdhsa_system_sgpr_workgroup_id_y 0
		.amdhsa_system_sgpr_workgroup_id_z 0
		.amdhsa_system_sgpr_workgroup_info 0
		.amdhsa_system_vgpr_workitem_id 0
		.amdhsa_next_free_vgpr 1
		.amdhsa_next_free_sgpr 1
		.amdhsa_reserve_vcc 0
		.amdhsa_float_round_mode_32 0
		.amdhsa_float_round_mode_16_64 0
		.amdhsa_float_denorm_mode_32 3
		.amdhsa_float_denorm_mode_16_64 3
		.amdhsa_fp16_overflow 0
		.amdhsa_workgroup_processor_mode 1
		.amdhsa_memory_ordered 1
		.amdhsa_forward_progress 1
		.amdhsa_inst_pref_size 0
		.amdhsa_round_robin_scheduling 0
		.amdhsa_exception_fp_ieee_invalid_op 0
		.amdhsa_exception_fp_denorm_src 0
		.amdhsa_exception_fp_ieee_div_zero 0
		.amdhsa_exception_fp_ieee_overflow 0
		.amdhsa_exception_fp_ieee_underflow 0
		.amdhsa_exception_fp_ieee_inexact 0
		.amdhsa_exception_int_div_zero 0
	.end_amdhsa_kernel
	.section	.text._ZN7rocprim17ROCPRIM_400000_NS6detail17trampoline_kernelINS0_14default_configENS1_27lower_bound_config_selectorIjjEEZNS1_14transform_implILb0ES3_S5_N6thrust23THRUST_200600_302600_NS17counting_iteratorIjNS8_11use_defaultESA_SA_EENS8_6detail15normal_iteratorINS8_10device_ptrIjEEEEZNS1_13binary_searchIS3_S5_SG_SB_SG_NS1_21lower_bound_search_opENSC_16wrapped_functionINS0_4lessIvEEbEEEE10hipError_tPvRmT1_T2_T3_mmT4_T5_P12ihipStream_tbEUlRKjE_EESN_SR_SS_mST_SW_bEUlT_E_NS1_11comp_targetILNS1_3genE4ELNS1_11target_archE910ELNS1_3gpuE8ELNS1_3repE0EEENS1_30default_config_static_selectorELNS0_4arch9wavefront6targetE0EEEvSQ_,"axG",@progbits,_ZN7rocprim17ROCPRIM_400000_NS6detail17trampoline_kernelINS0_14default_configENS1_27lower_bound_config_selectorIjjEEZNS1_14transform_implILb0ES3_S5_N6thrust23THRUST_200600_302600_NS17counting_iteratorIjNS8_11use_defaultESA_SA_EENS8_6detail15normal_iteratorINS8_10device_ptrIjEEEEZNS1_13binary_searchIS3_S5_SG_SB_SG_NS1_21lower_bound_search_opENSC_16wrapped_functionINS0_4lessIvEEbEEEE10hipError_tPvRmT1_T2_T3_mmT4_T5_P12ihipStream_tbEUlRKjE_EESN_SR_SS_mST_SW_bEUlT_E_NS1_11comp_targetILNS1_3genE4ELNS1_11target_archE910ELNS1_3gpuE8ELNS1_3repE0EEENS1_30default_config_static_selectorELNS0_4arch9wavefront6targetE0EEEvSQ_,comdat
.Lfunc_end232:
	.size	_ZN7rocprim17ROCPRIM_400000_NS6detail17trampoline_kernelINS0_14default_configENS1_27lower_bound_config_selectorIjjEEZNS1_14transform_implILb0ES3_S5_N6thrust23THRUST_200600_302600_NS17counting_iteratorIjNS8_11use_defaultESA_SA_EENS8_6detail15normal_iteratorINS8_10device_ptrIjEEEEZNS1_13binary_searchIS3_S5_SG_SB_SG_NS1_21lower_bound_search_opENSC_16wrapped_functionINS0_4lessIvEEbEEEE10hipError_tPvRmT1_T2_T3_mmT4_T5_P12ihipStream_tbEUlRKjE_EESN_SR_SS_mST_SW_bEUlT_E_NS1_11comp_targetILNS1_3genE4ELNS1_11target_archE910ELNS1_3gpuE8ELNS1_3repE0EEENS1_30default_config_static_selectorELNS0_4arch9wavefront6targetE0EEEvSQ_, .Lfunc_end232-_ZN7rocprim17ROCPRIM_400000_NS6detail17trampoline_kernelINS0_14default_configENS1_27lower_bound_config_selectorIjjEEZNS1_14transform_implILb0ES3_S5_N6thrust23THRUST_200600_302600_NS17counting_iteratorIjNS8_11use_defaultESA_SA_EENS8_6detail15normal_iteratorINS8_10device_ptrIjEEEEZNS1_13binary_searchIS3_S5_SG_SB_SG_NS1_21lower_bound_search_opENSC_16wrapped_functionINS0_4lessIvEEbEEEE10hipError_tPvRmT1_T2_T3_mmT4_T5_P12ihipStream_tbEUlRKjE_EESN_SR_SS_mST_SW_bEUlT_E_NS1_11comp_targetILNS1_3genE4ELNS1_11target_archE910ELNS1_3gpuE8ELNS1_3repE0EEENS1_30default_config_static_selectorELNS0_4arch9wavefront6targetE0EEEvSQ_
                                        ; -- End function
	.set _ZN7rocprim17ROCPRIM_400000_NS6detail17trampoline_kernelINS0_14default_configENS1_27lower_bound_config_selectorIjjEEZNS1_14transform_implILb0ES3_S5_N6thrust23THRUST_200600_302600_NS17counting_iteratorIjNS8_11use_defaultESA_SA_EENS8_6detail15normal_iteratorINS8_10device_ptrIjEEEEZNS1_13binary_searchIS3_S5_SG_SB_SG_NS1_21lower_bound_search_opENSC_16wrapped_functionINS0_4lessIvEEbEEEE10hipError_tPvRmT1_T2_T3_mmT4_T5_P12ihipStream_tbEUlRKjE_EESN_SR_SS_mST_SW_bEUlT_E_NS1_11comp_targetILNS1_3genE4ELNS1_11target_archE910ELNS1_3gpuE8ELNS1_3repE0EEENS1_30default_config_static_selectorELNS0_4arch9wavefront6targetE0EEEvSQ_.num_vgpr, 0
	.set _ZN7rocprim17ROCPRIM_400000_NS6detail17trampoline_kernelINS0_14default_configENS1_27lower_bound_config_selectorIjjEEZNS1_14transform_implILb0ES3_S5_N6thrust23THRUST_200600_302600_NS17counting_iteratorIjNS8_11use_defaultESA_SA_EENS8_6detail15normal_iteratorINS8_10device_ptrIjEEEEZNS1_13binary_searchIS3_S5_SG_SB_SG_NS1_21lower_bound_search_opENSC_16wrapped_functionINS0_4lessIvEEbEEEE10hipError_tPvRmT1_T2_T3_mmT4_T5_P12ihipStream_tbEUlRKjE_EESN_SR_SS_mST_SW_bEUlT_E_NS1_11comp_targetILNS1_3genE4ELNS1_11target_archE910ELNS1_3gpuE8ELNS1_3repE0EEENS1_30default_config_static_selectorELNS0_4arch9wavefront6targetE0EEEvSQ_.num_agpr, 0
	.set _ZN7rocprim17ROCPRIM_400000_NS6detail17trampoline_kernelINS0_14default_configENS1_27lower_bound_config_selectorIjjEEZNS1_14transform_implILb0ES3_S5_N6thrust23THRUST_200600_302600_NS17counting_iteratorIjNS8_11use_defaultESA_SA_EENS8_6detail15normal_iteratorINS8_10device_ptrIjEEEEZNS1_13binary_searchIS3_S5_SG_SB_SG_NS1_21lower_bound_search_opENSC_16wrapped_functionINS0_4lessIvEEbEEEE10hipError_tPvRmT1_T2_T3_mmT4_T5_P12ihipStream_tbEUlRKjE_EESN_SR_SS_mST_SW_bEUlT_E_NS1_11comp_targetILNS1_3genE4ELNS1_11target_archE910ELNS1_3gpuE8ELNS1_3repE0EEENS1_30default_config_static_selectorELNS0_4arch9wavefront6targetE0EEEvSQ_.numbered_sgpr, 0
	.set _ZN7rocprim17ROCPRIM_400000_NS6detail17trampoline_kernelINS0_14default_configENS1_27lower_bound_config_selectorIjjEEZNS1_14transform_implILb0ES3_S5_N6thrust23THRUST_200600_302600_NS17counting_iteratorIjNS8_11use_defaultESA_SA_EENS8_6detail15normal_iteratorINS8_10device_ptrIjEEEEZNS1_13binary_searchIS3_S5_SG_SB_SG_NS1_21lower_bound_search_opENSC_16wrapped_functionINS0_4lessIvEEbEEEE10hipError_tPvRmT1_T2_T3_mmT4_T5_P12ihipStream_tbEUlRKjE_EESN_SR_SS_mST_SW_bEUlT_E_NS1_11comp_targetILNS1_3genE4ELNS1_11target_archE910ELNS1_3gpuE8ELNS1_3repE0EEENS1_30default_config_static_selectorELNS0_4arch9wavefront6targetE0EEEvSQ_.num_named_barrier, 0
	.set _ZN7rocprim17ROCPRIM_400000_NS6detail17trampoline_kernelINS0_14default_configENS1_27lower_bound_config_selectorIjjEEZNS1_14transform_implILb0ES3_S5_N6thrust23THRUST_200600_302600_NS17counting_iteratorIjNS8_11use_defaultESA_SA_EENS8_6detail15normal_iteratorINS8_10device_ptrIjEEEEZNS1_13binary_searchIS3_S5_SG_SB_SG_NS1_21lower_bound_search_opENSC_16wrapped_functionINS0_4lessIvEEbEEEE10hipError_tPvRmT1_T2_T3_mmT4_T5_P12ihipStream_tbEUlRKjE_EESN_SR_SS_mST_SW_bEUlT_E_NS1_11comp_targetILNS1_3genE4ELNS1_11target_archE910ELNS1_3gpuE8ELNS1_3repE0EEENS1_30default_config_static_selectorELNS0_4arch9wavefront6targetE0EEEvSQ_.private_seg_size, 0
	.set _ZN7rocprim17ROCPRIM_400000_NS6detail17trampoline_kernelINS0_14default_configENS1_27lower_bound_config_selectorIjjEEZNS1_14transform_implILb0ES3_S5_N6thrust23THRUST_200600_302600_NS17counting_iteratorIjNS8_11use_defaultESA_SA_EENS8_6detail15normal_iteratorINS8_10device_ptrIjEEEEZNS1_13binary_searchIS3_S5_SG_SB_SG_NS1_21lower_bound_search_opENSC_16wrapped_functionINS0_4lessIvEEbEEEE10hipError_tPvRmT1_T2_T3_mmT4_T5_P12ihipStream_tbEUlRKjE_EESN_SR_SS_mST_SW_bEUlT_E_NS1_11comp_targetILNS1_3genE4ELNS1_11target_archE910ELNS1_3gpuE8ELNS1_3repE0EEENS1_30default_config_static_selectorELNS0_4arch9wavefront6targetE0EEEvSQ_.uses_vcc, 0
	.set _ZN7rocprim17ROCPRIM_400000_NS6detail17trampoline_kernelINS0_14default_configENS1_27lower_bound_config_selectorIjjEEZNS1_14transform_implILb0ES3_S5_N6thrust23THRUST_200600_302600_NS17counting_iteratorIjNS8_11use_defaultESA_SA_EENS8_6detail15normal_iteratorINS8_10device_ptrIjEEEEZNS1_13binary_searchIS3_S5_SG_SB_SG_NS1_21lower_bound_search_opENSC_16wrapped_functionINS0_4lessIvEEbEEEE10hipError_tPvRmT1_T2_T3_mmT4_T5_P12ihipStream_tbEUlRKjE_EESN_SR_SS_mST_SW_bEUlT_E_NS1_11comp_targetILNS1_3genE4ELNS1_11target_archE910ELNS1_3gpuE8ELNS1_3repE0EEENS1_30default_config_static_selectorELNS0_4arch9wavefront6targetE0EEEvSQ_.uses_flat_scratch, 0
	.set _ZN7rocprim17ROCPRIM_400000_NS6detail17trampoline_kernelINS0_14default_configENS1_27lower_bound_config_selectorIjjEEZNS1_14transform_implILb0ES3_S5_N6thrust23THRUST_200600_302600_NS17counting_iteratorIjNS8_11use_defaultESA_SA_EENS8_6detail15normal_iteratorINS8_10device_ptrIjEEEEZNS1_13binary_searchIS3_S5_SG_SB_SG_NS1_21lower_bound_search_opENSC_16wrapped_functionINS0_4lessIvEEbEEEE10hipError_tPvRmT1_T2_T3_mmT4_T5_P12ihipStream_tbEUlRKjE_EESN_SR_SS_mST_SW_bEUlT_E_NS1_11comp_targetILNS1_3genE4ELNS1_11target_archE910ELNS1_3gpuE8ELNS1_3repE0EEENS1_30default_config_static_selectorELNS0_4arch9wavefront6targetE0EEEvSQ_.has_dyn_sized_stack, 0
	.set _ZN7rocprim17ROCPRIM_400000_NS6detail17trampoline_kernelINS0_14default_configENS1_27lower_bound_config_selectorIjjEEZNS1_14transform_implILb0ES3_S5_N6thrust23THRUST_200600_302600_NS17counting_iteratorIjNS8_11use_defaultESA_SA_EENS8_6detail15normal_iteratorINS8_10device_ptrIjEEEEZNS1_13binary_searchIS3_S5_SG_SB_SG_NS1_21lower_bound_search_opENSC_16wrapped_functionINS0_4lessIvEEbEEEE10hipError_tPvRmT1_T2_T3_mmT4_T5_P12ihipStream_tbEUlRKjE_EESN_SR_SS_mST_SW_bEUlT_E_NS1_11comp_targetILNS1_3genE4ELNS1_11target_archE910ELNS1_3gpuE8ELNS1_3repE0EEENS1_30default_config_static_selectorELNS0_4arch9wavefront6targetE0EEEvSQ_.has_recursion, 0
	.set _ZN7rocprim17ROCPRIM_400000_NS6detail17trampoline_kernelINS0_14default_configENS1_27lower_bound_config_selectorIjjEEZNS1_14transform_implILb0ES3_S5_N6thrust23THRUST_200600_302600_NS17counting_iteratorIjNS8_11use_defaultESA_SA_EENS8_6detail15normal_iteratorINS8_10device_ptrIjEEEEZNS1_13binary_searchIS3_S5_SG_SB_SG_NS1_21lower_bound_search_opENSC_16wrapped_functionINS0_4lessIvEEbEEEE10hipError_tPvRmT1_T2_T3_mmT4_T5_P12ihipStream_tbEUlRKjE_EESN_SR_SS_mST_SW_bEUlT_E_NS1_11comp_targetILNS1_3genE4ELNS1_11target_archE910ELNS1_3gpuE8ELNS1_3repE0EEENS1_30default_config_static_selectorELNS0_4arch9wavefront6targetE0EEEvSQ_.has_indirect_call, 0
	.section	.AMDGPU.csdata,"",@progbits
; Kernel info:
; codeLenInByte = 0
; TotalNumSgprs: 0
; NumVgprs: 0
; ScratchSize: 0
; MemoryBound: 0
; FloatMode: 240
; IeeeMode: 1
; LDSByteSize: 0 bytes/workgroup (compile time only)
; SGPRBlocks: 0
; VGPRBlocks: 0
; NumSGPRsForWavesPerEU: 1
; NumVGPRsForWavesPerEU: 1
; Occupancy: 16
; WaveLimiterHint : 0
; COMPUTE_PGM_RSRC2:SCRATCH_EN: 0
; COMPUTE_PGM_RSRC2:USER_SGPR: 2
; COMPUTE_PGM_RSRC2:TRAP_HANDLER: 0
; COMPUTE_PGM_RSRC2:TGID_X_EN: 1
; COMPUTE_PGM_RSRC2:TGID_Y_EN: 0
; COMPUTE_PGM_RSRC2:TGID_Z_EN: 0
; COMPUTE_PGM_RSRC2:TIDIG_COMP_CNT: 0
	.section	.text._ZN7rocprim17ROCPRIM_400000_NS6detail17trampoline_kernelINS0_14default_configENS1_27lower_bound_config_selectorIjjEEZNS1_14transform_implILb0ES3_S5_N6thrust23THRUST_200600_302600_NS17counting_iteratorIjNS8_11use_defaultESA_SA_EENS8_6detail15normal_iteratorINS8_10device_ptrIjEEEEZNS1_13binary_searchIS3_S5_SG_SB_SG_NS1_21lower_bound_search_opENSC_16wrapped_functionINS0_4lessIvEEbEEEE10hipError_tPvRmT1_T2_T3_mmT4_T5_P12ihipStream_tbEUlRKjE_EESN_SR_SS_mST_SW_bEUlT_E_NS1_11comp_targetILNS1_3genE3ELNS1_11target_archE908ELNS1_3gpuE7ELNS1_3repE0EEENS1_30default_config_static_selectorELNS0_4arch9wavefront6targetE0EEEvSQ_,"axG",@progbits,_ZN7rocprim17ROCPRIM_400000_NS6detail17trampoline_kernelINS0_14default_configENS1_27lower_bound_config_selectorIjjEEZNS1_14transform_implILb0ES3_S5_N6thrust23THRUST_200600_302600_NS17counting_iteratorIjNS8_11use_defaultESA_SA_EENS8_6detail15normal_iteratorINS8_10device_ptrIjEEEEZNS1_13binary_searchIS3_S5_SG_SB_SG_NS1_21lower_bound_search_opENSC_16wrapped_functionINS0_4lessIvEEbEEEE10hipError_tPvRmT1_T2_T3_mmT4_T5_P12ihipStream_tbEUlRKjE_EESN_SR_SS_mST_SW_bEUlT_E_NS1_11comp_targetILNS1_3genE3ELNS1_11target_archE908ELNS1_3gpuE7ELNS1_3repE0EEENS1_30default_config_static_selectorELNS0_4arch9wavefront6targetE0EEEvSQ_,comdat
	.protected	_ZN7rocprim17ROCPRIM_400000_NS6detail17trampoline_kernelINS0_14default_configENS1_27lower_bound_config_selectorIjjEEZNS1_14transform_implILb0ES3_S5_N6thrust23THRUST_200600_302600_NS17counting_iteratorIjNS8_11use_defaultESA_SA_EENS8_6detail15normal_iteratorINS8_10device_ptrIjEEEEZNS1_13binary_searchIS3_S5_SG_SB_SG_NS1_21lower_bound_search_opENSC_16wrapped_functionINS0_4lessIvEEbEEEE10hipError_tPvRmT1_T2_T3_mmT4_T5_P12ihipStream_tbEUlRKjE_EESN_SR_SS_mST_SW_bEUlT_E_NS1_11comp_targetILNS1_3genE3ELNS1_11target_archE908ELNS1_3gpuE7ELNS1_3repE0EEENS1_30default_config_static_selectorELNS0_4arch9wavefront6targetE0EEEvSQ_ ; -- Begin function _ZN7rocprim17ROCPRIM_400000_NS6detail17trampoline_kernelINS0_14default_configENS1_27lower_bound_config_selectorIjjEEZNS1_14transform_implILb0ES3_S5_N6thrust23THRUST_200600_302600_NS17counting_iteratorIjNS8_11use_defaultESA_SA_EENS8_6detail15normal_iteratorINS8_10device_ptrIjEEEEZNS1_13binary_searchIS3_S5_SG_SB_SG_NS1_21lower_bound_search_opENSC_16wrapped_functionINS0_4lessIvEEbEEEE10hipError_tPvRmT1_T2_T3_mmT4_T5_P12ihipStream_tbEUlRKjE_EESN_SR_SS_mST_SW_bEUlT_E_NS1_11comp_targetILNS1_3genE3ELNS1_11target_archE908ELNS1_3gpuE7ELNS1_3repE0EEENS1_30default_config_static_selectorELNS0_4arch9wavefront6targetE0EEEvSQ_
	.globl	_ZN7rocprim17ROCPRIM_400000_NS6detail17trampoline_kernelINS0_14default_configENS1_27lower_bound_config_selectorIjjEEZNS1_14transform_implILb0ES3_S5_N6thrust23THRUST_200600_302600_NS17counting_iteratorIjNS8_11use_defaultESA_SA_EENS8_6detail15normal_iteratorINS8_10device_ptrIjEEEEZNS1_13binary_searchIS3_S5_SG_SB_SG_NS1_21lower_bound_search_opENSC_16wrapped_functionINS0_4lessIvEEbEEEE10hipError_tPvRmT1_T2_T3_mmT4_T5_P12ihipStream_tbEUlRKjE_EESN_SR_SS_mST_SW_bEUlT_E_NS1_11comp_targetILNS1_3genE3ELNS1_11target_archE908ELNS1_3gpuE7ELNS1_3repE0EEENS1_30default_config_static_selectorELNS0_4arch9wavefront6targetE0EEEvSQ_
	.p2align	8
	.type	_ZN7rocprim17ROCPRIM_400000_NS6detail17trampoline_kernelINS0_14default_configENS1_27lower_bound_config_selectorIjjEEZNS1_14transform_implILb0ES3_S5_N6thrust23THRUST_200600_302600_NS17counting_iteratorIjNS8_11use_defaultESA_SA_EENS8_6detail15normal_iteratorINS8_10device_ptrIjEEEEZNS1_13binary_searchIS3_S5_SG_SB_SG_NS1_21lower_bound_search_opENSC_16wrapped_functionINS0_4lessIvEEbEEEE10hipError_tPvRmT1_T2_T3_mmT4_T5_P12ihipStream_tbEUlRKjE_EESN_SR_SS_mST_SW_bEUlT_E_NS1_11comp_targetILNS1_3genE3ELNS1_11target_archE908ELNS1_3gpuE7ELNS1_3repE0EEENS1_30default_config_static_selectorELNS0_4arch9wavefront6targetE0EEEvSQ_,@function
_ZN7rocprim17ROCPRIM_400000_NS6detail17trampoline_kernelINS0_14default_configENS1_27lower_bound_config_selectorIjjEEZNS1_14transform_implILb0ES3_S5_N6thrust23THRUST_200600_302600_NS17counting_iteratorIjNS8_11use_defaultESA_SA_EENS8_6detail15normal_iteratorINS8_10device_ptrIjEEEEZNS1_13binary_searchIS3_S5_SG_SB_SG_NS1_21lower_bound_search_opENSC_16wrapped_functionINS0_4lessIvEEbEEEE10hipError_tPvRmT1_T2_T3_mmT4_T5_P12ihipStream_tbEUlRKjE_EESN_SR_SS_mST_SW_bEUlT_E_NS1_11comp_targetILNS1_3genE3ELNS1_11target_archE908ELNS1_3gpuE7ELNS1_3repE0EEENS1_30default_config_static_selectorELNS0_4arch9wavefront6targetE0EEEvSQ_: ; @_ZN7rocprim17ROCPRIM_400000_NS6detail17trampoline_kernelINS0_14default_configENS1_27lower_bound_config_selectorIjjEEZNS1_14transform_implILb0ES3_S5_N6thrust23THRUST_200600_302600_NS17counting_iteratorIjNS8_11use_defaultESA_SA_EENS8_6detail15normal_iteratorINS8_10device_ptrIjEEEEZNS1_13binary_searchIS3_S5_SG_SB_SG_NS1_21lower_bound_search_opENSC_16wrapped_functionINS0_4lessIvEEbEEEE10hipError_tPvRmT1_T2_T3_mmT4_T5_P12ihipStream_tbEUlRKjE_EESN_SR_SS_mST_SW_bEUlT_E_NS1_11comp_targetILNS1_3genE3ELNS1_11target_archE908ELNS1_3gpuE7ELNS1_3repE0EEENS1_30default_config_static_selectorELNS0_4arch9wavefront6targetE0EEEvSQ_
; %bb.0:
	.section	.rodata,"a",@progbits
	.p2align	6, 0x0
	.amdhsa_kernel _ZN7rocprim17ROCPRIM_400000_NS6detail17trampoline_kernelINS0_14default_configENS1_27lower_bound_config_selectorIjjEEZNS1_14transform_implILb0ES3_S5_N6thrust23THRUST_200600_302600_NS17counting_iteratorIjNS8_11use_defaultESA_SA_EENS8_6detail15normal_iteratorINS8_10device_ptrIjEEEEZNS1_13binary_searchIS3_S5_SG_SB_SG_NS1_21lower_bound_search_opENSC_16wrapped_functionINS0_4lessIvEEbEEEE10hipError_tPvRmT1_T2_T3_mmT4_T5_P12ihipStream_tbEUlRKjE_EESN_SR_SS_mST_SW_bEUlT_E_NS1_11comp_targetILNS1_3genE3ELNS1_11target_archE908ELNS1_3gpuE7ELNS1_3repE0EEENS1_30default_config_static_selectorELNS0_4arch9wavefront6targetE0EEEvSQ_
		.amdhsa_group_segment_fixed_size 0
		.amdhsa_private_segment_fixed_size 0
		.amdhsa_kernarg_size 56
		.amdhsa_user_sgpr_count 2
		.amdhsa_user_sgpr_dispatch_ptr 0
		.amdhsa_user_sgpr_queue_ptr 0
		.amdhsa_user_sgpr_kernarg_segment_ptr 1
		.amdhsa_user_sgpr_dispatch_id 0
		.amdhsa_user_sgpr_private_segment_size 0
		.amdhsa_wavefront_size32 1
		.amdhsa_uses_dynamic_stack 0
		.amdhsa_enable_private_segment 0
		.amdhsa_system_sgpr_workgroup_id_x 1
		.amdhsa_system_sgpr_workgroup_id_y 0
		.amdhsa_system_sgpr_workgroup_id_z 0
		.amdhsa_system_sgpr_workgroup_info 0
		.amdhsa_system_vgpr_workitem_id 0
		.amdhsa_next_free_vgpr 1
		.amdhsa_next_free_sgpr 1
		.amdhsa_reserve_vcc 0
		.amdhsa_float_round_mode_32 0
		.amdhsa_float_round_mode_16_64 0
		.amdhsa_float_denorm_mode_32 3
		.amdhsa_float_denorm_mode_16_64 3
		.amdhsa_fp16_overflow 0
		.amdhsa_workgroup_processor_mode 1
		.amdhsa_memory_ordered 1
		.amdhsa_forward_progress 1
		.amdhsa_inst_pref_size 0
		.amdhsa_round_robin_scheduling 0
		.amdhsa_exception_fp_ieee_invalid_op 0
		.amdhsa_exception_fp_denorm_src 0
		.amdhsa_exception_fp_ieee_div_zero 0
		.amdhsa_exception_fp_ieee_overflow 0
		.amdhsa_exception_fp_ieee_underflow 0
		.amdhsa_exception_fp_ieee_inexact 0
		.amdhsa_exception_int_div_zero 0
	.end_amdhsa_kernel
	.section	.text._ZN7rocprim17ROCPRIM_400000_NS6detail17trampoline_kernelINS0_14default_configENS1_27lower_bound_config_selectorIjjEEZNS1_14transform_implILb0ES3_S5_N6thrust23THRUST_200600_302600_NS17counting_iteratorIjNS8_11use_defaultESA_SA_EENS8_6detail15normal_iteratorINS8_10device_ptrIjEEEEZNS1_13binary_searchIS3_S5_SG_SB_SG_NS1_21lower_bound_search_opENSC_16wrapped_functionINS0_4lessIvEEbEEEE10hipError_tPvRmT1_T2_T3_mmT4_T5_P12ihipStream_tbEUlRKjE_EESN_SR_SS_mST_SW_bEUlT_E_NS1_11comp_targetILNS1_3genE3ELNS1_11target_archE908ELNS1_3gpuE7ELNS1_3repE0EEENS1_30default_config_static_selectorELNS0_4arch9wavefront6targetE0EEEvSQ_,"axG",@progbits,_ZN7rocprim17ROCPRIM_400000_NS6detail17trampoline_kernelINS0_14default_configENS1_27lower_bound_config_selectorIjjEEZNS1_14transform_implILb0ES3_S5_N6thrust23THRUST_200600_302600_NS17counting_iteratorIjNS8_11use_defaultESA_SA_EENS8_6detail15normal_iteratorINS8_10device_ptrIjEEEEZNS1_13binary_searchIS3_S5_SG_SB_SG_NS1_21lower_bound_search_opENSC_16wrapped_functionINS0_4lessIvEEbEEEE10hipError_tPvRmT1_T2_T3_mmT4_T5_P12ihipStream_tbEUlRKjE_EESN_SR_SS_mST_SW_bEUlT_E_NS1_11comp_targetILNS1_3genE3ELNS1_11target_archE908ELNS1_3gpuE7ELNS1_3repE0EEENS1_30default_config_static_selectorELNS0_4arch9wavefront6targetE0EEEvSQ_,comdat
.Lfunc_end233:
	.size	_ZN7rocprim17ROCPRIM_400000_NS6detail17trampoline_kernelINS0_14default_configENS1_27lower_bound_config_selectorIjjEEZNS1_14transform_implILb0ES3_S5_N6thrust23THRUST_200600_302600_NS17counting_iteratorIjNS8_11use_defaultESA_SA_EENS8_6detail15normal_iteratorINS8_10device_ptrIjEEEEZNS1_13binary_searchIS3_S5_SG_SB_SG_NS1_21lower_bound_search_opENSC_16wrapped_functionINS0_4lessIvEEbEEEE10hipError_tPvRmT1_T2_T3_mmT4_T5_P12ihipStream_tbEUlRKjE_EESN_SR_SS_mST_SW_bEUlT_E_NS1_11comp_targetILNS1_3genE3ELNS1_11target_archE908ELNS1_3gpuE7ELNS1_3repE0EEENS1_30default_config_static_selectorELNS0_4arch9wavefront6targetE0EEEvSQ_, .Lfunc_end233-_ZN7rocprim17ROCPRIM_400000_NS6detail17trampoline_kernelINS0_14default_configENS1_27lower_bound_config_selectorIjjEEZNS1_14transform_implILb0ES3_S5_N6thrust23THRUST_200600_302600_NS17counting_iteratorIjNS8_11use_defaultESA_SA_EENS8_6detail15normal_iteratorINS8_10device_ptrIjEEEEZNS1_13binary_searchIS3_S5_SG_SB_SG_NS1_21lower_bound_search_opENSC_16wrapped_functionINS0_4lessIvEEbEEEE10hipError_tPvRmT1_T2_T3_mmT4_T5_P12ihipStream_tbEUlRKjE_EESN_SR_SS_mST_SW_bEUlT_E_NS1_11comp_targetILNS1_3genE3ELNS1_11target_archE908ELNS1_3gpuE7ELNS1_3repE0EEENS1_30default_config_static_selectorELNS0_4arch9wavefront6targetE0EEEvSQ_
                                        ; -- End function
	.set _ZN7rocprim17ROCPRIM_400000_NS6detail17trampoline_kernelINS0_14default_configENS1_27lower_bound_config_selectorIjjEEZNS1_14transform_implILb0ES3_S5_N6thrust23THRUST_200600_302600_NS17counting_iteratorIjNS8_11use_defaultESA_SA_EENS8_6detail15normal_iteratorINS8_10device_ptrIjEEEEZNS1_13binary_searchIS3_S5_SG_SB_SG_NS1_21lower_bound_search_opENSC_16wrapped_functionINS0_4lessIvEEbEEEE10hipError_tPvRmT1_T2_T3_mmT4_T5_P12ihipStream_tbEUlRKjE_EESN_SR_SS_mST_SW_bEUlT_E_NS1_11comp_targetILNS1_3genE3ELNS1_11target_archE908ELNS1_3gpuE7ELNS1_3repE0EEENS1_30default_config_static_selectorELNS0_4arch9wavefront6targetE0EEEvSQ_.num_vgpr, 0
	.set _ZN7rocprim17ROCPRIM_400000_NS6detail17trampoline_kernelINS0_14default_configENS1_27lower_bound_config_selectorIjjEEZNS1_14transform_implILb0ES3_S5_N6thrust23THRUST_200600_302600_NS17counting_iteratorIjNS8_11use_defaultESA_SA_EENS8_6detail15normal_iteratorINS8_10device_ptrIjEEEEZNS1_13binary_searchIS3_S5_SG_SB_SG_NS1_21lower_bound_search_opENSC_16wrapped_functionINS0_4lessIvEEbEEEE10hipError_tPvRmT1_T2_T3_mmT4_T5_P12ihipStream_tbEUlRKjE_EESN_SR_SS_mST_SW_bEUlT_E_NS1_11comp_targetILNS1_3genE3ELNS1_11target_archE908ELNS1_3gpuE7ELNS1_3repE0EEENS1_30default_config_static_selectorELNS0_4arch9wavefront6targetE0EEEvSQ_.num_agpr, 0
	.set _ZN7rocprim17ROCPRIM_400000_NS6detail17trampoline_kernelINS0_14default_configENS1_27lower_bound_config_selectorIjjEEZNS1_14transform_implILb0ES3_S5_N6thrust23THRUST_200600_302600_NS17counting_iteratorIjNS8_11use_defaultESA_SA_EENS8_6detail15normal_iteratorINS8_10device_ptrIjEEEEZNS1_13binary_searchIS3_S5_SG_SB_SG_NS1_21lower_bound_search_opENSC_16wrapped_functionINS0_4lessIvEEbEEEE10hipError_tPvRmT1_T2_T3_mmT4_T5_P12ihipStream_tbEUlRKjE_EESN_SR_SS_mST_SW_bEUlT_E_NS1_11comp_targetILNS1_3genE3ELNS1_11target_archE908ELNS1_3gpuE7ELNS1_3repE0EEENS1_30default_config_static_selectorELNS0_4arch9wavefront6targetE0EEEvSQ_.numbered_sgpr, 0
	.set _ZN7rocprim17ROCPRIM_400000_NS6detail17trampoline_kernelINS0_14default_configENS1_27lower_bound_config_selectorIjjEEZNS1_14transform_implILb0ES3_S5_N6thrust23THRUST_200600_302600_NS17counting_iteratorIjNS8_11use_defaultESA_SA_EENS8_6detail15normal_iteratorINS8_10device_ptrIjEEEEZNS1_13binary_searchIS3_S5_SG_SB_SG_NS1_21lower_bound_search_opENSC_16wrapped_functionINS0_4lessIvEEbEEEE10hipError_tPvRmT1_T2_T3_mmT4_T5_P12ihipStream_tbEUlRKjE_EESN_SR_SS_mST_SW_bEUlT_E_NS1_11comp_targetILNS1_3genE3ELNS1_11target_archE908ELNS1_3gpuE7ELNS1_3repE0EEENS1_30default_config_static_selectorELNS0_4arch9wavefront6targetE0EEEvSQ_.num_named_barrier, 0
	.set _ZN7rocprim17ROCPRIM_400000_NS6detail17trampoline_kernelINS0_14default_configENS1_27lower_bound_config_selectorIjjEEZNS1_14transform_implILb0ES3_S5_N6thrust23THRUST_200600_302600_NS17counting_iteratorIjNS8_11use_defaultESA_SA_EENS8_6detail15normal_iteratorINS8_10device_ptrIjEEEEZNS1_13binary_searchIS3_S5_SG_SB_SG_NS1_21lower_bound_search_opENSC_16wrapped_functionINS0_4lessIvEEbEEEE10hipError_tPvRmT1_T2_T3_mmT4_T5_P12ihipStream_tbEUlRKjE_EESN_SR_SS_mST_SW_bEUlT_E_NS1_11comp_targetILNS1_3genE3ELNS1_11target_archE908ELNS1_3gpuE7ELNS1_3repE0EEENS1_30default_config_static_selectorELNS0_4arch9wavefront6targetE0EEEvSQ_.private_seg_size, 0
	.set _ZN7rocprim17ROCPRIM_400000_NS6detail17trampoline_kernelINS0_14default_configENS1_27lower_bound_config_selectorIjjEEZNS1_14transform_implILb0ES3_S5_N6thrust23THRUST_200600_302600_NS17counting_iteratorIjNS8_11use_defaultESA_SA_EENS8_6detail15normal_iteratorINS8_10device_ptrIjEEEEZNS1_13binary_searchIS3_S5_SG_SB_SG_NS1_21lower_bound_search_opENSC_16wrapped_functionINS0_4lessIvEEbEEEE10hipError_tPvRmT1_T2_T3_mmT4_T5_P12ihipStream_tbEUlRKjE_EESN_SR_SS_mST_SW_bEUlT_E_NS1_11comp_targetILNS1_3genE3ELNS1_11target_archE908ELNS1_3gpuE7ELNS1_3repE0EEENS1_30default_config_static_selectorELNS0_4arch9wavefront6targetE0EEEvSQ_.uses_vcc, 0
	.set _ZN7rocprim17ROCPRIM_400000_NS6detail17trampoline_kernelINS0_14default_configENS1_27lower_bound_config_selectorIjjEEZNS1_14transform_implILb0ES3_S5_N6thrust23THRUST_200600_302600_NS17counting_iteratorIjNS8_11use_defaultESA_SA_EENS8_6detail15normal_iteratorINS8_10device_ptrIjEEEEZNS1_13binary_searchIS3_S5_SG_SB_SG_NS1_21lower_bound_search_opENSC_16wrapped_functionINS0_4lessIvEEbEEEE10hipError_tPvRmT1_T2_T3_mmT4_T5_P12ihipStream_tbEUlRKjE_EESN_SR_SS_mST_SW_bEUlT_E_NS1_11comp_targetILNS1_3genE3ELNS1_11target_archE908ELNS1_3gpuE7ELNS1_3repE0EEENS1_30default_config_static_selectorELNS0_4arch9wavefront6targetE0EEEvSQ_.uses_flat_scratch, 0
	.set _ZN7rocprim17ROCPRIM_400000_NS6detail17trampoline_kernelINS0_14default_configENS1_27lower_bound_config_selectorIjjEEZNS1_14transform_implILb0ES3_S5_N6thrust23THRUST_200600_302600_NS17counting_iteratorIjNS8_11use_defaultESA_SA_EENS8_6detail15normal_iteratorINS8_10device_ptrIjEEEEZNS1_13binary_searchIS3_S5_SG_SB_SG_NS1_21lower_bound_search_opENSC_16wrapped_functionINS0_4lessIvEEbEEEE10hipError_tPvRmT1_T2_T3_mmT4_T5_P12ihipStream_tbEUlRKjE_EESN_SR_SS_mST_SW_bEUlT_E_NS1_11comp_targetILNS1_3genE3ELNS1_11target_archE908ELNS1_3gpuE7ELNS1_3repE0EEENS1_30default_config_static_selectorELNS0_4arch9wavefront6targetE0EEEvSQ_.has_dyn_sized_stack, 0
	.set _ZN7rocprim17ROCPRIM_400000_NS6detail17trampoline_kernelINS0_14default_configENS1_27lower_bound_config_selectorIjjEEZNS1_14transform_implILb0ES3_S5_N6thrust23THRUST_200600_302600_NS17counting_iteratorIjNS8_11use_defaultESA_SA_EENS8_6detail15normal_iteratorINS8_10device_ptrIjEEEEZNS1_13binary_searchIS3_S5_SG_SB_SG_NS1_21lower_bound_search_opENSC_16wrapped_functionINS0_4lessIvEEbEEEE10hipError_tPvRmT1_T2_T3_mmT4_T5_P12ihipStream_tbEUlRKjE_EESN_SR_SS_mST_SW_bEUlT_E_NS1_11comp_targetILNS1_3genE3ELNS1_11target_archE908ELNS1_3gpuE7ELNS1_3repE0EEENS1_30default_config_static_selectorELNS0_4arch9wavefront6targetE0EEEvSQ_.has_recursion, 0
	.set _ZN7rocprim17ROCPRIM_400000_NS6detail17trampoline_kernelINS0_14default_configENS1_27lower_bound_config_selectorIjjEEZNS1_14transform_implILb0ES3_S5_N6thrust23THRUST_200600_302600_NS17counting_iteratorIjNS8_11use_defaultESA_SA_EENS8_6detail15normal_iteratorINS8_10device_ptrIjEEEEZNS1_13binary_searchIS3_S5_SG_SB_SG_NS1_21lower_bound_search_opENSC_16wrapped_functionINS0_4lessIvEEbEEEE10hipError_tPvRmT1_T2_T3_mmT4_T5_P12ihipStream_tbEUlRKjE_EESN_SR_SS_mST_SW_bEUlT_E_NS1_11comp_targetILNS1_3genE3ELNS1_11target_archE908ELNS1_3gpuE7ELNS1_3repE0EEENS1_30default_config_static_selectorELNS0_4arch9wavefront6targetE0EEEvSQ_.has_indirect_call, 0
	.section	.AMDGPU.csdata,"",@progbits
; Kernel info:
; codeLenInByte = 0
; TotalNumSgprs: 0
; NumVgprs: 0
; ScratchSize: 0
; MemoryBound: 0
; FloatMode: 240
; IeeeMode: 1
; LDSByteSize: 0 bytes/workgroup (compile time only)
; SGPRBlocks: 0
; VGPRBlocks: 0
; NumSGPRsForWavesPerEU: 1
; NumVGPRsForWavesPerEU: 1
; Occupancy: 16
; WaveLimiterHint : 0
; COMPUTE_PGM_RSRC2:SCRATCH_EN: 0
; COMPUTE_PGM_RSRC2:USER_SGPR: 2
; COMPUTE_PGM_RSRC2:TRAP_HANDLER: 0
; COMPUTE_PGM_RSRC2:TGID_X_EN: 1
; COMPUTE_PGM_RSRC2:TGID_Y_EN: 0
; COMPUTE_PGM_RSRC2:TGID_Z_EN: 0
; COMPUTE_PGM_RSRC2:TIDIG_COMP_CNT: 0
	.section	.text._ZN7rocprim17ROCPRIM_400000_NS6detail17trampoline_kernelINS0_14default_configENS1_27lower_bound_config_selectorIjjEEZNS1_14transform_implILb0ES3_S5_N6thrust23THRUST_200600_302600_NS17counting_iteratorIjNS8_11use_defaultESA_SA_EENS8_6detail15normal_iteratorINS8_10device_ptrIjEEEEZNS1_13binary_searchIS3_S5_SG_SB_SG_NS1_21lower_bound_search_opENSC_16wrapped_functionINS0_4lessIvEEbEEEE10hipError_tPvRmT1_T2_T3_mmT4_T5_P12ihipStream_tbEUlRKjE_EESN_SR_SS_mST_SW_bEUlT_E_NS1_11comp_targetILNS1_3genE2ELNS1_11target_archE906ELNS1_3gpuE6ELNS1_3repE0EEENS1_30default_config_static_selectorELNS0_4arch9wavefront6targetE0EEEvSQ_,"axG",@progbits,_ZN7rocprim17ROCPRIM_400000_NS6detail17trampoline_kernelINS0_14default_configENS1_27lower_bound_config_selectorIjjEEZNS1_14transform_implILb0ES3_S5_N6thrust23THRUST_200600_302600_NS17counting_iteratorIjNS8_11use_defaultESA_SA_EENS8_6detail15normal_iteratorINS8_10device_ptrIjEEEEZNS1_13binary_searchIS3_S5_SG_SB_SG_NS1_21lower_bound_search_opENSC_16wrapped_functionINS0_4lessIvEEbEEEE10hipError_tPvRmT1_T2_T3_mmT4_T5_P12ihipStream_tbEUlRKjE_EESN_SR_SS_mST_SW_bEUlT_E_NS1_11comp_targetILNS1_3genE2ELNS1_11target_archE906ELNS1_3gpuE6ELNS1_3repE0EEENS1_30default_config_static_selectorELNS0_4arch9wavefront6targetE0EEEvSQ_,comdat
	.protected	_ZN7rocprim17ROCPRIM_400000_NS6detail17trampoline_kernelINS0_14default_configENS1_27lower_bound_config_selectorIjjEEZNS1_14transform_implILb0ES3_S5_N6thrust23THRUST_200600_302600_NS17counting_iteratorIjNS8_11use_defaultESA_SA_EENS8_6detail15normal_iteratorINS8_10device_ptrIjEEEEZNS1_13binary_searchIS3_S5_SG_SB_SG_NS1_21lower_bound_search_opENSC_16wrapped_functionINS0_4lessIvEEbEEEE10hipError_tPvRmT1_T2_T3_mmT4_T5_P12ihipStream_tbEUlRKjE_EESN_SR_SS_mST_SW_bEUlT_E_NS1_11comp_targetILNS1_3genE2ELNS1_11target_archE906ELNS1_3gpuE6ELNS1_3repE0EEENS1_30default_config_static_selectorELNS0_4arch9wavefront6targetE0EEEvSQ_ ; -- Begin function _ZN7rocprim17ROCPRIM_400000_NS6detail17trampoline_kernelINS0_14default_configENS1_27lower_bound_config_selectorIjjEEZNS1_14transform_implILb0ES3_S5_N6thrust23THRUST_200600_302600_NS17counting_iteratorIjNS8_11use_defaultESA_SA_EENS8_6detail15normal_iteratorINS8_10device_ptrIjEEEEZNS1_13binary_searchIS3_S5_SG_SB_SG_NS1_21lower_bound_search_opENSC_16wrapped_functionINS0_4lessIvEEbEEEE10hipError_tPvRmT1_T2_T3_mmT4_T5_P12ihipStream_tbEUlRKjE_EESN_SR_SS_mST_SW_bEUlT_E_NS1_11comp_targetILNS1_3genE2ELNS1_11target_archE906ELNS1_3gpuE6ELNS1_3repE0EEENS1_30default_config_static_selectorELNS0_4arch9wavefront6targetE0EEEvSQ_
	.globl	_ZN7rocprim17ROCPRIM_400000_NS6detail17trampoline_kernelINS0_14default_configENS1_27lower_bound_config_selectorIjjEEZNS1_14transform_implILb0ES3_S5_N6thrust23THRUST_200600_302600_NS17counting_iteratorIjNS8_11use_defaultESA_SA_EENS8_6detail15normal_iteratorINS8_10device_ptrIjEEEEZNS1_13binary_searchIS3_S5_SG_SB_SG_NS1_21lower_bound_search_opENSC_16wrapped_functionINS0_4lessIvEEbEEEE10hipError_tPvRmT1_T2_T3_mmT4_T5_P12ihipStream_tbEUlRKjE_EESN_SR_SS_mST_SW_bEUlT_E_NS1_11comp_targetILNS1_3genE2ELNS1_11target_archE906ELNS1_3gpuE6ELNS1_3repE0EEENS1_30default_config_static_selectorELNS0_4arch9wavefront6targetE0EEEvSQ_
	.p2align	8
	.type	_ZN7rocprim17ROCPRIM_400000_NS6detail17trampoline_kernelINS0_14default_configENS1_27lower_bound_config_selectorIjjEEZNS1_14transform_implILb0ES3_S5_N6thrust23THRUST_200600_302600_NS17counting_iteratorIjNS8_11use_defaultESA_SA_EENS8_6detail15normal_iteratorINS8_10device_ptrIjEEEEZNS1_13binary_searchIS3_S5_SG_SB_SG_NS1_21lower_bound_search_opENSC_16wrapped_functionINS0_4lessIvEEbEEEE10hipError_tPvRmT1_T2_T3_mmT4_T5_P12ihipStream_tbEUlRKjE_EESN_SR_SS_mST_SW_bEUlT_E_NS1_11comp_targetILNS1_3genE2ELNS1_11target_archE906ELNS1_3gpuE6ELNS1_3repE0EEENS1_30default_config_static_selectorELNS0_4arch9wavefront6targetE0EEEvSQ_,@function
_ZN7rocprim17ROCPRIM_400000_NS6detail17trampoline_kernelINS0_14default_configENS1_27lower_bound_config_selectorIjjEEZNS1_14transform_implILb0ES3_S5_N6thrust23THRUST_200600_302600_NS17counting_iteratorIjNS8_11use_defaultESA_SA_EENS8_6detail15normal_iteratorINS8_10device_ptrIjEEEEZNS1_13binary_searchIS3_S5_SG_SB_SG_NS1_21lower_bound_search_opENSC_16wrapped_functionINS0_4lessIvEEbEEEE10hipError_tPvRmT1_T2_T3_mmT4_T5_P12ihipStream_tbEUlRKjE_EESN_SR_SS_mST_SW_bEUlT_E_NS1_11comp_targetILNS1_3genE2ELNS1_11target_archE906ELNS1_3gpuE6ELNS1_3repE0EEENS1_30default_config_static_selectorELNS0_4arch9wavefront6targetE0EEEvSQ_: ; @_ZN7rocprim17ROCPRIM_400000_NS6detail17trampoline_kernelINS0_14default_configENS1_27lower_bound_config_selectorIjjEEZNS1_14transform_implILb0ES3_S5_N6thrust23THRUST_200600_302600_NS17counting_iteratorIjNS8_11use_defaultESA_SA_EENS8_6detail15normal_iteratorINS8_10device_ptrIjEEEEZNS1_13binary_searchIS3_S5_SG_SB_SG_NS1_21lower_bound_search_opENSC_16wrapped_functionINS0_4lessIvEEbEEEE10hipError_tPvRmT1_T2_T3_mmT4_T5_P12ihipStream_tbEUlRKjE_EESN_SR_SS_mST_SW_bEUlT_E_NS1_11comp_targetILNS1_3genE2ELNS1_11target_archE906ELNS1_3gpuE6ELNS1_3repE0EEENS1_30default_config_static_selectorELNS0_4arch9wavefront6targetE0EEEvSQ_
; %bb.0:
	.section	.rodata,"a",@progbits
	.p2align	6, 0x0
	.amdhsa_kernel _ZN7rocprim17ROCPRIM_400000_NS6detail17trampoline_kernelINS0_14default_configENS1_27lower_bound_config_selectorIjjEEZNS1_14transform_implILb0ES3_S5_N6thrust23THRUST_200600_302600_NS17counting_iteratorIjNS8_11use_defaultESA_SA_EENS8_6detail15normal_iteratorINS8_10device_ptrIjEEEEZNS1_13binary_searchIS3_S5_SG_SB_SG_NS1_21lower_bound_search_opENSC_16wrapped_functionINS0_4lessIvEEbEEEE10hipError_tPvRmT1_T2_T3_mmT4_T5_P12ihipStream_tbEUlRKjE_EESN_SR_SS_mST_SW_bEUlT_E_NS1_11comp_targetILNS1_3genE2ELNS1_11target_archE906ELNS1_3gpuE6ELNS1_3repE0EEENS1_30default_config_static_selectorELNS0_4arch9wavefront6targetE0EEEvSQ_
		.amdhsa_group_segment_fixed_size 0
		.amdhsa_private_segment_fixed_size 0
		.amdhsa_kernarg_size 56
		.amdhsa_user_sgpr_count 2
		.amdhsa_user_sgpr_dispatch_ptr 0
		.amdhsa_user_sgpr_queue_ptr 0
		.amdhsa_user_sgpr_kernarg_segment_ptr 1
		.amdhsa_user_sgpr_dispatch_id 0
		.amdhsa_user_sgpr_private_segment_size 0
		.amdhsa_wavefront_size32 1
		.amdhsa_uses_dynamic_stack 0
		.amdhsa_enable_private_segment 0
		.amdhsa_system_sgpr_workgroup_id_x 1
		.amdhsa_system_sgpr_workgroup_id_y 0
		.amdhsa_system_sgpr_workgroup_id_z 0
		.amdhsa_system_sgpr_workgroup_info 0
		.amdhsa_system_vgpr_workitem_id 0
		.amdhsa_next_free_vgpr 1
		.amdhsa_next_free_sgpr 1
		.amdhsa_reserve_vcc 0
		.amdhsa_float_round_mode_32 0
		.amdhsa_float_round_mode_16_64 0
		.amdhsa_float_denorm_mode_32 3
		.amdhsa_float_denorm_mode_16_64 3
		.amdhsa_fp16_overflow 0
		.amdhsa_workgroup_processor_mode 1
		.amdhsa_memory_ordered 1
		.amdhsa_forward_progress 1
		.amdhsa_inst_pref_size 0
		.amdhsa_round_robin_scheduling 0
		.amdhsa_exception_fp_ieee_invalid_op 0
		.amdhsa_exception_fp_denorm_src 0
		.amdhsa_exception_fp_ieee_div_zero 0
		.amdhsa_exception_fp_ieee_overflow 0
		.amdhsa_exception_fp_ieee_underflow 0
		.amdhsa_exception_fp_ieee_inexact 0
		.amdhsa_exception_int_div_zero 0
	.end_amdhsa_kernel
	.section	.text._ZN7rocprim17ROCPRIM_400000_NS6detail17trampoline_kernelINS0_14default_configENS1_27lower_bound_config_selectorIjjEEZNS1_14transform_implILb0ES3_S5_N6thrust23THRUST_200600_302600_NS17counting_iteratorIjNS8_11use_defaultESA_SA_EENS8_6detail15normal_iteratorINS8_10device_ptrIjEEEEZNS1_13binary_searchIS3_S5_SG_SB_SG_NS1_21lower_bound_search_opENSC_16wrapped_functionINS0_4lessIvEEbEEEE10hipError_tPvRmT1_T2_T3_mmT4_T5_P12ihipStream_tbEUlRKjE_EESN_SR_SS_mST_SW_bEUlT_E_NS1_11comp_targetILNS1_3genE2ELNS1_11target_archE906ELNS1_3gpuE6ELNS1_3repE0EEENS1_30default_config_static_selectorELNS0_4arch9wavefront6targetE0EEEvSQ_,"axG",@progbits,_ZN7rocprim17ROCPRIM_400000_NS6detail17trampoline_kernelINS0_14default_configENS1_27lower_bound_config_selectorIjjEEZNS1_14transform_implILb0ES3_S5_N6thrust23THRUST_200600_302600_NS17counting_iteratorIjNS8_11use_defaultESA_SA_EENS8_6detail15normal_iteratorINS8_10device_ptrIjEEEEZNS1_13binary_searchIS3_S5_SG_SB_SG_NS1_21lower_bound_search_opENSC_16wrapped_functionINS0_4lessIvEEbEEEE10hipError_tPvRmT1_T2_T3_mmT4_T5_P12ihipStream_tbEUlRKjE_EESN_SR_SS_mST_SW_bEUlT_E_NS1_11comp_targetILNS1_3genE2ELNS1_11target_archE906ELNS1_3gpuE6ELNS1_3repE0EEENS1_30default_config_static_selectorELNS0_4arch9wavefront6targetE0EEEvSQ_,comdat
.Lfunc_end234:
	.size	_ZN7rocprim17ROCPRIM_400000_NS6detail17trampoline_kernelINS0_14default_configENS1_27lower_bound_config_selectorIjjEEZNS1_14transform_implILb0ES3_S5_N6thrust23THRUST_200600_302600_NS17counting_iteratorIjNS8_11use_defaultESA_SA_EENS8_6detail15normal_iteratorINS8_10device_ptrIjEEEEZNS1_13binary_searchIS3_S5_SG_SB_SG_NS1_21lower_bound_search_opENSC_16wrapped_functionINS0_4lessIvEEbEEEE10hipError_tPvRmT1_T2_T3_mmT4_T5_P12ihipStream_tbEUlRKjE_EESN_SR_SS_mST_SW_bEUlT_E_NS1_11comp_targetILNS1_3genE2ELNS1_11target_archE906ELNS1_3gpuE6ELNS1_3repE0EEENS1_30default_config_static_selectorELNS0_4arch9wavefront6targetE0EEEvSQ_, .Lfunc_end234-_ZN7rocprim17ROCPRIM_400000_NS6detail17trampoline_kernelINS0_14default_configENS1_27lower_bound_config_selectorIjjEEZNS1_14transform_implILb0ES3_S5_N6thrust23THRUST_200600_302600_NS17counting_iteratorIjNS8_11use_defaultESA_SA_EENS8_6detail15normal_iteratorINS8_10device_ptrIjEEEEZNS1_13binary_searchIS3_S5_SG_SB_SG_NS1_21lower_bound_search_opENSC_16wrapped_functionINS0_4lessIvEEbEEEE10hipError_tPvRmT1_T2_T3_mmT4_T5_P12ihipStream_tbEUlRKjE_EESN_SR_SS_mST_SW_bEUlT_E_NS1_11comp_targetILNS1_3genE2ELNS1_11target_archE906ELNS1_3gpuE6ELNS1_3repE0EEENS1_30default_config_static_selectorELNS0_4arch9wavefront6targetE0EEEvSQ_
                                        ; -- End function
	.set _ZN7rocprim17ROCPRIM_400000_NS6detail17trampoline_kernelINS0_14default_configENS1_27lower_bound_config_selectorIjjEEZNS1_14transform_implILb0ES3_S5_N6thrust23THRUST_200600_302600_NS17counting_iteratorIjNS8_11use_defaultESA_SA_EENS8_6detail15normal_iteratorINS8_10device_ptrIjEEEEZNS1_13binary_searchIS3_S5_SG_SB_SG_NS1_21lower_bound_search_opENSC_16wrapped_functionINS0_4lessIvEEbEEEE10hipError_tPvRmT1_T2_T3_mmT4_T5_P12ihipStream_tbEUlRKjE_EESN_SR_SS_mST_SW_bEUlT_E_NS1_11comp_targetILNS1_3genE2ELNS1_11target_archE906ELNS1_3gpuE6ELNS1_3repE0EEENS1_30default_config_static_selectorELNS0_4arch9wavefront6targetE0EEEvSQ_.num_vgpr, 0
	.set _ZN7rocprim17ROCPRIM_400000_NS6detail17trampoline_kernelINS0_14default_configENS1_27lower_bound_config_selectorIjjEEZNS1_14transform_implILb0ES3_S5_N6thrust23THRUST_200600_302600_NS17counting_iteratorIjNS8_11use_defaultESA_SA_EENS8_6detail15normal_iteratorINS8_10device_ptrIjEEEEZNS1_13binary_searchIS3_S5_SG_SB_SG_NS1_21lower_bound_search_opENSC_16wrapped_functionINS0_4lessIvEEbEEEE10hipError_tPvRmT1_T2_T3_mmT4_T5_P12ihipStream_tbEUlRKjE_EESN_SR_SS_mST_SW_bEUlT_E_NS1_11comp_targetILNS1_3genE2ELNS1_11target_archE906ELNS1_3gpuE6ELNS1_3repE0EEENS1_30default_config_static_selectorELNS0_4arch9wavefront6targetE0EEEvSQ_.num_agpr, 0
	.set _ZN7rocprim17ROCPRIM_400000_NS6detail17trampoline_kernelINS0_14default_configENS1_27lower_bound_config_selectorIjjEEZNS1_14transform_implILb0ES3_S5_N6thrust23THRUST_200600_302600_NS17counting_iteratorIjNS8_11use_defaultESA_SA_EENS8_6detail15normal_iteratorINS8_10device_ptrIjEEEEZNS1_13binary_searchIS3_S5_SG_SB_SG_NS1_21lower_bound_search_opENSC_16wrapped_functionINS0_4lessIvEEbEEEE10hipError_tPvRmT1_T2_T3_mmT4_T5_P12ihipStream_tbEUlRKjE_EESN_SR_SS_mST_SW_bEUlT_E_NS1_11comp_targetILNS1_3genE2ELNS1_11target_archE906ELNS1_3gpuE6ELNS1_3repE0EEENS1_30default_config_static_selectorELNS0_4arch9wavefront6targetE0EEEvSQ_.numbered_sgpr, 0
	.set _ZN7rocprim17ROCPRIM_400000_NS6detail17trampoline_kernelINS0_14default_configENS1_27lower_bound_config_selectorIjjEEZNS1_14transform_implILb0ES3_S5_N6thrust23THRUST_200600_302600_NS17counting_iteratorIjNS8_11use_defaultESA_SA_EENS8_6detail15normal_iteratorINS8_10device_ptrIjEEEEZNS1_13binary_searchIS3_S5_SG_SB_SG_NS1_21lower_bound_search_opENSC_16wrapped_functionINS0_4lessIvEEbEEEE10hipError_tPvRmT1_T2_T3_mmT4_T5_P12ihipStream_tbEUlRKjE_EESN_SR_SS_mST_SW_bEUlT_E_NS1_11comp_targetILNS1_3genE2ELNS1_11target_archE906ELNS1_3gpuE6ELNS1_3repE0EEENS1_30default_config_static_selectorELNS0_4arch9wavefront6targetE0EEEvSQ_.num_named_barrier, 0
	.set _ZN7rocprim17ROCPRIM_400000_NS6detail17trampoline_kernelINS0_14default_configENS1_27lower_bound_config_selectorIjjEEZNS1_14transform_implILb0ES3_S5_N6thrust23THRUST_200600_302600_NS17counting_iteratorIjNS8_11use_defaultESA_SA_EENS8_6detail15normal_iteratorINS8_10device_ptrIjEEEEZNS1_13binary_searchIS3_S5_SG_SB_SG_NS1_21lower_bound_search_opENSC_16wrapped_functionINS0_4lessIvEEbEEEE10hipError_tPvRmT1_T2_T3_mmT4_T5_P12ihipStream_tbEUlRKjE_EESN_SR_SS_mST_SW_bEUlT_E_NS1_11comp_targetILNS1_3genE2ELNS1_11target_archE906ELNS1_3gpuE6ELNS1_3repE0EEENS1_30default_config_static_selectorELNS0_4arch9wavefront6targetE0EEEvSQ_.private_seg_size, 0
	.set _ZN7rocprim17ROCPRIM_400000_NS6detail17trampoline_kernelINS0_14default_configENS1_27lower_bound_config_selectorIjjEEZNS1_14transform_implILb0ES3_S5_N6thrust23THRUST_200600_302600_NS17counting_iteratorIjNS8_11use_defaultESA_SA_EENS8_6detail15normal_iteratorINS8_10device_ptrIjEEEEZNS1_13binary_searchIS3_S5_SG_SB_SG_NS1_21lower_bound_search_opENSC_16wrapped_functionINS0_4lessIvEEbEEEE10hipError_tPvRmT1_T2_T3_mmT4_T5_P12ihipStream_tbEUlRKjE_EESN_SR_SS_mST_SW_bEUlT_E_NS1_11comp_targetILNS1_3genE2ELNS1_11target_archE906ELNS1_3gpuE6ELNS1_3repE0EEENS1_30default_config_static_selectorELNS0_4arch9wavefront6targetE0EEEvSQ_.uses_vcc, 0
	.set _ZN7rocprim17ROCPRIM_400000_NS6detail17trampoline_kernelINS0_14default_configENS1_27lower_bound_config_selectorIjjEEZNS1_14transform_implILb0ES3_S5_N6thrust23THRUST_200600_302600_NS17counting_iteratorIjNS8_11use_defaultESA_SA_EENS8_6detail15normal_iteratorINS8_10device_ptrIjEEEEZNS1_13binary_searchIS3_S5_SG_SB_SG_NS1_21lower_bound_search_opENSC_16wrapped_functionINS0_4lessIvEEbEEEE10hipError_tPvRmT1_T2_T3_mmT4_T5_P12ihipStream_tbEUlRKjE_EESN_SR_SS_mST_SW_bEUlT_E_NS1_11comp_targetILNS1_3genE2ELNS1_11target_archE906ELNS1_3gpuE6ELNS1_3repE0EEENS1_30default_config_static_selectorELNS0_4arch9wavefront6targetE0EEEvSQ_.uses_flat_scratch, 0
	.set _ZN7rocprim17ROCPRIM_400000_NS6detail17trampoline_kernelINS0_14default_configENS1_27lower_bound_config_selectorIjjEEZNS1_14transform_implILb0ES3_S5_N6thrust23THRUST_200600_302600_NS17counting_iteratorIjNS8_11use_defaultESA_SA_EENS8_6detail15normal_iteratorINS8_10device_ptrIjEEEEZNS1_13binary_searchIS3_S5_SG_SB_SG_NS1_21lower_bound_search_opENSC_16wrapped_functionINS0_4lessIvEEbEEEE10hipError_tPvRmT1_T2_T3_mmT4_T5_P12ihipStream_tbEUlRKjE_EESN_SR_SS_mST_SW_bEUlT_E_NS1_11comp_targetILNS1_3genE2ELNS1_11target_archE906ELNS1_3gpuE6ELNS1_3repE0EEENS1_30default_config_static_selectorELNS0_4arch9wavefront6targetE0EEEvSQ_.has_dyn_sized_stack, 0
	.set _ZN7rocprim17ROCPRIM_400000_NS6detail17trampoline_kernelINS0_14default_configENS1_27lower_bound_config_selectorIjjEEZNS1_14transform_implILb0ES3_S5_N6thrust23THRUST_200600_302600_NS17counting_iteratorIjNS8_11use_defaultESA_SA_EENS8_6detail15normal_iteratorINS8_10device_ptrIjEEEEZNS1_13binary_searchIS3_S5_SG_SB_SG_NS1_21lower_bound_search_opENSC_16wrapped_functionINS0_4lessIvEEbEEEE10hipError_tPvRmT1_T2_T3_mmT4_T5_P12ihipStream_tbEUlRKjE_EESN_SR_SS_mST_SW_bEUlT_E_NS1_11comp_targetILNS1_3genE2ELNS1_11target_archE906ELNS1_3gpuE6ELNS1_3repE0EEENS1_30default_config_static_selectorELNS0_4arch9wavefront6targetE0EEEvSQ_.has_recursion, 0
	.set _ZN7rocprim17ROCPRIM_400000_NS6detail17trampoline_kernelINS0_14default_configENS1_27lower_bound_config_selectorIjjEEZNS1_14transform_implILb0ES3_S5_N6thrust23THRUST_200600_302600_NS17counting_iteratorIjNS8_11use_defaultESA_SA_EENS8_6detail15normal_iteratorINS8_10device_ptrIjEEEEZNS1_13binary_searchIS3_S5_SG_SB_SG_NS1_21lower_bound_search_opENSC_16wrapped_functionINS0_4lessIvEEbEEEE10hipError_tPvRmT1_T2_T3_mmT4_T5_P12ihipStream_tbEUlRKjE_EESN_SR_SS_mST_SW_bEUlT_E_NS1_11comp_targetILNS1_3genE2ELNS1_11target_archE906ELNS1_3gpuE6ELNS1_3repE0EEENS1_30default_config_static_selectorELNS0_4arch9wavefront6targetE0EEEvSQ_.has_indirect_call, 0
	.section	.AMDGPU.csdata,"",@progbits
; Kernel info:
; codeLenInByte = 0
; TotalNumSgprs: 0
; NumVgprs: 0
; ScratchSize: 0
; MemoryBound: 0
; FloatMode: 240
; IeeeMode: 1
; LDSByteSize: 0 bytes/workgroup (compile time only)
; SGPRBlocks: 0
; VGPRBlocks: 0
; NumSGPRsForWavesPerEU: 1
; NumVGPRsForWavesPerEU: 1
; Occupancy: 16
; WaveLimiterHint : 0
; COMPUTE_PGM_RSRC2:SCRATCH_EN: 0
; COMPUTE_PGM_RSRC2:USER_SGPR: 2
; COMPUTE_PGM_RSRC2:TRAP_HANDLER: 0
; COMPUTE_PGM_RSRC2:TGID_X_EN: 1
; COMPUTE_PGM_RSRC2:TGID_Y_EN: 0
; COMPUTE_PGM_RSRC2:TGID_Z_EN: 0
; COMPUTE_PGM_RSRC2:TIDIG_COMP_CNT: 0
	.section	.text._ZN7rocprim17ROCPRIM_400000_NS6detail17trampoline_kernelINS0_14default_configENS1_27lower_bound_config_selectorIjjEEZNS1_14transform_implILb0ES3_S5_N6thrust23THRUST_200600_302600_NS17counting_iteratorIjNS8_11use_defaultESA_SA_EENS8_6detail15normal_iteratorINS8_10device_ptrIjEEEEZNS1_13binary_searchIS3_S5_SG_SB_SG_NS1_21lower_bound_search_opENSC_16wrapped_functionINS0_4lessIvEEbEEEE10hipError_tPvRmT1_T2_T3_mmT4_T5_P12ihipStream_tbEUlRKjE_EESN_SR_SS_mST_SW_bEUlT_E_NS1_11comp_targetILNS1_3genE10ELNS1_11target_archE1201ELNS1_3gpuE5ELNS1_3repE0EEENS1_30default_config_static_selectorELNS0_4arch9wavefront6targetE0EEEvSQ_,"axG",@progbits,_ZN7rocprim17ROCPRIM_400000_NS6detail17trampoline_kernelINS0_14default_configENS1_27lower_bound_config_selectorIjjEEZNS1_14transform_implILb0ES3_S5_N6thrust23THRUST_200600_302600_NS17counting_iteratorIjNS8_11use_defaultESA_SA_EENS8_6detail15normal_iteratorINS8_10device_ptrIjEEEEZNS1_13binary_searchIS3_S5_SG_SB_SG_NS1_21lower_bound_search_opENSC_16wrapped_functionINS0_4lessIvEEbEEEE10hipError_tPvRmT1_T2_T3_mmT4_T5_P12ihipStream_tbEUlRKjE_EESN_SR_SS_mST_SW_bEUlT_E_NS1_11comp_targetILNS1_3genE10ELNS1_11target_archE1201ELNS1_3gpuE5ELNS1_3repE0EEENS1_30default_config_static_selectorELNS0_4arch9wavefront6targetE0EEEvSQ_,comdat
	.protected	_ZN7rocprim17ROCPRIM_400000_NS6detail17trampoline_kernelINS0_14default_configENS1_27lower_bound_config_selectorIjjEEZNS1_14transform_implILb0ES3_S5_N6thrust23THRUST_200600_302600_NS17counting_iteratorIjNS8_11use_defaultESA_SA_EENS8_6detail15normal_iteratorINS8_10device_ptrIjEEEEZNS1_13binary_searchIS3_S5_SG_SB_SG_NS1_21lower_bound_search_opENSC_16wrapped_functionINS0_4lessIvEEbEEEE10hipError_tPvRmT1_T2_T3_mmT4_T5_P12ihipStream_tbEUlRKjE_EESN_SR_SS_mST_SW_bEUlT_E_NS1_11comp_targetILNS1_3genE10ELNS1_11target_archE1201ELNS1_3gpuE5ELNS1_3repE0EEENS1_30default_config_static_selectorELNS0_4arch9wavefront6targetE0EEEvSQ_ ; -- Begin function _ZN7rocprim17ROCPRIM_400000_NS6detail17trampoline_kernelINS0_14default_configENS1_27lower_bound_config_selectorIjjEEZNS1_14transform_implILb0ES3_S5_N6thrust23THRUST_200600_302600_NS17counting_iteratorIjNS8_11use_defaultESA_SA_EENS8_6detail15normal_iteratorINS8_10device_ptrIjEEEEZNS1_13binary_searchIS3_S5_SG_SB_SG_NS1_21lower_bound_search_opENSC_16wrapped_functionINS0_4lessIvEEbEEEE10hipError_tPvRmT1_T2_T3_mmT4_T5_P12ihipStream_tbEUlRKjE_EESN_SR_SS_mST_SW_bEUlT_E_NS1_11comp_targetILNS1_3genE10ELNS1_11target_archE1201ELNS1_3gpuE5ELNS1_3repE0EEENS1_30default_config_static_selectorELNS0_4arch9wavefront6targetE0EEEvSQ_
	.globl	_ZN7rocprim17ROCPRIM_400000_NS6detail17trampoline_kernelINS0_14default_configENS1_27lower_bound_config_selectorIjjEEZNS1_14transform_implILb0ES3_S5_N6thrust23THRUST_200600_302600_NS17counting_iteratorIjNS8_11use_defaultESA_SA_EENS8_6detail15normal_iteratorINS8_10device_ptrIjEEEEZNS1_13binary_searchIS3_S5_SG_SB_SG_NS1_21lower_bound_search_opENSC_16wrapped_functionINS0_4lessIvEEbEEEE10hipError_tPvRmT1_T2_T3_mmT4_T5_P12ihipStream_tbEUlRKjE_EESN_SR_SS_mST_SW_bEUlT_E_NS1_11comp_targetILNS1_3genE10ELNS1_11target_archE1201ELNS1_3gpuE5ELNS1_3repE0EEENS1_30default_config_static_selectorELNS0_4arch9wavefront6targetE0EEEvSQ_
	.p2align	8
	.type	_ZN7rocprim17ROCPRIM_400000_NS6detail17trampoline_kernelINS0_14default_configENS1_27lower_bound_config_selectorIjjEEZNS1_14transform_implILb0ES3_S5_N6thrust23THRUST_200600_302600_NS17counting_iteratorIjNS8_11use_defaultESA_SA_EENS8_6detail15normal_iteratorINS8_10device_ptrIjEEEEZNS1_13binary_searchIS3_S5_SG_SB_SG_NS1_21lower_bound_search_opENSC_16wrapped_functionINS0_4lessIvEEbEEEE10hipError_tPvRmT1_T2_T3_mmT4_T5_P12ihipStream_tbEUlRKjE_EESN_SR_SS_mST_SW_bEUlT_E_NS1_11comp_targetILNS1_3genE10ELNS1_11target_archE1201ELNS1_3gpuE5ELNS1_3repE0EEENS1_30default_config_static_selectorELNS0_4arch9wavefront6targetE0EEEvSQ_,@function
_ZN7rocprim17ROCPRIM_400000_NS6detail17trampoline_kernelINS0_14default_configENS1_27lower_bound_config_selectorIjjEEZNS1_14transform_implILb0ES3_S5_N6thrust23THRUST_200600_302600_NS17counting_iteratorIjNS8_11use_defaultESA_SA_EENS8_6detail15normal_iteratorINS8_10device_ptrIjEEEEZNS1_13binary_searchIS3_S5_SG_SB_SG_NS1_21lower_bound_search_opENSC_16wrapped_functionINS0_4lessIvEEbEEEE10hipError_tPvRmT1_T2_T3_mmT4_T5_P12ihipStream_tbEUlRKjE_EESN_SR_SS_mST_SW_bEUlT_E_NS1_11comp_targetILNS1_3genE10ELNS1_11target_archE1201ELNS1_3gpuE5ELNS1_3repE0EEENS1_30default_config_static_selectorELNS0_4arch9wavefront6targetE0EEEvSQ_: ; @_ZN7rocprim17ROCPRIM_400000_NS6detail17trampoline_kernelINS0_14default_configENS1_27lower_bound_config_selectorIjjEEZNS1_14transform_implILb0ES3_S5_N6thrust23THRUST_200600_302600_NS17counting_iteratorIjNS8_11use_defaultESA_SA_EENS8_6detail15normal_iteratorINS8_10device_ptrIjEEEEZNS1_13binary_searchIS3_S5_SG_SB_SG_NS1_21lower_bound_search_opENSC_16wrapped_functionINS0_4lessIvEEbEEEE10hipError_tPvRmT1_T2_T3_mmT4_T5_P12ihipStream_tbEUlRKjE_EESN_SR_SS_mST_SW_bEUlT_E_NS1_11comp_targetILNS1_3genE10ELNS1_11target_archE1201ELNS1_3gpuE5ELNS1_3repE0EEENS1_30default_config_static_selectorELNS0_4arch9wavefront6targetE0EEEvSQ_
; %bb.0:
	s_clause 0x4
	s_load_b32 s13, s[0:1], 0x0
	s_load_b64 s[2:3], s[0:1], 0x8
	s_load_b32 s12, s[0:1], 0x38
	s_load_b128 s[4:7], s[0:1], 0x18
	s_load_b64 s[10:11], s[0:1], 0x28
	s_mov_b32 s9, 0
	s_lshl_b32 s8, ttmp9, 7
	s_mov_b32 s14, -1
                                        ; implicit-def: $vgpr1
	s_wait_kmcnt 0x0
	s_add_co_i32 s13, s13, s2
	s_add_co_i32 s12, s12, -1
	s_delay_alu instid0(SALU_CYCLE_1)
	s_cmp_lg_u32 ttmp9, s12
	s_mov_b32 s12, s9
	s_cbranch_scc1 .LBB235_4
; %bb.1:
	s_and_not1_b32 vcc_lo, exec_lo, s14
	s_cbranch_vccz .LBB235_10
.LBB235_2:
	s_wait_alu 0xfffe
	s_and_saveexec_b32 s0, s12
	s_cbranch_execnz .LBB235_18
.LBB235_3:
	s_endpgm
.LBB235_4:
	s_cmp_eq_u64 s[10:11], 0
	s_cbranch_scc1 .LBB235_8
; %bb.5:
	v_mov_b32_e32 v1, 0
	v_dual_mov_b32 v2, 0 :: v_dual_mov_b32 v3, s10
	v_add3_u32 v5, s13, s8, v0
	v_mov_b32_e32 v4, s11
	s_mov_b32 s12, 0
.LBB235_6:                              ; =>This Inner Loop Header: Depth=1
	s_delay_alu instid0(VALU_DEP_3) | instskip(SKIP_1) | instid1(VALU_DEP_2)
	v_sub_co_u32 v6, vcc_lo, v3, v1
	s_wait_alu 0xfffd
	v_sub_co_ci_u32_e64 v7, null, v4, v2, vcc_lo
	s_delay_alu instid0(VALU_DEP_1) | instskip(SKIP_1) | instid1(VALU_DEP_2)
	v_lshrrev_b64 v[8:9], 1, v[6:7]
	v_lshrrev_b64 v[6:7], 6, v[6:7]
	v_add_co_u32 v8, vcc_lo, v8, v1
	s_wait_alu 0xfffd
	s_delay_alu instid0(VALU_DEP_3) | instskip(NEXT) | instid1(VALU_DEP_2)
	v_add_co_ci_u32_e64 v9, null, v9, v2, vcc_lo
	v_add_co_u32 v6, vcc_lo, v8, v6
	s_wait_alu 0xfffd
	s_delay_alu instid0(VALU_DEP_2) | instskip(NEXT) | instid1(VALU_DEP_1)
	v_add_co_ci_u32_e64 v7, null, v9, v7, vcc_lo
	v_lshlrev_b64_e32 v[8:9], 2, v[6:7]
	s_delay_alu instid0(VALU_DEP_1) | instskip(SKIP_1) | instid1(VALU_DEP_2)
	v_add_co_u32 v8, vcc_lo, s6, v8
	s_wait_alu 0xfffd
	v_add_co_ci_u32_e64 v9, null, s7, v9, vcc_lo
	global_load_b32 v8, v[8:9], off
	v_add_co_u32 v9, vcc_lo, v6, 1
	s_wait_alu 0xfffd
	v_add_co_ci_u32_e64 v10, null, 0, v7, vcc_lo
	s_wait_loadcnt 0x0
	v_cmp_lt_u32_e32 vcc_lo, v8, v5
	s_wait_alu 0xfffd
	v_dual_cndmask_b32 v4, v7, v4 :: v_dual_cndmask_b32 v3, v6, v3
	v_dual_cndmask_b32 v2, v2, v10 :: v_dual_cndmask_b32 v1, v1, v9
	s_delay_alu instid0(VALU_DEP_1)
	v_cmp_ge_u64_e32 vcc_lo, v[1:2], v[3:4]
	s_wait_alu 0xfffe
	s_or_b32 s12, vcc_lo, s12
	s_wait_alu 0xfffe
	s_and_not1_b32 exec_lo, exec_lo, s12
	s_cbranch_execnz .LBB235_6
; %bb.7:
	s_or_b32 exec_lo, exec_lo, s12
	s_branch .LBB235_9
.LBB235_8:
	v_mov_b32_e32 v1, 0
.LBB235_9:
	s_mov_b32 s12, -1
	s_cbranch_execnz .LBB235_2
.LBB235_10:
	s_load_b32 s0, s[0:1], 0x10
                                        ; implicit-def: $vgpr1
	s_wait_kmcnt 0x0
	s_sub_co_i32 s0, s0, s8
	s_delay_alu instid0(SALU_CYCLE_1)
	v_cmp_gt_u32_e32 vcc_lo, s0, v0
	s_and_saveexec_b32 s0, vcc_lo
	s_cbranch_execz .LBB235_17
; %bb.11:
	s_cmp_eq_u64 s[10:11], 0
	s_cbranch_scc1 .LBB235_15
; %bb.12:
	v_mov_b32_e32 v1, 0
	v_dual_mov_b32 v2, 0 :: v_dual_mov_b32 v3, s10
	v_add3_u32 v5, s13, s8, v0
	v_mov_b32_e32 v4, s11
	s_mov_b32 s1, 0
.LBB235_13:                             ; =>This Inner Loop Header: Depth=1
	s_delay_alu instid0(VALU_DEP_3) | instskip(SKIP_1) | instid1(VALU_DEP_2)
	v_sub_co_u32 v6, vcc_lo, v3, v1
	s_wait_alu 0xfffd
	v_sub_co_ci_u32_e64 v7, null, v4, v2, vcc_lo
	s_delay_alu instid0(VALU_DEP_1) | instskip(SKIP_1) | instid1(VALU_DEP_2)
	v_lshrrev_b64 v[8:9], 1, v[6:7]
	v_lshrrev_b64 v[6:7], 6, v[6:7]
	v_add_co_u32 v8, vcc_lo, v8, v1
	s_wait_alu 0xfffd
	s_delay_alu instid0(VALU_DEP_3) | instskip(NEXT) | instid1(VALU_DEP_2)
	v_add_co_ci_u32_e64 v9, null, v9, v2, vcc_lo
	v_add_co_u32 v6, vcc_lo, v8, v6
	s_wait_alu 0xfffd
	s_delay_alu instid0(VALU_DEP_2) | instskip(NEXT) | instid1(VALU_DEP_1)
	v_add_co_ci_u32_e64 v7, null, v9, v7, vcc_lo
	v_lshlrev_b64_e32 v[8:9], 2, v[6:7]
	s_delay_alu instid0(VALU_DEP_1) | instskip(SKIP_1) | instid1(VALU_DEP_2)
	v_add_co_u32 v8, vcc_lo, s6, v8
	s_wait_alu 0xfffd
	v_add_co_ci_u32_e64 v9, null, s7, v9, vcc_lo
	global_load_b32 v8, v[8:9], off
	v_add_co_u32 v9, vcc_lo, v6, 1
	s_wait_alu 0xfffd
	v_add_co_ci_u32_e64 v10, null, 0, v7, vcc_lo
	s_wait_loadcnt 0x0
	v_cmp_gt_u32_e32 vcc_lo, v5, v8
	s_wait_alu 0xfffd
	v_dual_cndmask_b32 v4, v7, v4 :: v_dual_cndmask_b32 v3, v6, v3
	v_dual_cndmask_b32 v2, v2, v10 :: v_dual_cndmask_b32 v1, v1, v9
	s_delay_alu instid0(VALU_DEP_1)
	v_cmp_ge_u64_e32 vcc_lo, v[1:2], v[3:4]
	s_wait_alu 0xfffe
	s_or_b32 s1, vcc_lo, s1
	s_wait_alu 0xfffe
	s_and_not1_b32 exec_lo, exec_lo, s1
	s_cbranch_execnz .LBB235_13
; %bb.14:
	s_or_b32 exec_lo, exec_lo, s1
	s_branch .LBB235_16
.LBB235_15:
	v_mov_b32_e32 v1, 0
.LBB235_16:
	s_or_b32 s12, s12, exec_lo
.LBB235_17:
	s_wait_alu 0xfffe
	s_or_b32 exec_lo, exec_lo, s0
	s_and_saveexec_b32 s0, s12
	s_cbranch_execz .LBB235_3
.LBB235_18:
	s_lshl_b64 s[0:1], s[2:3], 2
	v_lshlrev_b32_e32 v0, 2, v0
	s_lshl_b64 s[2:3], s[8:9], 2
	s_wait_alu 0xfffe
	s_add_nc_u64 s[0:1], s[4:5], s[0:1]
	s_wait_alu 0xfffe
	s_add_nc_u64 s[0:1], s[0:1], s[2:3]
	s_wait_alu 0xfffe
	v_add_co_u32 v2, s0, s0, v0
	s_wait_alu 0xf1ff
	v_add_co_ci_u32_e64 v3, null, s1, 0, s0
	flat_store_b32 v[2:3], v1
	s_endpgm
	.section	.rodata,"a",@progbits
	.p2align	6, 0x0
	.amdhsa_kernel _ZN7rocprim17ROCPRIM_400000_NS6detail17trampoline_kernelINS0_14default_configENS1_27lower_bound_config_selectorIjjEEZNS1_14transform_implILb0ES3_S5_N6thrust23THRUST_200600_302600_NS17counting_iteratorIjNS8_11use_defaultESA_SA_EENS8_6detail15normal_iteratorINS8_10device_ptrIjEEEEZNS1_13binary_searchIS3_S5_SG_SB_SG_NS1_21lower_bound_search_opENSC_16wrapped_functionINS0_4lessIvEEbEEEE10hipError_tPvRmT1_T2_T3_mmT4_T5_P12ihipStream_tbEUlRKjE_EESN_SR_SS_mST_SW_bEUlT_E_NS1_11comp_targetILNS1_3genE10ELNS1_11target_archE1201ELNS1_3gpuE5ELNS1_3repE0EEENS1_30default_config_static_selectorELNS0_4arch9wavefront6targetE0EEEvSQ_
		.amdhsa_group_segment_fixed_size 0
		.amdhsa_private_segment_fixed_size 0
		.amdhsa_kernarg_size 312
		.amdhsa_user_sgpr_count 2
		.amdhsa_user_sgpr_dispatch_ptr 0
		.amdhsa_user_sgpr_queue_ptr 0
		.amdhsa_user_sgpr_kernarg_segment_ptr 1
		.amdhsa_user_sgpr_dispatch_id 0
		.amdhsa_user_sgpr_private_segment_size 0
		.amdhsa_wavefront_size32 1
		.amdhsa_uses_dynamic_stack 0
		.amdhsa_enable_private_segment 0
		.amdhsa_system_sgpr_workgroup_id_x 1
		.amdhsa_system_sgpr_workgroup_id_y 0
		.amdhsa_system_sgpr_workgroup_id_z 0
		.amdhsa_system_sgpr_workgroup_info 0
		.amdhsa_system_vgpr_workitem_id 0
		.amdhsa_next_free_vgpr 11
		.amdhsa_next_free_sgpr 15
		.amdhsa_reserve_vcc 1
		.amdhsa_float_round_mode_32 0
		.amdhsa_float_round_mode_16_64 0
		.amdhsa_float_denorm_mode_32 3
		.amdhsa_float_denorm_mode_16_64 3
		.amdhsa_fp16_overflow 0
		.amdhsa_workgroup_processor_mode 1
		.amdhsa_memory_ordered 1
		.amdhsa_forward_progress 1
		.amdhsa_inst_pref_size 6
		.amdhsa_round_robin_scheduling 0
		.amdhsa_exception_fp_ieee_invalid_op 0
		.amdhsa_exception_fp_denorm_src 0
		.amdhsa_exception_fp_ieee_div_zero 0
		.amdhsa_exception_fp_ieee_overflow 0
		.amdhsa_exception_fp_ieee_underflow 0
		.amdhsa_exception_fp_ieee_inexact 0
		.amdhsa_exception_int_div_zero 0
	.end_amdhsa_kernel
	.section	.text._ZN7rocprim17ROCPRIM_400000_NS6detail17trampoline_kernelINS0_14default_configENS1_27lower_bound_config_selectorIjjEEZNS1_14transform_implILb0ES3_S5_N6thrust23THRUST_200600_302600_NS17counting_iteratorIjNS8_11use_defaultESA_SA_EENS8_6detail15normal_iteratorINS8_10device_ptrIjEEEEZNS1_13binary_searchIS3_S5_SG_SB_SG_NS1_21lower_bound_search_opENSC_16wrapped_functionINS0_4lessIvEEbEEEE10hipError_tPvRmT1_T2_T3_mmT4_T5_P12ihipStream_tbEUlRKjE_EESN_SR_SS_mST_SW_bEUlT_E_NS1_11comp_targetILNS1_3genE10ELNS1_11target_archE1201ELNS1_3gpuE5ELNS1_3repE0EEENS1_30default_config_static_selectorELNS0_4arch9wavefront6targetE0EEEvSQ_,"axG",@progbits,_ZN7rocprim17ROCPRIM_400000_NS6detail17trampoline_kernelINS0_14default_configENS1_27lower_bound_config_selectorIjjEEZNS1_14transform_implILb0ES3_S5_N6thrust23THRUST_200600_302600_NS17counting_iteratorIjNS8_11use_defaultESA_SA_EENS8_6detail15normal_iteratorINS8_10device_ptrIjEEEEZNS1_13binary_searchIS3_S5_SG_SB_SG_NS1_21lower_bound_search_opENSC_16wrapped_functionINS0_4lessIvEEbEEEE10hipError_tPvRmT1_T2_T3_mmT4_T5_P12ihipStream_tbEUlRKjE_EESN_SR_SS_mST_SW_bEUlT_E_NS1_11comp_targetILNS1_3genE10ELNS1_11target_archE1201ELNS1_3gpuE5ELNS1_3repE0EEENS1_30default_config_static_selectorELNS0_4arch9wavefront6targetE0EEEvSQ_,comdat
.Lfunc_end235:
	.size	_ZN7rocprim17ROCPRIM_400000_NS6detail17trampoline_kernelINS0_14default_configENS1_27lower_bound_config_selectorIjjEEZNS1_14transform_implILb0ES3_S5_N6thrust23THRUST_200600_302600_NS17counting_iteratorIjNS8_11use_defaultESA_SA_EENS8_6detail15normal_iteratorINS8_10device_ptrIjEEEEZNS1_13binary_searchIS3_S5_SG_SB_SG_NS1_21lower_bound_search_opENSC_16wrapped_functionINS0_4lessIvEEbEEEE10hipError_tPvRmT1_T2_T3_mmT4_T5_P12ihipStream_tbEUlRKjE_EESN_SR_SS_mST_SW_bEUlT_E_NS1_11comp_targetILNS1_3genE10ELNS1_11target_archE1201ELNS1_3gpuE5ELNS1_3repE0EEENS1_30default_config_static_selectorELNS0_4arch9wavefront6targetE0EEEvSQ_, .Lfunc_end235-_ZN7rocprim17ROCPRIM_400000_NS6detail17trampoline_kernelINS0_14default_configENS1_27lower_bound_config_selectorIjjEEZNS1_14transform_implILb0ES3_S5_N6thrust23THRUST_200600_302600_NS17counting_iteratorIjNS8_11use_defaultESA_SA_EENS8_6detail15normal_iteratorINS8_10device_ptrIjEEEEZNS1_13binary_searchIS3_S5_SG_SB_SG_NS1_21lower_bound_search_opENSC_16wrapped_functionINS0_4lessIvEEbEEEE10hipError_tPvRmT1_T2_T3_mmT4_T5_P12ihipStream_tbEUlRKjE_EESN_SR_SS_mST_SW_bEUlT_E_NS1_11comp_targetILNS1_3genE10ELNS1_11target_archE1201ELNS1_3gpuE5ELNS1_3repE0EEENS1_30default_config_static_selectorELNS0_4arch9wavefront6targetE0EEEvSQ_
                                        ; -- End function
	.set _ZN7rocprim17ROCPRIM_400000_NS6detail17trampoline_kernelINS0_14default_configENS1_27lower_bound_config_selectorIjjEEZNS1_14transform_implILb0ES3_S5_N6thrust23THRUST_200600_302600_NS17counting_iteratorIjNS8_11use_defaultESA_SA_EENS8_6detail15normal_iteratorINS8_10device_ptrIjEEEEZNS1_13binary_searchIS3_S5_SG_SB_SG_NS1_21lower_bound_search_opENSC_16wrapped_functionINS0_4lessIvEEbEEEE10hipError_tPvRmT1_T2_T3_mmT4_T5_P12ihipStream_tbEUlRKjE_EESN_SR_SS_mST_SW_bEUlT_E_NS1_11comp_targetILNS1_3genE10ELNS1_11target_archE1201ELNS1_3gpuE5ELNS1_3repE0EEENS1_30default_config_static_selectorELNS0_4arch9wavefront6targetE0EEEvSQ_.num_vgpr, 11
	.set _ZN7rocprim17ROCPRIM_400000_NS6detail17trampoline_kernelINS0_14default_configENS1_27lower_bound_config_selectorIjjEEZNS1_14transform_implILb0ES3_S5_N6thrust23THRUST_200600_302600_NS17counting_iteratorIjNS8_11use_defaultESA_SA_EENS8_6detail15normal_iteratorINS8_10device_ptrIjEEEEZNS1_13binary_searchIS3_S5_SG_SB_SG_NS1_21lower_bound_search_opENSC_16wrapped_functionINS0_4lessIvEEbEEEE10hipError_tPvRmT1_T2_T3_mmT4_T5_P12ihipStream_tbEUlRKjE_EESN_SR_SS_mST_SW_bEUlT_E_NS1_11comp_targetILNS1_3genE10ELNS1_11target_archE1201ELNS1_3gpuE5ELNS1_3repE0EEENS1_30default_config_static_selectorELNS0_4arch9wavefront6targetE0EEEvSQ_.num_agpr, 0
	.set _ZN7rocprim17ROCPRIM_400000_NS6detail17trampoline_kernelINS0_14default_configENS1_27lower_bound_config_selectorIjjEEZNS1_14transform_implILb0ES3_S5_N6thrust23THRUST_200600_302600_NS17counting_iteratorIjNS8_11use_defaultESA_SA_EENS8_6detail15normal_iteratorINS8_10device_ptrIjEEEEZNS1_13binary_searchIS3_S5_SG_SB_SG_NS1_21lower_bound_search_opENSC_16wrapped_functionINS0_4lessIvEEbEEEE10hipError_tPvRmT1_T2_T3_mmT4_T5_P12ihipStream_tbEUlRKjE_EESN_SR_SS_mST_SW_bEUlT_E_NS1_11comp_targetILNS1_3genE10ELNS1_11target_archE1201ELNS1_3gpuE5ELNS1_3repE0EEENS1_30default_config_static_selectorELNS0_4arch9wavefront6targetE0EEEvSQ_.numbered_sgpr, 15
	.set _ZN7rocprim17ROCPRIM_400000_NS6detail17trampoline_kernelINS0_14default_configENS1_27lower_bound_config_selectorIjjEEZNS1_14transform_implILb0ES3_S5_N6thrust23THRUST_200600_302600_NS17counting_iteratorIjNS8_11use_defaultESA_SA_EENS8_6detail15normal_iteratorINS8_10device_ptrIjEEEEZNS1_13binary_searchIS3_S5_SG_SB_SG_NS1_21lower_bound_search_opENSC_16wrapped_functionINS0_4lessIvEEbEEEE10hipError_tPvRmT1_T2_T3_mmT4_T5_P12ihipStream_tbEUlRKjE_EESN_SR_SS_mST_SW_bEUlT_E_NS1_11comp_targetILNS1_3genE10ELNS1_11target_archE1201ELNS1_3gpuE5ELNS1_3repE0EEENS1_30default_config_static_selectorELNS0_4arch9wavefront6targetE0EEEvSQ_.num_named_barrier, 0
	.set _ZN7rocprim17ROCPRIM_400000_NS6detail17trampoline_kernelINS0_14default_configENS1_27lower_bound_config_selectorIjjEEZNS1_14transform_implILb0ES3_S5_N6thrust23THRUST_200600_302600_NS17counting_iteratorIjNS8_11use_defaultESA_SA_EENS8_6detail15normal_iteratorINS8_10device_ptrIjEEEEZNS1_13binary_searchIS3_S5_SG_SB_SG_NS1_21lower_bound_search_opENSC_16wrapped_functionINS0_4lessIvEEbEEEE10hipError_tPvRmT1_T2_T3_mmT4_T5_P12ihipStream_tbEUlRKjE_EESN_SR_SS_mST_SW_bEUlT_E_NS1_11comp_targetILNS1_3genE10ELNS1_11target_archE1201ELNS1_3gpuE5ELNS1_3repE0EEENS1_30default_config_static_selectorELNS0_4arch9wavefront6targetE0EEEvSQ_.private_seg_size, 0
	.set _ZN7rocprim17ROCPRIM_400000_NS6detail17trampoline_kernelINS0_14default_configENS1_27lower_bound_config_selectorIjjEEZNS1_14transform_implILb0ES3_S5_N6thrust23THRUST_200600_302600_NS17counting_iteratorIjNS8_11use_defaultESA_SA_EENS8_6detail15normal_iteratorINS8_10device_ptrIjEEEEZNS1_13binary_searchIS3_S5_SG_SB_SG_NS1_21lower_bound_search_opENSC_16wrapped_functionINS0_4lessIvEEbEEEE10hipError_tPvRmT1_T2_T3_mmT4_T5_P12ihipStream_tbEUlRKjE_EESN_SR_SS_mST_SW_bEUlT_E_NS1_11comp_targetILNS1_3genE10ELNS1_11target_archE1201ELNS1_3gpuE5ELNS1_3repE0EEENS1_30default_config_static_selectorELNS0_4arch9wavefront6targetE0EEEvSQ_.uses_vcc, 1
	.set _ZN7rocprim17ROCPRIM_400000_NS6detail17trampoline_kernelINS0_14default_configENS1_27lower_bound_config_selectorIjjEEZNS1_14transform_implILb0ES3_S5_N6thrust23THRUST_200600_302600_NS17counting_iteratorIjNS8_11use_defaultESA_SA_EENS8_6detail15normal_iteratorINS8_10device_ptrIjEEEEZNS1_13binary_searchIS3_S5_SG_SB_SG_NS1_21lower_bound_search_opENSC_16wrapped_functionINS0_4lessIvEEbEEEE10hipError_tPvRmT1_T2_T3_mmT4_T5_P12ihipStream_tbEUlRKjE_EESN_SR_SS_mST_SW_bEUlT_E_NS1_11comp_targetILNS1_3genE10ELNS1_11target_archE1201ELNS1_3gpuE5ELNS1_3repE0EEENS1_30default_config_static_selectorELNS0_4arch9wavefront6targetE0EEEvSQ_.uses_flat_scratch, 0
	.set _ZN7rocprim17ROCPRIM_400000_NS6detail17trampoline_kernelINS0_14default_configENS1_27lower_bound_config_selectorIjjEEZNS1_14transform_implILb0ES3_S5_N6thrust23THRUST_200600_302600_NS17counting_iteratorIjNS8_11use_defaultESA_SA_EENS8_6detail15normal_iteratorINS8_10device_ptrIjEEEEZNS1_13binary_searchIS3_S5_SG_SB_SG_NS1_21lower_bound_search_opENSC_16wrapped_functionINS0_4lessIvEEbEEEE10hipError_tPvRmT1_T2_T3_mmT4_T5_P12ihipStream_tbEUlRKjE_EESN_SR_SS_mST_SW_bEUlT_E_NS1_11comp_targetILNS1_3genE10ELNS1_11target_archE1201ELNS1_3gpuE5ELNS1_3repE0EEENS1_30default_config_static_selectorELNS0_4arch9wavefront6targetE0EEEvSQ_.has_dyn_sized_stack, 0
	.set _ZN7rocprim17ROCPRIM_400000_NS6detail17trampoline_kernelINS0_14default_configENS1_27lower_bound_config_selectorIjjEEZNS1_14transform_implILb0ES3_S5_N6thrust23THRUST_200600_302600_NS17counting_iteratorIjNS8_11use_defaultESA_SA_EENS8_6detail15normal_iteratorINS8_10device_ptrIjEEEEZNS1_13binary_searchIS3_S5_SG_SB_SG_NS1_21lower_bound_search_opENSC_16wrapped_functionINS0_4lessIvEEbEEEE10hipError_tPvRmT1_T2_T3_mmT4_T5_P12ihipStream_tbEUlRKjE_EESN_SR_SS_mST_SW_bEUlT_E_NS1_11comp_targetILNS1_3genE10ELNS1_11target_archE1201ELNS1_3gpuE5ELNS1_3repE0EEENS1_30default_config_static_selectorELNS0_4arch9wavefront6targetE0EEEvSQ_.has_recursion, 0
	.set _ZN7rocprim17ROCPRIM_400000_NS6detail17trampoline_kernelINS0_14default_configENS1_27lower_bound_config_selectorIjjEEZNS1_14transform_implILb0ES3_S5_N6thrust23THRUST_200600_302600_NS17counting_iteratorIjNS8_11use_defaultESA_SA_EENS8_6detail15normal_iteratorINS8_10device_ptrIjEEEEZNS1_13binary_searchIS3_S5_SG_SB_SG_NS1_21lower_bound_search_opENSC_16wrapped_functionINS0_4lessIvEEbEEEE10hipError_tPvRmT1_T2_T3_mmT4_T5_P12ihipStream_tbEUlRKjE_EESN_SR_SS_mST_SW_bEUlT_E_NS1_11comp_targetILNS1_3genE10ELNS1_11target_archE1201ELNS1_3gpuE5ELNS1_3repE0EEENS1_30default_config_static_selectorELNS0_4arch9wavefront6targetE0EEEvSQ_.has_indirect_call, 0
	.section	.AMDGPU.csdata,"",@progbits
; Kernel info:
; codeLenInByte = 748
; TotalNumSgprs: 17
; NumVgprs: 11
; ScratchSize: 0
; MemoryBound: 0
; FloatMode: 240
; IeeeMode: 1
; LDSByteSize: 0 bytes/workgroup (compile time only)
; SGPRBlocks: 0
; VGPRBlocks: 1
; NumSGPRsForWavesPerEU: 17
; NumVGPRsForWavesPerEU: 11
; Occupancy: 16
; WaveLimiterHint : 0
; COMPUTE_PGM_RSRC2:SCRATCH_EN: 0
; COMPUTE_PGM_RSRC2:USER_SGPR: 2
; COMPUTE_PGM_RSRC2:TRAP_HANDLER: 0
; COMPUTE_PGM_RSRC2:TGID_X_EN: 1
; COMPUTE_PGM_RSRC2:TGID_Y_EN: 0
; COMPUTE_PGM_RSRC2:TGID_Z_EN: 0
; COMPUTE_PGM_RSRC2:TIDIG_COMP_CNT: 0
	.section	.text._ZN7rocprim17ROCPRIM_400000_NS6detail17trampoline_kernelINS0_14default_configENS1_27lower_bound_config_selectorIjjEEZNS1_14transform_implILb0ES3_S5_N6thrust23THRUST_200600_302600_NS17counting_iteratorIjNS8_11use_defaultESA_SA_EENS8_6detail15normal_iteratorINS8_10device_ptrIjEEEEZNS1_13binary_searchIS3_S5_SG_SB_SG_NS1_21lower_bound_search_opENSC_16wrapped_functionINS0_4lessIvEEbEEEE10hipError_tPvRmT1_T2_T3_mmT4_T5_P12ihipStream_tbEUlRKjE_EESN_SR_SS_mST_SW_bEUlT_E_NS1_11comp_targetILNS1_3genE10ELNS1_11target_archE1200ELNS1_3gpuE4ELNS1_3repE0EEENS1_30default_config_static_selectorELNS0_4arch9wavefront6targetE0EEEvSQ_,"axG",@progbits,_ZN7rocprim17ROCPRIM_400000_NS6detail17trampoline_kernelINS0_14default_configENS1_27lower_bound_config_selectorIjjEEZNS1_14transform_implILb0ES3_S5_N6thrust23THRUST_200600_302600_NS17counting_iteratorIjNS8_11use_defaultESA_SA_EENS8_6detail15normal_iteratorINS8_10device_ptrIjEEEEZNS1_13binary_searchIS3_S5_SG_SB_SG_NS1_21lower_bound_search_opENSC_16wrapped_functionINS0_4lessIvEEbEEEE10hipError_tPvRmT1_T2_T3_mmT4_T5_P12ihipStream_tbEUlRKjE_EESN_SR_SS_mST_SW_bEUlT_E_NS1_11comp_targetILNS1_3genE10ELNS1_11target_archE1200ELNS1_3gpuE4ELNS1_3repE0EEENS1_30default_config_static_selectorELNS0_4arch9wavefront6targetE0EEEvSQ_,comdat
	.protected	_ZN7rocprim17ROCPRIM_400000_NS6detail17trampoline_kernelINS0_14default_configENS1_27lower_bound_config_selectorIjjEEZNS1_14transform_implILb0ES3_S5_N6thrust23THRUST_200600_302600_NS17counting_iteratorIjNS8_11use_defaultESA_SA_EENS8_6detail15normal_iteratorINS8_10device_ptrIjEEEEZNS1_13binary_searchIS3_S5_SG_SB_SG_NS1_21lower_bound_search_opENSC_16wrapped_functionINS0_4lessIvEEbEEEE10hipError_tPvRmT1_T2_T3_mmT4_T5_P12ihipStream_tbEUlRKjE_EESN_SR_SS_mST_SW_bEUlT_E_NS1_11comp_targetILNS1_3genE10ELNS1_11target_archE1200ELNS1_3gpuE4ELNS1_3repE0EEENS1_30default_config_static_selectorELNS0_4arch9wavefront6targetE0EEEvSQ_ ; -- Begin function _ZN7rocprim17ROCPRIM_400000_NS6detail17trampoline_kernelINS0_14default_configENS1_27lower_bound_config_selectorIjjEEZNS1_14transform_implILb0ES3_S5_N6thrust23THRUST_200600_302600_NS17counting_iteratorIjNS8_11use_defaultESA_SA_EENS8_6detail15normal_iteratorINS8_10device_ptrIjEEEEZNS1_13binary_searchIS3_S5_SG_SB_SG_NS1_21lower_bound_search_opENSC_16wrapped_functionINS0_4lessIvEEbEEEE10hipError_tPvRmT1_T2_T3_mmT4_T5_P12ihipStream_tbEUlRKjE_EESN_SR_SS_mST_SW_bEUlT_E_NS1_11comp_targetILNS1_3genE10ELNS1_11target_archE1200ELNS1_3gpuE4ELNS1_3repE0EEENS1_30default_config_static_selectorELNS0_4arch9wavefront6targetE0EEEvSQ_
	.globl	_ZN7rocprim17ROCPRIM_400000_NS6detail17trampoline_kernelINS0_14default_configENS1_27lower_bound_config_selectorIjjEEZNS1_14transform_implILb0ES3_S5_N6thrust23THRUST_200600_302600_NS17counting_iteratorIjNS8_11use_defaultESA_SA_EENS8_6detail15normal_iteratorINS8_10device_ptrIjEEEEZNS1_13binary_searchIS3_S5_SG_SB_SG_NS1_21lower_bound_search_opENSC_16wrapped_functionINS0_4lessIvEEbEEEE10hipError_tPvRmT1_T2_T3_mmT4_T5_P12ihipStream_tbEUlRKjE_EESN_SR_SS_mST_SW_bEUlT_E_NS1_11comp_targetILNS1_3genE10ELNS1_11target_archE1200ELNS1_3gpuE4ELNS1_3repE0EEENS1_30default_config_static_selectorELNS0_4arch9wavefront6targetE0EEEvSQ_
	.p2align	8
	.type	_ZN7rocprim17ROCPRIM_400000_NS6detail17trampoline_kernelINS0_14default_configENS1_27lower_bound_config_selectorIjjEEZNS1_14transform_implILb0ES3_S5_N6thrust23THRUST_200600_302600_NS17counting_iteratorIjNS8_11use_defaultESA_SA_EENS8_6detail15normal_iteratorINS8_10device_ptrIjEEEEZNS1_13binary_searchIS3_S5_SG_SB_SG_NS1_21lower_bound_search_opENSC_16wrapped_functionINS0_4lessIvEEbEEEE10hipError_tPvRmT1_T2_T3_mmT4_T5_P12ihipStream_tbEUlRKjE_EESN_SR_SS_mST_SW_bEUlT_E_NS1_11comp_targetILNS1_3genE10ELNS1_11target_archE1200ELNS1_3gpuE4ELNS1_3repE0EEENS1_30default_config_static_selectorELNS0_4arch9wavefront6targetE0EEEvSQ_,@function
_ZN7rocprim17ROCPRIM_400000_NS6detail17trampoline_kernelINS0_14default_configENS1_27lower_bound_config_selectorIjjEEZNS1_14transform_implILb0ES3_S5_N6thrust23THRUST_200600_302600_NS17counting_iteratorIjNS8_11use_defaultESA_SA_EENS8_6detail15normal_iteratorINS8_10device_ptrIjEEEEZNS1_13binary_searchIS3_S5_SG_SB_SG_NS1_21lower_bound_search_opENSC_16wrapped_functionINS0_4lessIvEEbEEEE10hipError_tPvRmT1_T2_T3_mmT4_T5_P12ihipStream_tbEUlRKjE_EESN_SR_SS_mST_SW_bEUlT_E_NS1_11comp_targetILNS1_3genE10ELNS1_11target_archE1200ELNS1_3gpuE4ELNS1_3repE0EEENS1_30default_config_static_selectorELNS0_4arch9wavefront6targetE0EEEvSQ_: ; @_ZN7rocprim17ROCPRIM_400000_NS6detail17trampoline_kernelINS0_14default_configENS1_27lower_bound_config_selectorIjjEEZNS1_14transform_implILb0ES3_S5_N6thrust23THRUST_200600_302600_NS17counting_iteratorIjNS8_11use_defaultESA_SA_EENS8_6detail15normal_iteratorINS8_10device_ptrIjEEEEZNS1_13binary_searchIS3_S5_SG_SB_SG_NS1_21lower_bound_search_opENSC_16wrapped_functionINS0_4lessIvEEbEEEE10hipError_tPvRmT1_T2_T3_mmT4_T5_P12ihipStream_tbEUlRKjE_EESN_SR_SS_mST_SW_bEUlT_E_NS1_11comp_targetILNS1_3genE10ELNS1_11target_archE1200ELNS1_3gpuE4ELNS1_3repE0EEENS1_30default_config_static_selectorELNS0_4arch9wavefront6targetE0EEEvSQ_
; %bb.0:
	.section	.rodata,"a",@progbits
	.p2align	6, 0x0
	.amdhsa_kernel _ZN7rocprim17ROCPRIM_400000_NS6detail17trampoline_kernelINS0_14default_configENS1_27lower_bound_config_selectorIjjEEZNS1_14transform_implILb0ES3_S5_N6thrust23THRUST_200600_302600_NS17counting_iteratorIjNS8_11use_defaultESA_SA_EENS8_6detail15normal_iteratorINS8_10device_ptrIjEEEEZNS1_13binary_searchIS3_S5_SG_SB_SG_NS1_21lower_bound_search_opENSC_16wrapped_functionINS0_4lessIvEEbEEEE10hipError_tPvRmT1_T2_T3_mmT4_T5_P12ihipStream_tbEUlRKjE_EESN_SR_SS_mST_SW_bEUlT_E_NS1_11comp_targetILNS1_3genE10ELNS1_11target_archE1200ELNS1_3gpuE4ELNS1_3repE0EEENS1_30default_config_static_selectorELNS0_4arch9wavefront6targetE0EEEvSQ_
		.amdhsa_group_segment_fixed_size 0
		.amdhsa_private_segment_fixed_size 0
		.amdhsa_kernarg_size 56
		.amdhsa_user_sgpr_count 2
		.amdhsa_user_sgpr_dispatch_ptr 0
		.amdhsa_user_sgpr_queue_ptr 0
		.amdhsa_user_sgpr_kernarg_segment_ptr 1
		.amdhsa_user_sgpr_dispatch_id 0
		.amdhsa_user_sgpr_private_segment_size 0
		.amdhsa_wavefront_size32 1
		.amdhsa_uses_dynamic_stack 0
		.amdhsa_enable_private_segment 0
		.amdhsa_system_sgpr_workgroup_id_x 1
		.amdhsa_system_sgpr_workgroup_id_y 0
		.amdhsa_system_sgpr_workgroup_id_z 0
		.amdhsa_system_sgpr_workgroup_info 0
		.amdhsa_system_vgpr_workitem_id 0
		.amdhsa_next_free_vgpr 1
		.amdhsa_next_free_sgpr 1
		.amdhsa_reserve_vcc 0
		.amdhsa_float_round_mode_32 0
		.amdhsa_float_round_mode_16_64 0
		.amdhsa_float_denorm_mode_32 3
		.amdhsa_float_denorm_mode_16_64 3
		.amdhsa_fp16_overflow 0
		.amdhsa_workgroup_processor_mode 1
		.amdhsa_memory_ordered 1
		.amdhsa_forward_progress 1
		.amdhsa_inst_pref_size 0
		.amdhsa_round_robin_scheduling 0
		.amdhsa_exception_fp_ieee_invalid_op 0
		.amdhsa_exception_fp_denorm_src 0
		.amdhsa_exception_fp_ieee_div_zero 0
		.amdhsa_exception_fp_ieee_overflow 0
		.amdhsa_exception_fp_ieee_underflow 0
		.amdhsa_exception_fp_ieee_inexact 0
		.amdhsa_exception_int_div_zero 0
	.end_amdhsa_kernel
	.section	.text._ZN7rocprim17ROCPRIM_400000_NS6detail17trampoline_kernelINS0_14default_configENS1_27lower_bound_config_selectorIjjEEZNS1_14transform_implILb0ES3_S5_N6thrust23THRUST_200600_302600_NS17counting_iteratorIjNS8_11use_defaultESA_SA_EENS8_6detail15normal_iteratorINS8_10device_ptrIjEEEEZNS1_13binary_searchIS3_S5_SG_SB_SG_NS1_21lower_bound_search_opENSC_16wrapped_functionINS0_4lessIvEEbEEEE10hipError_tPvRmT1_T2_T3_mmT4_T5_P12ihipStream_tbEUlRKjE_EESN_SR_SS_mST_SW_bEUlT_E_NS1_11comp_targetILNS1_3genE10ELNS1_11target_archE1200ELNS1_3gpuE4ELNS1_3repE0EEENS1_30default_config_static_selectorELNS0_4arch9wavefront6targetE0EEEvSQ_,"axG",@progbits,_ZN7rocprim17ROCPRIM_400000_NS6detail17trampoline_kernelINS0_14default_configENS1_27lower_bound_config_selectorIjjEEZNS1_14transform_implILb0ES3_S5_N6thrust23THRUST_200600_302600_NS17counting_iteratorIjNS8_11use_defaultESA_SA_EENS8_6detail15normal_iteratorINS8_10device_ptrIjEEEEZNS1_13binary_searchIS3_S5_SG_SB_SG_NS1_21lower_bound_search_opENSC_16wrapped_functionINS0_4lessIvEEbEEEE10hipError_tPvRmT1_T2_T3_mmT4_T5_P12ihipStream_tbEUlRKjE_EESN_SR_SS_mST_SW_bEUlT_E_NS1_11comp_targetILNS1_3genE10ELNS1_11target_archE1200ELNS1_3gpuE4ELNS1_3repE0EEENS1_30default_config_static_selectorELNS0_4arch9wavefront6targetE0EEEvSQ_,comdat
.Lfunc_end236:
	.size	_ZN7rocprim17ROCPRIM_400000_NS6detail17trampoline_kernelINS0_14default_configENS1_27lower_bound_config_selectorIjjEEZNS1_14transform_implILb0ES3_S5_N6thrust23THRUST_200600_302600_NS17counting_iteratorIjNS8_11use_defaultESA_SA_EENS8_6detail15normal_iteratorINS8_10device_ptrIjEEEEZNS1_13binary_searchIS3_S5_SG_SB_SG_NS1_21lower_bound_search_opENSC_16wrapped_functionINS0_4lessIvEEbEEEE10hipError_tPvRmT1_T2_T3_mmT4_T5_P12ihipStream_tbEUlRKjE_EESN_SR_SS_mST_SW_bEUlT_E_NS1_11comp_targetILNS1_3genE10ELNS1_11target_archE1200ELNS1_3gpuE4ELNS1_3repE0EEENS1_30default_config_static_selectorELNS0_4arch9wavefront6targetE0EEEvSQ_, .Lfunc_end236-_ZN7rocprim17ROCPRIM_400000_NS6detail17trampoline_kernelINS0_14default_configENS1_27lower_bound_config_selectorIjjEEZNS1_14transform_implILb0ES3_S5_N6thrust23THRUST_200600_302600_NS17counting_iteratorIjNS8_11use_defaultESA_SA_EENS8_6detail15normal_iteratorINS8_10device_ptrIjEEEEZNS1_13binary_searchIS3_S5_SG_SB_SG_NS1_21lower_bound_search_opENSC_16wrapped_functionINS0_4lessIvEEbEEEE10hipError_tPvRmT1_T2_T3_mmT4_T5_P12ihipStream_tbEUlRKjE_EESN_SR_SS_mST_SW_bEUlT_E_NS1_11comp_targetILNS1_3genE10ELNS1_11target_archE1200ELNS1_3gpuE4ELNS1_3repE0EEENS1_30default_config_static_selectorELNS0_4arch9wavefront6targetE0EEEvSQ_
                                        ; -- End function
	.set _ZN7rocprim17ROCPRIM_400000_NS6detail17trampoline_kernelINS0_14default_configENS1_27lower_bound_config_selectorIjjEEZNS1_14transform_implILb0ES3_S5_N6thrust23THRUST_200600_302600_NS17counting_iteratorIjNS8_11use_defaultESA_SA_EENS8_6detail15normal_iteratorINS8_10device_ptrIjEEEEZNS1_13binary_searchIS3_S5_SG_SB_SG_NS1_21lower_bound_search_opENSC_16wrapped_functionINS0_4lessIvEEbEEEE10hipError_tPvRmT1_T2_T3_mmT4_T5_P12ihipStream_tbEUlRKjE_EESN_SR_SS_mST_SW_bEUlT_E_NS1_11comp_targetILNS1_3genE10ELNS1_11target_archE1200ELNS1_3gpuE4ELNS1_3repE0EEENS1_30default_config_static_selectorELNS0_4arch9wavefront6targetE0EEEvSQ_.num_vgpr, 0
	.set _ZN7rocprim17ROCPRIM_400000_NS6detail17trampoline_kernelINS0_14default_configENS1_27lower_bound_config_selectorIjjEEZNS1_14transform_implILb0ES3_S5_N6thrust23THRUST_200600_302600_NS17counting_iteratorIjNS8_11use_defaultESA_SA_EENS8_6detail15normal_iteratorINS8_10device_ptrIjEEEEZNS1_13binary_searchIS3_S5_SG_SB_SG_NS1_21lower_bound_search_opENSC_16wrapped_functionINS0_4lessIvEEbEEEE10hipError_tPvRmT1_T2_T3_mmT4_T5_P12ihipStream_tbEUlRKjE_EESN_SR_SS_mST_SW_bEUlT_E_NS1_11comp_targetILNS1_3genE10ELNS1_11target_archE1200ELNS1_3gpuE4ELNS1_3repE0EEENS1_30default_config_static_selectorELNS0_4arch9wavefront6targetE0EEEvSQ_.num_agpr, 0
	.set _ZN7rocprim17ROCPRIM_400000_NS6detail17trampoline_kernelINS0_14default_configENS1_27lower_bound_config_selectorIjjEEZNS1_14transform_implILb0ES3_S5_N6thrust23THRUST_200600_302600_NS17counting_iteratorIjNS8_11use_defaultESA_SA_EENS8_6detail15normal_iteratorINS8_10device_ptrIjEEEEZNS1_13binary_searchIS3_S5_SG_SB_SG_NS1_21lower_bound_search_opENSC_16wrapped_functionINS0_4lessIvEEbEEEE10hipError_tPvRmT1_T2_T3_mmT4_T5_P12ihipStream_tbEUlRKjE_EESN_SR_SS_mST_SW_bEUlT_E_NS1_11comp_targetILNS1_3genE10ELNS1_11target_archE1200ELNS1_3gpuE4ELNS1_3repE0EEENS1_30default_config_static_selectorELNS0_4arch9wavefront6targetE0EEEvSQ_.numbered_sgpr, 0
	.set _ZN7rocprim17ROCPRIM_400000_NS6detail17trampoline_kernelINS0_14default_configENS1_27lower_bound_config_selectorIjjEEZNS1_14transform_implILb0ES3_S5_N6thrust23THRUST_200600_302600_NS17counting_iteratorIjNS8_11use_defaultESA_SA_EENS8_6detail15normal_iteratorINS8_10device_ptrIjEEEEZNS1_13binary_searchIS3_S5_SG_SB_SG_NS1_21lower_bound_search_opENSC_16wrapped_functionINS0_4lessIvEEbEEEE10hipError_tPvRmT1_T2_T3_mmT4_T5_P12ihipStream_tbEUlRKjE_EESN_SR_SS_mST_SW_bEUlT_E_NS1_11comp_targetILNS1_3genE10ELNS1_11target_archE1200ELNS1_3gpuE4ELNS1_3repE0EEENS1_30default_config_static_selectorELNS0_4arch9wavefront6targetE0EEEvSQ_.num_named_barrier, 0
	.set _ZN7rocprim17ROCPRIM_400000_NS6detail17trampoline_kernelINS0_14default_configENS1_27lower_bound_config_selectorIjjEEZNS1_14transform_implILb0ES3_S5_N6thrust23THRUST_200600_302600_NS17counting_iteratorIjNS8_11use_defaultESA_SA_EENS8_6detail15normal_iteratorINS8_10device_ptrIjEEEEZNS1_13binary_searchIS3_S5_SG_SB_SG_NS1_21lower_bound_search_opENSC_16wrapped_functionINS0_4lessIvEEbEEEE10hipError_tPvRmT1_T2_T3_mmT4_T5_P12ihipStream_tbEUlRKjE_EESN_SR_SS_mST_SW_bEUlT_E_NS1_11comp_targetILNS1_3genE10ELNS1_11target_archE1200ELNS1_3gpuE4ELNS1_3repE0EEENS1_30default_config_static_selectorELNS0_4arch9wavefront6targetE0EEEvSQ_.private_seg_size, 0
	.set _ZN7rocprim17ROCPRIM_400000_NS6detail17trampoline_kernelINS0_14default_configENS1_27lower_bound_config_selectorIjjEEZNS1_14transform_implILb0ES3_S5_N6thrust23THRUST_200600_302600_NS17counting_iteratorIjNS8_11use_defaultESA_SA_EENS8_6detail15normal_iteratorINS8_10device_ptrIjEEEEZNS1_13binary_searchIS3_S5_SG_SB_SG_NS1_21lower_bound_search_opENSC_16wrapped_functionINS0_4lessIvEEbEEEE10hipError_tPvRmT1_T2_T3_mmT4_T5_P12ihipStream_tbEUlRKjE_EESN_SR_SS_mST_SW_bEUlT_E_NS1_11comp_targetILNS1_3genE10ELNS1_11target_archE1200ELNS1_3gpuE4ELNS1_3repE0EEENS1_30default_config_static_selectorELNS0_4arch9wavefront6targetE0EEEvSQ_.uses_vcc, 0
	.set _ZN7rocprim17ROCPRIM_400000_NS6detail17trampoline_kernelINS0_14default_configENS1_27lower_bound_config_selectorIjjEEZNS1_14transform_implILb0ES3_S5_N6thrust23THRUST_200600_302600_NS17counting_iteratorIjNS8_11use_defaultESA_SA_EENS8_6detail15normal_iteratorINS8_10device_ptrIjEEEEZNS1_13binary_searchIS3_S5_SG_SB_SG_NS1_21lower_bound_search_opENSC_16wrapped_functionINS0_4lessIvEEbEEEE10hipError_tPvRmT1_T2_T3_mmT4_T5_P12ihipStream_tbEUlRKjE_EESN_SR_SS_mST_SW_bEUlT_E_NS1_11comp_targetILNS1_3genE10ELNS1_11target_archE1200ELNS1_3gpuE4ELNS1_3repE0EEENS1_30default_config_static_selectorELNS0_4arch9wavefront6targetE0EEEvSQ_.uses_flat_scratch, 0
	.set _ZN7rocprim17ROCPRIM_400000_NS6detail17trampoline_kernelINS0_14default_configENS1_27lower_bound_config_selectorIjjEEZNS1_14transform_implILb0ES3_S5_N6thrust23THRUST_200600_302600_NS17counting_iteratorIjNS8_11use_defaultESA_SA_EENS8_6detail15normal_iteratorINS8_10device_ptrIjEEEEZNS1_13binary_searchIS3_S5_SG_SB_SG_NS1_21lower_bound_search_opENSC_16wrapped_functionINS0_4lessIvEEbEEEE10hipError_tPvRmT1_T2_T3_mmT4_T5_P12ihipStream_tbEUlRKjE_EESN_SR_SS_mST_SW_bEUlT_E_NS1_11comp_targetILNS1_3genE10ELNS1_11target_archE1200ELNS1_3gpuE4ELNS1_3repE0EEENS1_30default_config_static_selectorELNS0_4arch9wavefront6targetE0EEEvSQ_.has_dyn_sized_stack, 0
	.set _ZN7rocprim17ROCPRIM_400000_NS6detail17trampoline_kernelINS0_14default_configENS1_27lower_bound_config_selectorIjjEEZNS1_14transform_implILb0ES3_S5_N6thrust23THRUST_200600_302600_NS17counting_iteratorIjNS8_11use_defaultESA_SA_EENS8_6detail15normal_iteratorINS8_10device_ptrIjEEEEZNS1_13binary_searchIS3_S5_SG_SB_SG_NS1_21lower_bound_search_opENSC_16wrapped_functionINS0_4lessIvEEbEEEE10hipError_tPvRmT1_T2_T3_mmT4_T5_P12ihipStream_tbEUlRKjE_EESN_SR_SS_mST_SW_bEUlT_E_NS1_11comp_targetILNS1_3genE10ELNS1_11target_archE1200ELNS1_3gpuE4ELNS1_3repE0EEENS1_30default_config_static_selectorELNS0_4arch9wavefront6targetE0EEEvSQ_.has_recursion, 0
	.set _ZN7rocprim17ROCPRIM_400000_NS6detail17trampoline_kernelINS0_14default_configENS1_27lower_bound_config_selectorIjjEEZNS1_14transform_implILb0ES3_S5_N6thrust23THRUST_200600_302600_NS17counting_iteratorIjNS8_11use_defaultESA_SA_EENS8_6detail15normal_iteratorINS8_10device_ptrIjEEEEZNS1_13binary_searchIS3_S5_SG_SB_SG_NS1_21lower_bound_search_opENSC_16wrapped_functionINS0_4lessIvEEbEEEE10hipError_tPvRmT1_T2_T3_mmT4_T5_P12ihipStream_tbEUlRKjE_EESN_SR_SS_mST_SW_bEUlT_E_NS1_11comp_targetILNS1_3genE10ELNS1_11target_archE1200ELNS1_3gpuE4ELNS1_3repE0EEENS1_30default_config_static_selectorELNS0_4arch9wavefront6targetE0EEEvSQ_.has_indirect_call, 0
	.section	.AMDGPU.csdata,"",@progbits
; Kernel info:
; codeLenInByte = 0
; TotalNumSgprs: 0
; NumVgprs: 0
; ScratchSize: 0
; MemoryBound: 0
; FloatMode: 240
; IeeeMode: 1
; LDSByteSize: 0 bytes/workgroup (compile time only)
; SGPRBlocks: 0
; VGPRBlocks: 0
; NumSGPRsForWavesPerEU: 1
; NumVGPRsForWavesPerEU: 1
; Occupancy: 16
; WaveLimiterHint : 0
; COMPUTE_PGM_RSRC2:SCRATCH_EN: 0
; COMPUTE_PGM_RSRC2:USER_SGPR: 2
; COMPUTE_PGM_RSRC2:TRAP_HANDLER: 0
; COMPUTE_PGM_RSRC2:TGID_X_EN: 1
; COMPUTE_PGM_RSRC2:TGID_Y_EN: 0
; COMPUTE_PGM_RSRC2:TGID_Z_EN: 0
; COMPUTE_PGM_RSRC2:TIDIG_COMP_CNT: 0
	.section	.text._ZN7rocprim17ROCPRIM_400000_NS6detail17trampoline_kernelINS0_14default_configENS1_27lower_bound_config_selectorIjjEEZNS1_14transform_implILb0ES3_S5_N6thrust23THRUST_200600_302600_NS17counting_iteratorIjNS8_11use_defaultESA_SA_EENS8_6detail15normal_iteratorINS8_10device_ptrIjEEEEZNS1_13binary_searchIS3_S5_SG_SB_SG_NS1_21lower_bound_search_opENSC_16wrapped_functionINS0_4lessIvEEbEEEE10hipError_tPvRmT1_T2_T3_mmT4_T5_P12ihipStream_tbEUlRKjE_EESN_SR_SS_mST_SW_bEUlT_E_NS1_11comp_targetILNS1_3genE9ELNS1_11target_archE1100ELNS1_3gpuE3ELNS1_3repE0EEENS1_30default_config_static_selectorELNS0_4arch9wavefront6targetE0EEEvSQ_,"axG",@progbits,_ZN7rocprim17ROCPRIM_400000_NS6detail17trampoline_kernelINS0_14default_configENS1_27lower_bound_config_selectorIjjEEZNS1_14transform_implILb0ES3_S5_N6thrust23THRUST_200600_302600_NS17counting_iteratorIjNS8_11use_defaultESA_SA_EENS8_6detail15normal_iteratorINS8_10device_ptrIjEEEEZNS1_13binary_searchIS3_S5_SG_SB_SG_NS1_21lower_bound_search_opENSC_16wrapped_functionINS0_4lessIvEEbEEEE10hipError_tPvRmT1_T2_T3_mmT4_T5_P12ihipStream_tbEUlRKjE_EESN_SR_SS_mST_SW_bEUlT_E_NS1_11comp_targetILNS1_3genE9ELNS1_11target_archE1100ELNS1_3gpuE3ELNS1_3repE0EEENS1_30default_config_static_selectorELNS0_4arch9wavefront6targetE0EEEvSQ_,comdat
	.protected	_ZN7rocprim17ROCPRIM_400000_NS6detail17trampoline_kernelINS0_14default_configENS1_27lower_bound_config_selectorIjjEEZNS1_14transform_implILb0ES3_S5_N6thrust23THRUST_200600_302600_NS17counting_iteratorIjNS8_11use_defaultESA_SA_EENS8_6detail15normal_iteratorINS8_10device_ptrIjEEEEZNS1_13binary_searchIS3_S5_SG_SB_SG_NS1_21lower_bound_search_opENSC_16wrapped_functionINS0_4lessIvEEbEEEE10hipError_tPvRmT1_T2_T3_mmT4_T5_P12ihipStream_tbEUlRKjE_EESN_SR_SS_mST_SW_bEUlT_E_NS1_11comp_targetILNS1_3genE9ELNS1_11target_archE1100ELNS1_3gpuE3ELNS1_3repE0EEENS1_30default_config_static_selectorELNS0_4arch9wavefront6targetE0EEEvSQ_ ; -- Begin function _ZN7rocprim17ROCPRIM_400000_NS6detail17trampoline_kernelINS0_14default_configENS1_27lower_bound_config_selectorIjjEEZNS1_14transform_implILb0ES3_S5_N6thrust23THRUST_200600_302600_NS17counting_iteratorIjNS8_11use_defaultESA_SA_EENS8_6detail15normal_iteratorINS8_10device_ptrIjEEEEZNS1_13binary_searchIS3_S5_SG_SB_SG_NS1_21lower_bound_search_opENSC_16wrapped_functionINS0_4lessIvEEbEEEE10hipError_tPvRmT1_T2_T3_mmT4_T5_P12ihipStream_tbEUlRKjE_EESN_SR_SS_mST_SW_bEUlT_E_NS1_11comp_targetILNS1_3genE9ELNS1_11target_archE1100ELNS1_3gpuE3ELNS1_3repE0EEENS1_30default_config_static_selectorELNS0_4arch9wavefront6targetE0EEEvSQ_
	.globl	_ZN7rocprim17ROCPRIM_400000_NS6detail17trampoline_kernelINS0_14default_configENS1_27lower_bound_config_selectorIjjEEZNS1_14transform_implILb0ES3_S5_N6thrust23THRUST_200600_302600_NS17counting_iteratorIjNS8_11use_defaultESA_SA_EENS8_6detail15normal_iteratorINS8_10device_ptrIjEEEEZNS1_13binary_searchIS3_S5_SG_SB_SG_NS1_21lower_bound_search_opENSC_16wrapped_functionINS0_4lessIvEEbEEEE10hipError_tPvRmT1_T2_T3_mmT4_T5_P12ihipStream_tbEUlRKjE_EESN_SR_SS_mST_SW_bEUlT_E_NS1_11comp_targetILNS1_3genE9ELNS1_11target_archE1100ELNS1_3gpuE3ELNS1_3repE0EEENS1_30default_config_static_selectorELNS0_4arch9wavefront6targetE0EEEvSQ_
	.p2align	8
	.type	_ZN7rocprim17ROCPRIM_400000_NS6detail17trampoline_kernelINS0_14default_configENS1_27lower_bound_config_selectorIjjEEZNS1_14transform_implILb0ES3_S5_N6thrust23THRUST_200600_302600_NS17counting_iteratorIjNS8_11use_defaultESA_SA_EENS8_6detail15normal_iteratorINS8_10device_ptrIjEEEEZNS1_13binary_searchIS3_S5_SG_SB_SG_NS1_21lower_bound_search_opENSC_16wrapped_functionINS0_4lessIvEEbEEEE10hipError_tPvRmT1_T2_T3_mmT4_T5_P12ihipStream_tbEUlRKjE_EESN_SR_SS_mST_SW_bEUlT_E_NS1_11comp_targetILNS1_3genE9ELNS1_11target_archE1100ELNS1_3gpuE3ELNS1_3repE0EEENS1_30default_config_static_selectorELNS0_4arch9wavefront6targetE0EEEvSQ_,@function
_ZN7rocprim17ROCPRIM_400000_NS6detail17trampoline_kernelINS0_14default_configENS1_27lower_bound_config_selectorIjjEEZNS1_14transform_implILb0ES3_S5_N6thrust23THRUST_200600_302600_NS17counting_iteratorIjNS8_11use_defaultESA_SA_EENS8_6detail15normal_iteratorINS8_10device_ptrIjEEEEZNS1_13binary_searchIS3_S5_SG_SB_SG_NS1_21lower_bound_search_opENSC_16wrapped_functionINS0_4lessIvEEbEEEE10hipError_tPvRmT1_T2_T3_mmT4_T5_P12ihipStream_tbEUlRKjE_EESN_SR_SS_mST_SW_bEUlT_E_NS1_11comp_targetILNS1_3genE9ELNS1_11target_archE1100ELNS1_3gpuE3ELNS1_3repE0EEENS1_30default_config_static_selectorELNS0_4arch9wavefront6targetE0EEEvSQ_: ; @_ZN7rocprim17ROCPRIM_400000_NS6detail17trampoline_kernelINS0_14default_configENS1_27lower_bound_config_selectorIjjEEZNS1_14transform_implILb0ES3_S5_N6thrust23THRUST_200600_302600_NS17counting_iteratorIjNS8_11use_defaultESA_SA_EENS8_6detail15normal_iteratorINS8_10device_ptrIjEEEEZNS1_13binary_searchIS3_S5_SG_SB_SG_NS1_21lower_bound_search_opENSC_16wrapped_functionINS0_4lessIvEEbEEEE10hipError_tPvRmT1_T2_T3_mmT4_T5_P12ihipStream_tbEUlRKjE_EESN_SR_SS_mST_SW_bEUlT_E_NS1_11comp_targetILNS1_3genE9ELNS1_11target_archE1100ELNS1_3gpuE3ELNS1_3repE0EEENS1_30default_config_static_selectorELNS0_4arch9wavefront6targetE0EEEvSQ_
; %bb.0:
	.section	.rodata,"a",@progbits
	.p2align	6, 0x0
	.amdhsa_kernel _ZN7rocprim17ROCPRIM_400000_NS6detail17trampoline_kernelINS0_14default_configENS1_27lower_bound_config_selectorIjjEEZNS1_14transform_implILb0ES3_S5_N6thrust23THRUST_200600_302600_NS17counting_iteratorIjNS8_11use_defaultESA_SA_EENS8_6detail15normal_iteratorINS8_10device_ptrIjEEEEZNS1_13binary_searchIS3_S5_SG_SB_SG_NS1_21lower_bound_search_opENSC_16wrapped_functionINS0_4lessIvEEbEEEE10hipError_tPvRmT1_T2_T3_mmT4_T5_P12ihipStream_tbEUlRKjE_EESN_SR_SS_mST_SW_bEUlT_E_NS1_11comp_targetILNS1_3genE9ELNS1_11target_archE1100ELNS1_3gpuE3ELNS1_3repE0EEENS1_30default_config_static_selectorELNS0_4arch9wavefront6targetE0EEEvSQ_
		.amdhsa_group_segment_fixed_size 0
		.amdhsa_private_segment_fixed_size 0
		.amdhsa_kernarg_size 56
		.amdhsa_user_sgpr_count 2
		.amdhsa_user_sgpr_dispatch_ptr 0
		.amdhsa_user_sgpr_queue_ptr 0
		.amdhsa_user_sgpr_kernarg_segment_ptr 1
		.amdhsa_user_sgpr_dispatch_id 0
		.amdhsa_user_sgpr_private_segment_size 0
		.amdhsa_wavefront_size32 1
		.amdhsa_uses_dynamic_stack 0
		.amdhsa_enable_private_segment 0
		.amdhsa_system_sgpr_workgroup_id_x 1
		.amdhsa_system_sgpr_workgroup_id_y 0
		.amdhsa_system_sgpr_workgroup_id_z 0
		.amdhsa_system_sgpr_workgroup_info 0
		.amdhsa_system_vgpr_workitem_id 0
		.amdhsa_next_free_vgpr 1
		.amdhsa_next_free_sgpr 1
		.amdhsa_reserve_vcc 0
		.amdhsa_float_round_mode_32 0
		.amdhsa_float_round_mode_16_64 0
		.amdhsa_float_denorm_mode_32 3
		.amdhsa_float_denorm_mode_16_64 3
		.amdhsa_fp16_overflow 0
		.amdhsa_workgroup_processor_mode 1
		.amdhsa_memory_ordered 1
		.amdhsa_forward_progress 1
		.amdhsa_inst_pref_size 0
		.amdhsa_round_robin_scheduling 0
		.amdhsa_exception_fp_ieee_invalid_op 0
		.amdhsa_exception_fp_denorm_src 0
		.amdhsa_exception_fp_ieee_div_zero 0
		.amdhsa_exception_fp_ieee_overflow 0
		.amdhsa_exception_fp_ieee_underflow 0
		.amdhsa_exception_fp_ieee_inexact 0
		.amdhsa_exception_int_div_zero 0
	.end_amdhsa_kernel
	.section	.text._ZN7rocprim17ROCPRIM_400000_NS6detail17trampoline_kernelINS0_14default_configENS1_27lower_bound_config_selectorIjjEEZNS1_14transform_implILb0ES3_S5_N6thrust23THRUST_200600_302600_NS17counting_iteratorIjNS8_11use_defaultESA_SA_EENS8_6detail15normal_iteratorINS8_10device_ptrIjEEEEZNS1_13binary_searchIS3_S5_SG_SB_SG_NS1_21lower_bound_search_opENSC_16wrapped_functionINS0_4lessIvEEbEEEE10hipError_tPvRmT1_T2_T3_mmT4_T5_P12ihipStream_tbEUlRKjE_EESN_SR_SS_mST_SW_bEUlT_E_NS1_11comp_targetILNS1_3genE9ELNS1_11target_archE1100ELNS1_3gpuE3ELNS1_3repE0EEENS1_30default_config_static_selectorELNS0_4arch9wavefront6targetE0EEEvSQ_,"axG",@progbits,_ZN7rocprim17ROCPRIM_400000_NS6detail17trampoline_kernelINS0_14default_configENS1_27lower_bound_config_selectorIjjEEZNS1_14transform_implILb0ES3_S5_N6thrust23THRUST_200600_302600_NS17counting_iteratorIjNS8_11use_defaultESA_SA_EENS8_6detail15normal_iteratorINS8_10device_ptrIjEEEEZNS1_13binary_searchIS3_S5_SG_SB_SG_NS1_21lower_bound_search_opENSC_16wrapped_functionINS0_4lessIvEEbEEEE10hipError_tPvRmT1_T2_T3_mmT4_T5_P12ihipStream_tbEUlRKjE_EESN_SR_SS_mST_SW_bEUlT_E_NS1_11comp_targetILNS1_3genE9ELNS1_11target_archE1100ELNS1_3gpuE3ELNS1_3repE0EEENS1_30default_config_static_selectorELNS0_4arch9wavefront6targetE0EEEvSQ_,comdat
.Lfunc_end237:
	.size	_ZN7rocprim17ROCPRIM_400000_NS6detail17trampoline_kernelINS0_14default_configENS1_27lower_bound_config_selectorIjjEEZNS1_14transform_implILb0ES3_S5_N6thrust23THRUST_200600_302600_NS17counting_iteratorIjNS8_11use_defaultESA_SA_EENS8_6detail15normal_iteratorINS8_10device_ptrIjEEEEZNS1_13binary_searchIS3_S5_SG_SB_SG_NS1_21lower_bound_search_opENSC_16wrapped_functionINS0_4lessIvEEbEEEE10hipError_tPvRmT1_T2_T3_mmT4_T5_P12ihipStream_tbEUlRKjE_EESN_SR_SS_mST_SW_bEUlT_E_NS1_11comp_targetILNS1_3genE9ELNS1_11target_archE1100ELNS1_3gpuE3ELNS1_3repE0EEENS1_30default_config_static_selectorELNS0_4arch9wavefront6targetE0EEEvSQ_, .Lfunc_end237-_ZN7rocprim17ROCPRIM_400000_NS6detail17trampoline_kernelINS0_14default_configENS1_27lower_bound_config_selectorIjjEEZNS1_14transform_implILb0ES3_S5_N6thrust23THRUST_200600_302600_NS17counting_iteratorIjNS8_11use_defaultESA_SA_EENS8_6detail15normal_iteratorINS8_10device_ptrIjEEEEZNS1_13binary_searchIS3_S5_SG_SB_SG_NS1_21lower_bound_search_opENSC_16wrapped_functionINS0_4lessIvEEbEEEE10hipError_tPvRmT1_T2_T3_mmT4_T5_P12ihipStream_tbEUlRKjE_EESN_SR_SS_mST_SW_bEUlT_E_NS1_11comp_targetILNS1_3genE9ELNS1_11target_archE1100ELNS1_3gpuE3ELNS1_3repE0EEENS1_30default_config_static_selectorELNS0_4arch9wavefront6targetE0EEEvSQ_
                                        ; -- End function
	.set _ZN7rocprim17ROCPRIM_400000_NS6detail17trampoline_kernelINS0_14default_configENS1_27lower_bound_config_selectorIjjEEZNS1_14transform_implILb0ES3_S5_N6thrust23THRUST_200600_302600_NS17counting_iteratorIjNS8_11use_defaultESA_SA_EENS8_6detail15normal_iteratorINS8_10device_ptrIjEEEEZNS1_13binary_searchIS3_S5_SG_SB_SG_NS1_21lower_bound_search_opENSC_16wrapped_functionINS0_4lessIvEEbEEEE10hipError_tPvRmT1_T2_T3_mmT4_T5_P12ihipStream_tbEUlRKjE_EESN_SR_SS_mST_SW_bEUlT_E_NS1_11comp_targetILNS1_3genE9ELNS1_11target_archE1100ELNS1_3gpuE3ELNS1_3repE0EEENS1_30default_config_static_selectorELNS0_4arch9wavefront6targetE0EEEvSQ_.num_vgpr, 0
	.set _ZN7rocprim17ROCPRIM_400000_NS6detail17trampoline_kernelINS0_14default_configENS1_27lower_bound_config_selectorIjjEEZNS1_14transform_implILb0ES3_S5_N6thrust23THRUST_200600_302600_NS17counting_iteratorIjNS8_11use_defaultESA_SA_EENS8_6detail15normal_iteratorINS8_10device_ptrIjEEEEZNS1_13binary_searchIS3_S5_SG_SB_SG_NS1_21lower_bound_search_opENSC_16wrapped_functionINS0_4lessIvEEbEEEE10hipError_tPvRmT1_T2_T3_mmT4_T5_P12ihipStream_tbEUlRKjE_EESN_SR_SS_mST_SW_bEUlT_E_NS1_11comp_targetILNS1_3genE9ELNS1_11target_archE1100ELNS1_3gpuE3ELNS1_3repE0EEENS1_30default_config_static_selectorELNS0_4arch9wavefront6targetE0EEEvSQ_.num_agpr, 0
	.set _ZN7rocprim17ROCPRIM_400000_NS6detail17trampoline_kernelINS0_14default_configENS1_27lower_bound_config_selectorIjjEEZNS1_14transform_implILb0ES3_S5_N6thrust23THRUST_200600_302600_NS17counting_iteratorIjNS8_11use_defaultESA_SA_EENS8_6detail15normal_iteratorINS8_10device_ptrIjEEEEZNS1_13binary_searchIS3_S5_SG_SB_SG_NS1_21lower_bound_search_opENSC_16wrapped_functionINS0_4lessIvEEbEEEE10hipError_tPvRmT1_T2_T3_mmT4_T5_P12ihipStream_tbEUlRKjE_EESN_SR_SS_mST_SW_bEUlT_E_NS1_11comp_targetILNS1_3genE9ELNS1_11target_archE1100ELNS1_3gpuE3ELNS1_3repE0EEENS1_30default_config_static_selectorELNS0_4arch9wavefront6targetE0EEEvSQ_.numbered_sgpr, 0
	.set _ZN7rocprim17ROCPRIM_400000_NS6detail17trampoline_kernelINS0_14default_configENS1_27lower_bound_config_selectorIjjEEZNS1_14transform_implILb0ES3_S5_N6thrust23THRUST_200600_302600_NS17counting_iteratorIjNS8_11use_defaultESA_SA_EENS8_6detail15normal_iteratorINS8_10device_ptrIjEEEEZNS1_13binary_searchIS3_S5_SG_SB_SG_NS1_21lower_bound_search_opENSC_16wrapped_functionINS0_4lessIvEEbEEEE10hipError_tPvRmT1_T2_T3_mmT4_T5_P12ihipStream_tbEUlRKjE_EESN_SR_SS_mST_SW_bEUlT_E_NS1_11comp_targetILNS1_3genE9ELNS1_11target_archE1100ELNS1_3gpuE3ELNS1_3repE0EEENS1_30default_config_static_selectorELNS0_4arch9wavefront6targetE0EEEvSQ_.num_named_barrier, 0
	.set _ZN7rocprim17ROCPRIM_400000_NS6detail17trampoline_kernelINS0_14default_configENS1_27lower_bound_config_selectorIjjEEZNS1_14transform_implILb0ES3_S5_N6thrust23THRUST_200600_302600_NS17counting_iteratorIjNS8_11use_defaultESA_SA_EENS8_6detail15normal_iteratorINS8_10device_ptrIjEEEEZNS1_13binary_searchIS3_S5_SG_SB_SG_NS1_21lower_bound_search_opENSC_16wrapped_functionINS0_4lessIvEEbEEEE10hipError_tPvRmT1_T2_T3_mmT4_T5_P12ihipStream_tbEUlRKjE_EESN_SR_SS_mST_SW_bEUlT_E_NS1_11comp_targetILNS1_3genE9ELNS1_11target_archE1100ELNS1_3gpuE3ELNS1_3repE0EEENS1_30default_config_static_selectorELNS0_4arch9wavefront6targetE0EEEvSQ_.private_seg_size, 0
	.set _ZN7rocprim17ROCPRIM_400000_NS6detail17trampoline_kernelINS0_14default_configENS1_27lower_bound_config_selectorIjjEEZNS1_14transform_implILb0ES3_S5_N6thrust23THRUST_200600_302600_NS17counting_iteratorIjNS8_11use_defaultESA_SA_EENS8_6detail15normal_iteratorINS8_10device_ptrIjEEEEZNS1_13binary_searchIS3_S5_SG_SB_SG_NS1_21lower_bound_search_opENSC_16wrapped_functionINS0_4lessIvEEbEEEE10hipError_tPvRmT1_T2_T3_mmT4_T5_P12ihipStream_tbEUlRKjE_EESN_SR_SS_mST_SW_bEUlT_E_NS1_11comp_targetILNS1_3genE9ELNS1_11target_archE1100ELNS1_3gpuE3ELNS1_3repE0EEENS1_30default_config_static_selectorELNS0_4arch9wavefront6targetE0EEEvSQ_.uses_vcc, 0
	.set _ZN7rocprim17ROCPRIM_400000_NS6detail17trampoline_kernelINS0_14default_configENS1_27lower_bound_config_selectorIjjEEZNS1_14transform_implILb0ES3_S5_N6thrust23THRUST_200600_302600_NS17counting_iteratorIjNS8_11use_defaultESA_SA_EENS8_6detail15normal_iteratorINS8_10device_ptrIjEEEEZNS1_13binary_searchIS3_S5_SG_SB_SG_NS1_21lower_bound_search_opENSC_16wrapped_functionINS0_4lessIvEEbEEEE10hipError_tPvRmT1_T2_T3_mmT4_T5_P12ihipStream_tbEUlRKjE_EESN_SR_SS_mST_SW_bEUlT_E_NS1_11comp_targetILNS1_3genE9ELNS1_11target_archE1100ELNS1_3gpuE3ELNS1_3repE0EEENS1_30default_config_static_selectorELNS0_4arch9wavefront6targetE0EEEvSQ_.uses_flat_scratch, 0
	.set _ZN7rocprim17ROCPRIM_400000_NS6detail17trampoline_kernelINS0_14default_configENS1_27lower_bound_config_selectorIjjEEZNS1_14transform_implILb0ES3_S5_N6thrust23THRUST_200600_302600_NS17counting_iteratorIjNS8_11use_defaultESA_SA_EENS8_6detail15normal_iteratorINS8_10device_ptrIjEEEEZNS1_13binary_searchIS3_S5_SG_SB_SG_NS1_21lower_bound_search_opENSC_16wrapped_functionINS0_4lessIvEEbEEEE10hipError_tPvRmT1_T2_T3_mmT4_T5_P12ihipStream_tbEUlRKjE_EESN_SR_SS_mST_SW_bEUlT_E_NS1_11comp_targetILNS1_3genE9ELNS1_11target_archE1100ELNS1_3gpuE3ELNS1_3repE0EEENS1_30default_config_static_selectorELNS0_4arch9wavefront6targetE0EEEvSQ_.has_dyn_sized_stack, 0
	.set _ZN7rocprim17ROCPRIM_400000_NS6detail17trampoline_kernelINS0_14default_configENS1_27lower_bound_config_selectorIjjEEZNS1_14transform_implILb0ES3_S5_N6thrust23THRUST_200600_302600_NS17counting_iteratorIjNS8_11use_defaultESA_SA_EENS8_6detail15normal_iteratorINS8_10device_ptrIjEEEEZNS1_13binary_searchIS3_S5_SG_SB_SG_NS1_21lower_bound_search_opENSC_16wrapped_functionINS0_4lessIvEEbEEEE10hipError_tPvRmT1_T2_T3_mmT4_T5_P12ihipStream_tbEUlRKjE_EESN_SR_SS_mST_SW_bEUlT_E_NS1_11comp_targetILNS1_3genE9ELNS1_11target_archE1100ELNS1_3gpuE3ELNS1_3repE0EEENS1_30default_config_static_selectorELNS0_4arch9wavefront6targetE0EEEvSQ_.has_recursion, 0
	.set _ZN7rocprim17ROCPRIM_400000_NS6detail17trampoline_kernelINS0_14default_configENS1_27lower_bound_config_selectorIjjEEZNS1_14transform_implILb0ES3_S5_N6thrust23THRUST_200600_302600_NS17counting_iteratorIjNS8_11use_defaultESA_SA_EENS8_6detail15normal_iteratorINS8_10device_ptrIjEEEEZNS1_13binary_searchIS3_S5_SG_SB_SG_NS1_21lower_bound_search_opENSC_16wrapped_functionINS0_4lessIvEEbEEEE10hipError_tPvRmT1_T2_T3_mmT4_T5_P12ihipStream_tbEUlRKjE_EESN_SR_SS_mST_SW_bEUlT_E_NS1_11comp_targetILNS1_3genE9ELNS1_11target_archE1100ELNS1_3gpuE3ELNS1_3repE0EEENS1_30default_config_static_selectorELNS0_4arch9wavefront6targetE0EEEvSQ_.has_indirect_call, 0
	.section	.AMDGPU.csdata,"",@progbits
; Kernel info:
; codeLenInByte = 0
; TotalNumSgprs: 0
; NumVgprs: 0
; ScratchSize: 0
; MemoryBound: 0
; FloatMode: 240
; IeeeMode: 1
; LDSByteSize: 0 bytes/workgroup (compile time only)
; SGPRBlocks: 0
; VGPRBlocks: 0
; NumSGPRsForWavesPerEU: 1
; NumVGPRsForWavesPerEU: 1
; Occupancy: 16
; WaveLimiterHint : 0
; COMPUTE_PGM_RSRC2:SCRATCH_EN: 0
; COMPUTE_PGM_RSRC2:USER_SGPR: 2
; COMPUTE_PGM_RSRC2:TRAP_HANDLER: 0
; COMPUTE_PGM_RSRC2:TGID_X_EN: 1
; COMPUTE_PGM_RSRC2:TGID_Y_EN: 0
; COMPUTE_PGM_RSRC2:TGID_Z_EN: 0
; COMPUTE_PGM_RSRC2:TIDIG_COMP_CNT: 0
	.section	.text._ZN7rocprim17ROCPRIM_400000_NS6detail17trampoline_kernelINS0_14default_configENS1_27lower_bound_config_selectorIjjEEZNS1_14transform_implILb0ES3_S5_N6thrust23THRUST_200600_302600_NS17counting_iteratorIjNS8_11use_defaultESA_SA_EENS8_6detail15normal_iteratorINS8_10device_ptrIjEEEEZNS1_13binary_searchIS3_S5_SG_SB_SG_NS1_21lower_bound_search_opENSC_16wrapped_functionINS0_4lessIvEEbEEEE10hipError_tPvRmT1_T2_T3_mmT4_T5_P12ihipStream_tbEUlRKjE_EESN_SR_SS_mST_SW_bEUlT_E_NS1_11comp_targetILNS1_3genE8ELNS1_11target_archE1030ELNS1_3gpuE2ELNS1_3repE0EEENS1_30default_config_static_selectorELNS0_4arch9wavefront6targetE0EEEvSQ_,"axG",@progbits,_ZN7rocprim17ROCPRIM_400000_NS6detail17trampoline_kernelINS0_14default_configENS1_27lower_bound_config_selectorIjjEEZNS1_14transform_implILb0ES3_S5_N6thrust23THRUST_200600_302600_NS17counting_iteratorIjNS8_11use_defaultESA_SA_EENS8_6detail15normal_iteratorINS8_10device_ptrIjEEEEZNS1_13binary_searchIS3_S5_SG_SB_SG_NS1_21lower_bound_search_opENSC_16wrapped_functionINS0_4lessIvEEbEEEE10hipError_tPvRmT1_T2_T3_mmT4_T5_P12ihipStream_tbEUlRKjE_EESN_SR_SS_mST_SW_bEUlT_E_NS1_11comp_targetILNS1_3genE8ELNS1_11target_archE1030ELNS1_3gpuE2ELNS1_3repE0EEENS1_30default_config_static_selectorELNS0_4arch9wavefront6targetE0EEEvSQ_,comdat
	.protected	_ZN7rocprim17ROCPRIM_400000_NS6detail17trampoline_kernelINS0_14default_configENS1_27lower_bound_config_selectorIjjEEZNS1_14transform_implILb0ES3_S5_N6thrust23THRUST_200600_302600_NS17counting_iteratorIjNS8_11use_defaultESA_SA_EENS8_6detail15normal_iteratorINS8_10device_ptrIjEEEEZNS1_13binary_searchIS3_S5_SG_SB_SG_NS1_21lower_bound_search_opENSC_16wrapped_functionINS0_4lessIvEEbEEEE10hipError_tPvRmT1_T2_T3_mmT4_T5_P12ihipStream_tbEUlRKjE_EESN_SR_SS_mST_SW_bEUlT_E_NS1_11comp_targetILNS1_3genE8ELNS1_11target_archE1030ELNS1_3gpuE2ELNS1_3repE0EEENS1_30default_config_static_selectorELNS0_4arch9wavefront6targetE0EEEvSQ_ ; -- Begin function _ZN7rocprim17ROCPRIM_400000_NS6detail17trampoline_kernelINS0_14default_configENS1_27lower_bound_config_selectorIjjEEZNS1_14transform_implILb0ES3_S5_N6thrust23THRUST_200600_302600_NS17counting_iteratorIjNS8_11use_defaultESA_SA_EENS8_6detail15normal_iteratorINS8_10device_ptrIjEEEEZNS1_13binary_searchIS3_S5_SG_SB_SG_NS1_21lower_bound_search_opENSC_16wrapped_functionINS0_4lessIvEEbEEEE10hipError_tPvRmT1_T2_T3_mmT4_T5_P12ihipStream_tbEUlRKjE_EESN_SR_SS_mST_SW_bEUlT_E_NS1_11comp_targetILNS1_3genE8ELNS1_11target_archE1030ELNS1_3gpuE2ELNS1_3repE0EEENS1_30default_config_static_selectorELNS0_4arch9wavefront6targetE0EEEvSQ_
	.globl	_ZN7rocprim17ROCPRIM_400000_NS6detail17trampoline_kernelINS0_14default_configENS1_27lower_bound_config_selectorIjjEEZNS1_14transform_implILb0ES3_S5_N6thrust23THRUST_200600_302600_NS17counting_iteratorIjNS8_11use_defaultESA_SA_EENS8_6detail15normal_iteratorINS8_10device_ptrIjEEEEZNS1_13binary_searchIS3_S5_SG_SB_SG_NS1_21lower_bound_search_opENSC_16wrapped_functionINS0_4lessIvEEbEEEE10hipError_tPvRmT1_T2_T3_mmT4_T5_P12ihipStream_tbEUlRKjE_EESN_SR_SS_mST_SW_bEUlT_E_NS1_11comp_targetILNS1_3genE8ELNS1_11target_archE1030ELNS1_3gpuE2ELNS1_3repE0EEENS1_30default_config_static_selectorELNS0_4arch9wavefront6targetE0EEEvSQ_
	.p2align	8
	.type	_ZN7rocprim17ROCPRIM_400000_NS6detail17trampoline_kernelINS0_14default_configENS1_27lower_bound_config_selectorIjjEEZNS1_14transform_implILb0ES3_S5_N6thrust23THRUST_200600_302600_NS17counting_iteratorIjNS8_11use_defaultESA_SA_EENS8_6detail15normal_iteratorINS8_10device_ptrIjEEEEZNS1_13binary_searchIS3_S5_SG_SB_SG_NS1_21lower_bound_search_opENSC_16wrapped_functionINS0_4lessIvEEbEEEE10hipError_tPvRmT1_T2_T3_mmT4_T5_P12ihipStream_tbEUlRKjE_EESN_SR_SS_mST_SW_bEUlT_E_NS1_11comp_targetILNS1_3genE8ELNS1_11target_archE1030ELNS1_3gpuE2ELNS1_3repE0EEENS1_30default_config_static_selectorELNS0_4arch9wavefront6targetE0EEEvSQ_,@function
_ZN7rocprim17ROCPRIM_400000_NS6detail17trampoline_kernelINS0_14default_configENS1_27lower_bound_config_selectorIjjEEZNS1_14transform_implILb0ES3_S5_N6thrust23THRUST_200600_302600_NS17counting_iteratorIjNS8_11use_defaultESA_SA_EENS8_6detail15normal_iteratorINS8_10device_ptrIjEEEEZNS1_13binary_searchIS3_S5_SG_SB_SG_NS1_21lower_bound_search_opENSC_16wrapped_functionINS0_4lessIvEEbEEEE10hipError_tPvRmT1_T2_T3_mmT4_T5_P12ihipStream_tbEUlRKjE_EESN_SR_SS_mST_SW_bEUlT_E_NS1_11comp_targetILNS1_3genE8ELNS1_11target_archE1030ELNS1_3gpuE2ELNS1_3repE0EEENS1_30default_config_static_selectorELNS0_4arch9wavefront6targetE0EEEvSQ_: ; @_ZN7rocprim17ROCPRIM_400000_NS6detail17trampoline_kernelINS0_14default_configENS1_27lower_bound_config_selectorIjjEEZNS1_14transform_implILb0ES3_S5_N6thrust23THRUST_200600_302600_NS17counting_iteratorIjNS8_11use_defaultESA_SA_EENS8_6detail15normal_iteratorINS8_10device_ptrIjEEEEZNS1_13binary_searchIS3_S5_SG_SB_SG_NS1_21lower_bound_search_opENSC_16wrapped_functionINS0_4lessIvEEbEEEE10hipError_tPvRmT1_T2_T3_mmT4_T5_P12ihipStream_tbEUlRKjE_EESN_SR_SS_mST_SW_bEUlT_E_NS1_11comp_targetILNS1_3genE8ELNS1_11target_archE1030ELNS1_3gpuE2ELNS1_3repE0EEENS1_30default_config_static_selectorELNS0_4arch9wavefront6targetE0EEEvSQ_
; %bb.0:
	.section	.rodata,"a",@progbits
	.p2align	6, 0x0
	.amdhsa_kernel _ZN7rocprim17ROCPRIM_400000_NS6detail17trampoline_kernelINS0_14default_configENS1_27lower_bound_config_selectorIjjEEZNS1_14transform_implILb0ES3_S5_N6thrust23THRUST_200600_302600_NS17counting_iteratorIjNS8_11use_defaultESA_SA_EENS8_6detail15normal_iteratorINS8_10device_ptrIjEEEEZNS1_13binary_searchIS3_S5_SG_SB_SG_NS1_21lower_bound_search_opENSC_16wrapped_functionINS0_4lessIvEEbEEEE10hipError_tPvRmT1_T2_T3_mmT4_T5_P12ihipStream_tbEUlRKjE_EESN_SR_SS_mST_SW_bEUlT_E_NS1_11comp_targetILNS1_3genE8ELNS1_11target_archE1030ELNS1_3gpuE2ELNS1_3repE0EEENS1_30default_config_static_selectorELNS0_4arch9wavefront6targetE0EEEvSQ_
		.amdhsa_group_segment_fixed_size 0
		.amdhsa_private_segment_fixed_size 0
		.amdhsa_kernarg_size 56
		.amdhsa_user_sgpr_count 2
		.amdhsa_user_sgpr_dispatch_ptr 0
		.amdhsa_user_sgpr_queue_ptr 0
		.amdhsa_user_sgpr_kernarg_segment_ptr 1
		.amdhsa_user_sgpr_dispatch_id 0
		.amdhsa_user_sgpr_private_segment_size 0
		.amdhsa_wavefront_size32 1
		.amdhsa_uses_dynamic_stack 0
		.amdhsa_enable_private_segment 0
		.amdhsa_system_sgpr_workgroup_id_x 1
		.amdhsa_system_sgpr_workgroup_id_y 0
		.amdhsa_system_sgpr_workgroup_id_z 0
		.amdhsa_system_sgpr_workgroup_info 0
		.amdhsa_system_vgpr_workitem_id 0
		.amdhsa_next_free_vgpr 1
		.amdhsa_next_free_sgpr 1
		.amdhsa_reserve_vcc 0
		.amdhsa_float_round_mode_32 0
		.amdhsa_float_round_mode_16_64 0
		.amdhsa_float_denorm_mode_32 3
		.amdhsa_float_denorm_mode_16_64 3
		.amdhsa_fp16_overflow 0
		.amdhsa_workgroup_processor_mode 1
		.amdhsa_memory_ordered 1
		.amdhsa_forward_progress 1
		.amdhsa_inst_pref_size 0
		.amdhsa_round_robin_scheduling 0
		.amdhsa_exception_fp_ieee_invalid_op 0
		.amdhsa_exception_fp_denorm_src 0
		.amdhsa_exception_fp_ieee_div_zero 0
		.amdhsa_exception_fp_ieee_overflow 0
		.amdhsa_exception_fp_ieee_underflow 0
		.amdhsa_exception_fp_ieee_inexact 0
		.amdhsa_exception_int_div_zero 0
	.end_amdhsa_kernel
	.section	.text._ZN7rocprim17ROCPRIM_400000_NS6detail17trampoline_kernelINS0_14default_configENS1_27lower_bound_config_selectorIjjEEZNS1_14transform_implILb0ES3_S5_N6thrust23THRUST_200600_302600_NS17counting_iteratorIjNS8_11use_defaultESA_SA_EENS8_6detail15normal_iteratorINS8_10device_ptrIjEEEEZNS1_13binary_searchIS3_S5_SG_SB_SG_NS1_21lower_bound_search_opENSC_16wrapped_functionINS0_4lessIvEEbEEEE10hipError_tPvRmT1_T2_T3_mmT4_T5_P12ihipStream_tbEUlRKjE_EESN_SR_SS_mST_SW_bEUlT_E_NS1_11comp_targetILNS1_3genE8ELNS1_11target_archE1030ELNS1_3gpuE2ELNS1_3repE0EEENS1_30default_config_static_selectorELNS0_4arch9wavefront6targetE0EEEvSQ_,"axG",@progbits,_ZN7rocprim17ROCPRIM_400000_NS6detail17trampoline_kernelINS0_14default_configENS1_27lower_bound_config_selectorIjjEEZNS1_14transform_implILb0ES3_S5_N6thrust23THRUST_200600_302600_NS17counting_iteratorIjNS8_11use_defaultESA_SA_EENS8_6detail15normal_iteratorINS8_10device_ptrIjEEEEZNS1_13binary_searchIS3_S5_SG_SB_SG_NS1_21lower_bound_search_opENSC_16wrapped_functionINS0_4lessIvEEbEEEE10hipError_tPvRmT1_T2_T3_mmT4_T5_P12ihipStream_tbEUlRKjE_EESN_SR_SS_mST_SW_bEUlT_E_NS1_11comp_targetILNS1_3genE8ELNS1_11target_archE1030ELNS1_3gpuE2ELNS1_3repE0EEENS1_30default_config_static_selectorELNS0_4arch9wavefront6targetE0EEEvSQ_,comdat
.Lfunc_end238:
	.size	_ZN7rocprim17ROCPRIM_400000_NS6detail17trampoline_kernelINS0_14default_configENS1_27lower_bound_config_selectorIjjEEZNS1_14transform_implILb0ES3_S5_N6thrust23THRUST_200600_302600_NS17counting_iteratorIjNS8_11use_defaultESA_SA_EENS8_6detail15normal_iteratorINS8_10device_ptrIjEEEEZNS1_13binary_searchIS3_S5_SG_SB_SG_NS1_21lower_bound_search_opENSC_16wrapped_functionINS0_4lessIvEEbEEEE10hipError_tPvRmT1_T2_T3_mmT4_T5_P12ihipStream_tbEUlRKjE_EESN_SR_SS_mST_SW_bEUlT_E_NS1_11comp_targetILNS1_3genE8ELNS1_11target_archE1030ELNS1_3gpuE2ELNS1_3repE0EEENS1_30default_config_static_selectorELNS0_4arch9wavefront6targetE0EEEvSQ_, .Lfunc_end238-_ZN7rocprim17ROCPRIM_400000_NS6detail17trampoline_kernelINS0_14default_configENS1_27lower_bound_config_selectorIjjEEZNS1_14transform_implILb0ES3_S5_N6thrust23THRUST_200600_302600_NS17counting_iteratorIjNS8_11use_defaultESA_SA_EENS8_6detail15normal_iteratorINS8_10device_ptrIjEEEEZNS1_13binary_searchIS3_S5_SG_SB_SG_NS1_21lower_bound_search_opENSC_16wrapped_functionINS0_4lessIvEEbEEEE10hipError_tPvRmT1_T2_T3_mmT4_T5_P12ihipStream_tbEUlRKjE_EESN_SR_SS_mST_SW_bEUlT_E_NS1_11comp_targetILNS1_3genE8ELNS1_11target_archE1030ELNS1_3gpuE2ELNS1_3repE0EEENS1_30default_config_static_selectorELNS0_4arch9wavefront6targetE0EEEvSQ_
                                        ; -- End function
	.set _ZN7rocprim17ROCPRIM_400000_NS6detail17trampoline_kernelINS0_14default_configENS1_27lower_bound_config_selectorIjjEEZNS1_14transform_implILb0ES3_S5_N6thrust23THRUST_200600_302600_NS17counting_iteratorIjNS8_11use_defaultESA_SA_EENS8_6detail15normal_iteratorINS8_10device_ptrIjEEEEZNS1_13binary_searchIS3_S5_SG_SB_SG_NS1_21lower_bound_search_opENSC_16wrapped_functionINS0_4lessIvEEbEEEE10hipError_tPvRmT1_T2_T3_mmT4_T5_P12ihipStream_tbEUlRKjE_EESN_SR_SS_mST_SW_bEUlT_E_NS1_11comp_targetILNS1_3genE8ELNS1_11target_archE1030ELNS1_3gpuE2ELNS1_3repE0EEENS1_30default_config_static_selectorELNS0_4arch9wavefront6targetE0EEEvSQ_.num_vgpr, 0
	.set _ZN7rocprim17ROCPRIM_400000_NS6detail17trampoline_kernelINS0_14default_configENS1_27lower_bound_config_selectorIjjEEZNS1_14transform_implILb0ES3_S5_N6thrust23THRUST_200600_302600_NS17counting_iteratorIjNS8_11use_defaultESA_SA_EENS8_6detail15normal_iteratorINS8_10device_ptrIjEEEEZNS1_13binary_searchIS3_S5_SG_SB_SG_NS1_21lower_bound_search_opENSC_16wrapped_functionINS0_4lessIvEEbEEEE10hipError_tPvRmT1_T2_T3_mmT4_T5_P12ihipStream_tbEUlRKjE_EESN_SR_SS_mST_SW_bEUlT_E_NS1_11comp_targetILNS1_3genE8ELNS1_11target_archE1030ELNS1_3gpuE2ELNS1_3repE0EEENS1_30default_config_static_selectorELNS0_4arch9wavefront6targetE0EEEvSQ_.num_agpr, 0
	.set _ZN7rocprim17ROCPRIM_400000_NS6detail17trampoline_kernelINS0_14default_configENS1_27lower_bound_config_selectorIjjEEZNS1_14transform_implILb0ES3_S5_N6thrust23THRUST_200600_302600_NS17counting_iteratorIjNS8_11use_defaultESA_SA_EENS8_6detail15normal_iteratorINS8_10device_ptrIjEEEEZNS1_13binary_searchIS3_S5_SG_SB_SG_NS1_21lower_bound_search_opENSC_16wrapped_functionINS0_4lessIvEEbEEEE10hipError_tPvRmT1_T2_T3_mmT4_T5_P12ihipStream_tbEUlRKjE_EESN_SR_SS_mST_SW_bEUlT_E_NS1_11comp_targetILNS1_3genE8ELNS1_11target_archE1030ELNS1_3gpuE2ELNS1_3repE0EEENS1_30default_config_static_selectorELNS0_4arch9wavefront6targetE0EEEvSQ_.numbered_sgpr, 0
	.set _ZN7rocprim17ROCPRIM_400000_NS6detail17trampoline_kernelINS0_14default_configENS1_27lower_bound_config_selectorIjjEEZNS1_14transform_implILb0ES3_S5_N6thrust23THRUST_200600_302600_NS17counting_iteratorIjNS8_11use_defaultESA_SA_EENS8_6detail15normal_iteratorINS8_10device_ptrIjEEEEZNS1_13binary_searchIS3_S5_SG_SB_SG_NS1_21lower_bound_search_opENSC_16wrapped_functionINS0_4lessIvEEbEEEE10hipError_tPvRmT1_T2_T3_mmT4_T5_P12ihipStream_tbEUlRKjE_EESN_SR_SS_mST_SW_bEUlT_E_NS1_11comp_targetILNS1_3genE8ELNS1_11target_archE1030ELNS1_3gpuE2ELNS1_3repE0EEENS1_30default_config_static_selectorELNS0_4arch9wavefront6targetE0EEEvSQ_.num_named_barrier, 0
	.set _ZN7rocprim17ROCPRIM_400000_NS6detail17trampoline_kernelINS0_14default_configENS1_27lower_bound_config_selectorIjjEEZNS1_14transform_implILb0ES3_S5_N6thrust23THRUST_200600_302600_NS17counting_iteratorIjNS8_11use_defaultESA_SA_EENS8_6detail15normal_iteratorINS8_10device_ptrIjEEEEZNS1_13binary_searchIS3_S5_SG_SB_SG_NS1_21lower_bound_search_opENSC_16wrapped_functionINS0_4lessIvEEbEEEE10hipError_tPvRmT1_T2_T3_mmT4_T5_P12ihipStream_tbEUlRKjE_EESN_SR_SS_mST_SW_bEUlT_E_NS1_11comp_targetILNS1_3genE8ELNS1_11target_archE1030ELNS1_3gpuE2ELNS1_3repE0EEENS1_30default_config_static_selectorELNS0_4arch9wavefront6targetE0EEEvSQ_.private_seg_size, 0
	.set _ZN7rocprim17ROCPRIM_400000_NS6detail17trampoline_kernelINS0_14default_configENS1_27lower_bound_config_selectorIjjEEZNS1_14transform_implILb0ES3_S5_N6thrust23THRUST_200600_302600_NS17counting_iteratorIjNS8_11use_defaultESA_SA_EENS8_6detail15normal_iteratorINS8_10device_ptrIjEEEEZNS1_13binary_searchIS3_S5_SG_SB_SG_NS1_21lower_bound_search_opENSC_16wrapped_functionINS0_4lessIvEEbEEEE10hipError_tPvRmT1_T2_T3_mmT4_T5_P12ihipStream_tbEUlRKjE_EESN_SR_SS_mST_SW_bEUlT_E_NS1_11comp_targetILNS1_3genE8ELNS1_11target_archE1030ELNS1_3gpuE2ELNS1_3repE0EEENS1_30default_config_static_selectorELNS0_4arch9wavefront6targetE0EEEvSQ_.uses_vcc, 0
	.set _ZN7rocprim17ROCPRIM_400000_NS6detail17trampoline_kernelINS0_14default_configENS1_27lower_bound_config_selectorIjjEEZNS1_14transform_implILb0ES3_S5_N6thrust23THRUST_200600_302600_NS17counting_iteratorIjNS8_11use_defaultESA_SA_EENS8_6detail15normal_iteratorINS8_10device_ptrIjEEEEZNS1_13binary_searchIS3_S5_SG_SB_SG_NS1_21lower_bound_search_opENSC_16wrapped_functionINS0_4lessIvEEbEEEE10hipError_tPvRmT1_T2_T3_mmT4_T5_P12ihipStream_tbEUlRKjE_EESN_SR_SS_mST_SW_bEUlT_E_NS1_11comp_targetILNS1_3genE8ELNS1_11target_archE1030ELNS1_3gpuE2ELNS1_3repE0EEENS1_30default_config_static_selectorELNS0_4arch9wavefront6targetE0EEEvSQ_.uses_flat_scratch, 0
	.set _ZN7rocprim17ROCPRIM_400000_NS6detail17trampoline_kernelINS0_14default_configENS1_27lower_bound_config_selectorIjjEEZNS1_14transform_implILb0ES3_S5_N6thrust23THRUST_200600_302600_NS17counting_iteratorIjNS8_11use_defaultESA_SA_EENS8_6detail15normal_iteratorINS8_10device_ptrIjEEEEZNS1_13binary_searchIS3_S5_SG_SB_SG_NS1_21lower_bound_search_opENSC_16wrapped_functionINS0_4lessIvEEbEEEE10hipError_tPvRmT1_T2_T3_mmT4_T5_P12ihipStream_tbEUlRKjE_EESN_SR_SS_mST_SW_bEUlT_E_NS1_11comp_targetILNS1_3genE8ELNS1_11target_archE1030ELNS1_3gpuE2ELNS1_3repE0EEENS1_30default_config_static_selectorELNS0_4arch9wavefront6targetE0EEEvSQ_.has_dyn_sized_stack, 0
	.set _ZN7rocprim17ROCPRIM_400000_NS6detail17trampoline_kernelINS0_14default_configENS1_27lower_bound_config_selectorIjjEEZNS1_14transform_implILb0ES3_S5_N6thrust23THRUST_200600_302600_NS17counting_iteratorIjNS8_11use_defaultESA_SA_EENS8_6detail15normal_iteratorINS8_10device_ptrIjEEEEZNS1_13binary_searchIS3_S5_SG_SB_SG_NS1_21lower_bound_search_opENSC_16wrapped_functionINS0_4lessIvEEbEEEE10hipError_tPvRmT1_T2_T3_mmT4_T5_P12ihipStream_tbEUlRKjE_EESN_SR_SS_mST_SW_bEUlT_E_NS1_11comp_targetILNS1_3genE8ELNS1_11target_archE1030ELNS1_3gpuE2ELNS1_3repE0EEENS1_30default_config_static_selectorELNS0_4arch9wavefront6targetE0EEEvSQ_.has_recursion, 0
	.set _ZN7rocprim17ROCPRIM_400000_NS6detail17trampoline_kernelINS0_14default_configENS1_27lower_bound_config_selectorIjjEEZNS1_14transform_implILb0ES3_S5_N6thrust23THRUST_200600_302600_NS17counting_iteratorIjNS8_11use_defaultESA_SA_EENS8_6detail15normal_iteratorINS8_10device_ptrIjEEEEZNS1_13binary_searchIS3_S5_SG_SB_SG_NS1_21lower_bound_search_opENSC_16wrapped_functionINS0_4lessIvEEbEEEE10hipError_tPvRmT1_T2_T3_mmT4_T5_P12ihipStream_tbEUlRKjE_EESN_SR_SS_mST_SW_bEUlT_E_NS1_11comp_targetILNS1_3genE8ELNS1_11target_archE1030ELNS1_3gpuE2ELNS1_3repE0EEENS1_30default_config_static_selectorELNS0_4arch9wavefront6targetE0EEEvSQ_.has_indirect_call, 0
	.section	.AMDGPU.csdata,"",@progbits
; Kernel info:
; codeLenInByte = 0
; TotalNumSgprs: 0
; NumVgprs: 0
; ScratchSize: 0
; MemoryBound: 0
; FloatMode: 240
; IeeeMode: 1
; LDSByteSize: 0 bytes/workgroup (compile time only)
; SGPRBlocks: 0
; VGPRBlocks: 0
; NumSGPRsForWavesPerEU: 1
; NumVGPRsForWavesPerEU: 1
; Occupancy: 16
; WaveLimiterHint : 0
; COMPUTE_PGM_RSRC2:SCRATCH_EN: 0
; COMPUTE_PGM_RSRC2:USER_SGPR: 2
; COMPUTE_PGM_RSRC2:TRAP_HANDLER: 0
; COMPUTE_PGM_RSRC2:TGID_X_EN: 1
; COMPUTE_PGM_RSRC2:TGID_Y_EN: 0
; COMPUTE_PGM_RSRC2:TGID_Z_EN: 0
; COMPUTE_PGM_RSRC2:TIDIG_COMP_CNT: 0
	.section	.text._ZN7rocprim17ROCPRIM_400000_NS6detail17trampoline_kernelINS0_14default_configENS1_27upper_bound_config_selectorIjjEEZNS1_14transform_implILb0ES3_S5_N6thrust23THRUST_200600_302600_NS17counting_iteratorIjNS8_11use_defaultESA_SA_EENS8_6detail15normal_iteratorINS8_10device_ptrIjEEEEZNS1_13binary_searchIS3_S5_SG_SB_SG_NS1_21upper_bound_search_opENSC_16wrapped_functionINS0_4lessIvEEbEEEE10hipError_tPvRmT1_T2_T3_mmT4_T5_P12ihipStream_tbEUlRKjE_EESN_SR_SS_mST_SW_bEUlT_E_NS1_11comp_targetILNS1_3genE0ELNS1_11target_archE4294967295ELNS1_3gpuE0ELNS1_3repE0EEENS1_30default_config_static_selectorELNS0_4arch9wavefront6targetE0EEEvSQ_,"axG",@progbits,_ZN7rocprim17ROCPRIM_400000_NS6detail17trampoline_kernelINS0_14default_configENS1_27upper_bound_config_selectorIjjEEZNS1_14transform_implILb0ES3_S5_N6thrust23THRUST_200600_302600_NS17counting_iteratorIjNS8_11use_defaultESA_SA_EENS8_6detail15normal_iteratorINS8_10device_ptrIjEEEEZNS1_13binary_searchIS3_S5_SG_SB_SG_NS1_21upper_bound_search_opENSC_16wrapped_functionINS0_4lessIvEEbEEEE10hipError_tPvRmT1_T2_T3_mmT4_T5_P12ihipStream_tbEUlRKjE_EESN_SR_SS_mST_SW_bEUlT_E_NS1_11comp_targetILNS1_3genE0ELNS1_11target_archE4294967295ELNS1_3gpuE0ELNS1_3repE0EEENS1_30default_config_static_selectorELNS0_4arch9wavefront6targetE0EEEvSQ_,comdat
	.protected	_ZN7rocprim17ROCPRIM_400000_NS6detail17trampoline_kernelINS0_14default_configENS1_27upper_bound_config_selectorIjjEEZNS1_14transform_implILb0ES3_S5_N6thrust23THRUST_200600_302600_NS17counting_iteratorIjNS8_11use_defaultESA_SA_EENS8_6detail15normal_iteratorINS8_10device_ptrIjEEEEZNS1_13binary_searchIS3_S5_SG_SB_SG_NS1_21upper_bound_search_opENSC_16wrapped_functionINS0_4lessIvEEbEEEE10hipError_tPvRmT1_T2_T3_mmT4_T5_P12ihipStream_tbEUlRKjE_EESN_SR_SS_mST_SW_bEUlT_E_NS1_11comp_targetILNS1_3genE0ELNS1_11target_archE4294967295ELNS1_3gpuE0ELNS1_3repE0EEENS1_30default_config_static_selectorELNS0_4arch9wavefront6targetE0EEEvSQ_ ; -- Begin function _ZN7rocprim17ROCPRIM_400000_NS6detail17trampoline_kernelINS0_14default_configENS1_27upper_bound_config_selectorIjjEEZNS1_14transform_implILb0ES3_S5_N6thrust23THRUST_200600_302600_NS17counting_iteratorIjNS8_11use_defaultESA_SA_EENS8_6detail15normal_iteratorINS8_10device_ptrIjEEEEZNS1_13binary_searchIS3_S5_SG_SB_SG_NS1_21upper_bound_search_opENSC_16wrapped_functionINS0_4lessIvEEbEEEE10hipError_tPvRmT1_T2_T3_mmT4_T5_P12ihipStream_tbEUlRKjE_EESN_SR_SS_mST_SW_bEUlT_E_NS1_11comp_targetILNS1_3genE0ELNS1_11target_archE4294967295ELNS1_3gpuE0ELNS1_3repE0EEENS1_30default_config_static_selectorELNS0_4arch9wavefront6targetE0EEEvSQ_
	.globl	_ZN7rocprim17ROCPRIM_400000_NS6detail17trampoline_kernelINS0_14default_configENS1_27upper_bound_config_selectorIjjEEZNS1_14transform_implILb0ES3_S5_N6thrust23THRUST_200600_302600_NS17counting_iteratorIjNS8_11use_defaultESA_SA_EENS8_6detail15normal_iteratorINS8_10device_ptrIjEEEEZNS1_13binary_searchIS3_S5_SG_SB_SG_NS1_21upper_bound_search_opENSC_16wrapped_functionINS0_4lessIvEEbEEEE10hipError_tPvRmT1_T2_T3_mmT4_T5_P12ihipStream_tbEUlRKjE_EESN_SR_SS_mST_SW_bEUlT_E_NS1_11comp_targetILNS1_3genE0ELNS1_11target_archE4294967295ELNS1_3gpuE0ELNS1_3repE0EEENS1_30default_config_static_selectorELNS0_4arch9wavefront6targetE0EEEvSQ_
	.p2align	8
	.type	_ZN7rocprim17ROCPRIM_400000_NS6detail17trampoline_kernelINS0_14default_configENS1_27upper_bound_config_selectorIjjEEZNS1_14transform_implILb0ES3_S5_N6thrust23THRUST_200600_302600_NS17counting_iteratorIjNS8_11use_defaultESA_SA_EENS8_6detail15normal_iteratorINS8_10device_ptrIjEEEEZNS1_13binary_searchIS3_S5_SG_SB_SG_NS1_21upper_bound_search_opENSC_16wrapped_functionINS0_4lessIvEEbEEEE10hipError_tPvRmT1_T2_T3_mmT4_T5_P12ihipStream_tbEUlRKjE_EESN_SR_SS_mST_SW_bEUlT_E_NS1_11comp_targetILNS1_3genE0ELNS1_11target_archE4294967295ELNS1_3gpuE0ELNS1_3repE0EEENS1_30default_config_static_selectorELNS0_4arch9wavefront6targetE0EEEvSQ_,@function
_ZN7rocprim17ROCPRIM_400000_NS6detail17trampoline_kernelINS0_14default_configENS1_27upper_bound_config_selectorIjjEEZNS1_14transform_implILb0ES3_S5_N6thrust23THRUST_200600_302600_NS17counting_iteratorIjNS8_11use_defaultESA_SA_EENS8_6detail15normal_iteratorINS8_10device_ptrIjEEEEZNS1_13binary_searchIS3_S5_SG_SB_SG_NS1_21upper_bound_search_opENSC_16wrapped_functionINS0_4lessIvEEbEEEE10hipError_tPvRmT1_T2_T3_mmT4_T5_P12ihipStream_tbEUlRKjE_EESN_SR_SS_mST_SW_bEUlT_E_NS1_11comp_targetILNS1_3genE0ELNS1_11target_archE4294967295ELNS1_3gpuE0ELNS1_3repE0EEENS1_30default_config_static_selectorELNS0_4arch9wavefront6targetE0EEEvSQ_: ; @_ZN7rocprim17ROCPRIM_400000_NS6detail17trampoline_kernelINS0_14default_configENS1_27upper_bound_config_selectorIjjEEZNS1_14transform_implILb0ES3_S5_N6thrust23THRUST_200600_302600_NS17counting_iteratorIjNS8_11use_defaultESA_SA_EENS8_6detail15normal_iteratorINS8_10device_ptrIjEEEEZNS1_13binary_searchIS3_S5_SG_SB_SG_NS1_21upper_bound_search_opENSC_16wrapped_functionINS0_4lessIvEEbEEEE10hipError_tPvRmT1_T2_T3_mmT4_T5_P12ihipStream_tbEUlRKjE_EESN_SR_SS_mST_SW_bEUlT_E_NS1_11comp_targetILNS1_3genE0ELNS1_11target_archE4294967295ELNS1_3gpuE0ELNS1_3repE0EEENS1_30default_config_static_selectorELNS0_4arch9wavefront6targetE0EEEvSQ_
; %bb.0:
	.section	.rodata,"a",@progbits
	.p2align	6, 0x0
	.amdhsa_kernel _ZN7rocprim17ROCPRIM_400000_NS6detail17trampoline_kernelINS0_14default_configENS1_27upper_bound_config_selectorIjjEEZNS1_14transform_implILb0ES3_S5_N6thrust23THRUST_200600_302600_NS17counting_iteratorIjNS8_11use_defaultESA_SA_EENS8_6detail15normal_iteratorINS8_10device_ptrIjEEEEZNS1_13binary_searchIS3_S5_SG_SB_SG_NS1_21upper_bound_search_opENSC_16wrapped_functionINS0_4lessIvEEbEEEE10hipError_tPvRmT1_T2_T3_mmT4_T5_P12ihipStream_tbEUlRKjE_EESN_SR_SS_mST_SW_bEUlT_E_NS1_11comp_targetILNS1_3genE0ELNS1_11target_archE4294967295ELNS1_3gpuE0ELNS1_3repE0EEENS1_30default_config_static_selectorELNS0_4arch9wavefront6targetE0EEEvSQ_
		.amdhsa_group_segment_fixed_size 0
		.amdhsa_private_segment_fixed_size 0
		.amdhsa_kernarg_size 56
		.amdhsa_user_sgpr_count 2
		.amdhsa_user_sgpr_dispatch_ptr 0
		.amdhsa_user_sgpr_queue_ptr 0
		.amdhsa_user_sgpr_kernarg_segment_ptr 1
		.amdhsa_user_sgpr_dispatch_id 0
		.amdhsa_user_sgpr_private_segment_size 0
		.amdhsa_wavefront_size32 1
		.amdhsa_uses_dynamic_stack 0
		.amdhsa_enable_private_segment 0
		.amdhsa_system_sgpr_workgroup_id_x 1
		.amdhsa_system_sgpr_workgroup_id_y 0
		.amdhsa_system_sgpr_workgroup_id_z 0
		.amdhsa_system_sgpr_workgroup_info 0
		.amdhsa_system_vgpr_workitem_id 0
		.amdhsa_next_free_vgpr 1
		.amdhsa_next_free_sgpr 1
		.amdhsa_reserve_vcc 0
		.amdhsa_float_round_mode_32 0
		.amdhsa_float_round_mode_16_64 0
		.amdhsa_float_denorm_mode_32 3
		.amdhsa_float_denorm_mode_16_64 3
		.amdhsa_fp16_overflow 0
		.amdhsa_workgroup_processor_mode 1
		.amdhsa_memory_ordered 1
		.amdhsa_forward_progress 1
		.amdhsa_inst_pref_size 0
		.amdhsa_round_robin_scheduling 0
		.amdhsa_exception_fp_ieee_invalid_op 0
		.amdhsa_exception_fp_denorm_src 0
		.amdhsa_exception_fp_ieee_div_zero 0
		.amdhsa_exception_fp_ieee_overflow 0
		.amdhsa_exception_fp_ieee_underflow 0
		.amdhsa_exception_fp_ieee_inexact 0
		.amdhsa_exception_int_div_zero 0
	.end_amdhsa_kernel
	.section	.text._ZN7rocprim17ROCPRIM_400000_NS6detail17trampoline_kernelINS0_14default_configENS1_27upper_bound_config_selectorIjjEEZNS1_14transform_implILb0ES3_S5_N6thrust23THRUST_200600_302600_NS17counting_iteratorIjNS8_11use_defaultESA_SA_EENS8_6detail15normal_iteratorINS8_10device_ptrIjEEEEZNS1_13binary_searchIS3_S5_SG_SB_SG_NS1_21upper_bound_search_opENSC_16wrapped_functionINS0_4lessIvEEbEEEE10hipError_tPvRmT1_T2_T3_mmT4_T5_P12ihipStream_tbEUlRKjE_EESN_SR_SS_mST_SW_bEUlT_E_NS1_11comp_targetILNS1_3genE0ELNS1_11target_archE4294967295ELNS1_3gpuE0ELNS1_3repE0EEENS1_30default_config_static_selectorELNS0_4arch9wavefront6targetE0EEEvSQ_,"axG",@progbits,_ZN7rocprim17ROCPRIM_400000_NS6detail17trampoline_kernelINS0_14default_configENS1_27upper_bound_config_selectorIjjEEZNS1_14transform_implILb0ES3_S5_N6thrust23THRUST_200600_302600_NS17counting_iteratorIjNS8_11use_defaultESA_SA_EENS8_6detail15normal_iteratorINS8_10device_ptrIjEEEEZNS1_13binary_searchIS3_S5_SG_SB_SG_NS1_21upper_bound_search_opENSC_16wrapped_functionINS0_4lessIvEEbEEEE10hipError_tPvRmT1_T2_T3_mmT4_T5_P12ihipStream_tbEUlRKjE_EESN_SR_SS_mST_SW_bEUlT_E_NS1_11comp_targetILNS1_3genE0ELNS1_11target_archE4294967295ELNS1_3gpuE0ELNS1_3repE0EEENS1_30default_config_static_selectorELNS0_4arch9wavefront6targetE0EEEvSQ_,comdat
.Lfunc_end239:
	.size	_ZN7rocprim17ROCPRIM_400000_NS6detail17trampoline_kernelINS0_14default_configENS1_27upper_bound_config_selectorIjjEEZNS1_14transform_implILb0ES3_S5_N6thrust23THRUST_200600_302600_NS17counting_iteratorIjNS8_11use_defaultESA_SA_EENS8_6detail15normal_iteratorINS8_10device_ptrIjEEEEZNS1_13binary_searchIS3_S5_SG_SB_SG_NS1_21upper_bound_search_opENSC_16wrapped_functionINS0_4lessIvEEbEEEE10hipError_tPvRmT1_T2_T3_mmT4_T5_P12ihipStream_tbEUlRKjE_EESN_SR_SS_mST_SW_bEUlT_E_NS1_11comp_targetILNS1_3genE0ELNS1_11target_archE4294967295ELNS1_3gpuE0ELNS1_3repE0EEENS1_30default_config_static_selectorELNS0_4arch9wavefront6targetE0EEEvSQ_, .Lfunc_end239-_ZN7rocprim17ROCPRIM_400000_NS6detail17trampoline_kernelINS0_14default_configENS1_27upper_bound_config_selectorIjjEEZNS1_14transform_implILb0ES3_S5_N6thrust23THRUST_200600_302600_NS17counting_iteratorIjNS8_11use_defaultESA_SA_EENS8_6detail15normal_iteratorINS8_10device_ptrIjEEEEZNS1_13binary_searchIS3_S5_SG_SB_SG_NS1_21upper_bound_search_opENSC_16wrapped_functionINS0_4lessIvEEbEEEE10hipError_tPvRmT1_T2_T3_mmT4_T5_P12ihipStream_tbEUlRKjE_EESN_SR_SS_mST_SW_bEUlT_E_NS1_11comp_targetILNS1_3genE0ELNS1_11target_archE4294967295ELNS1_3gpuE0ELNS1_3repE0EEENS1_30default_config_static_selectorELNS0_4arch9wavefront6targetE0EEEvSQ_
                                        ; -- End function
	.set _ZN7rocprim17ROCPRIM_400000_NS6detail17trampoline_kernelINS0_14default_configENS1_27upper_bound_config_selectorIjjEEZNS1_14transform_implILb0ES3_S5_N6thrust23THRUST_200600_302600_NS17counting_iteratorIjNS8_11use_defaultESA_SA_EENS8_6detail15normal_iteratorINS8_10device_ptrIjEEEEZNS1_13binary_searchIS3_S5_SG_SB_SG_NS1_21upper_bound_search_opENSC_16wrapped_functionINS0_4lessIvEEbEEEE10hipError_tPvRmT1_T2_T3_mmT4_T5_P12ihipStream_tbEUlRKjE_EESN_SR_SS_mST_SW_bEUlT_E_NS1_11comp_targetILNS1_3genE0ELNS1_11target_archE4294967295ELNS1_3gpuE0ELNS1_3repE0EEENS1_30default_config_static_selectorELNS0_4arch9wavefront6targetE0EEEvSQ_.num_vgpr, 0
	.set _ZN7rocprim17ROCPRIM_400000_NS6detail17trampoline_kernelINS0_14default_configENS1_27upper_bound_config_selectorIjjEEZNS1_14transform_implILb0ES3_S5_N6thrust23THRUST_200600_302600_NS17counting_iteratorIjNS8_11use_defaultESA_SA_EENS8_6detail15normal_iteratorINS8_10device_ptrIjEEEEZNS1_13binary_searchIS3_S5_SG_SB_SG_NS1_21upper_bound_search_opENSC_16wrapped_functionINS0_4lessIvEEbEEEE10hipError_tPvRmT1_T2_T3_mmT4_T5_P12ihipStream_tbEUlRKjE_EESN_SR_SS_mST_SW_bEUlT_E_NS1_11comp_targetILNS1_3genE0ELNS1_11target_archE4294967295ELNS1_3gpuE0ELNS1_3repE0EEENS1_30default_config_static_selectorELNS0_4arch9wavefront6targetE0EEEvSQ_.num_agpr, 0
	.set _ZN7rocprim17ROCPRIM_400000_NS6detail17trampoline_kernelINS0_14default_configENS1_27upper_bound_config_selectorIjjEEZNS1_14transform_implILb0ES3_S5_N6thrust23THRUST_200600_302600_NS17counting_iteratorIjNS8_11use_defaultESA_SA_EENS8_6detail15normal_iteratorINS8_10device_ptrIjEEEEZNS1_13binary_searchIS3_S5_SG_SB_SG_NS1_21upper_bound_search_opENSC_16wrapped_functionINS0_4lessIvEEbEEEE10hipError_tPvRmT1_T2_T3_mmT4_T5_P12ihipStream_tbEUlRKjE_EESN_SR_SS_mST_SW_bEUlT_E_NS1_11comp_targetILNS1_3genE0ELNS1_11target_archE4294967295ELNS1_3gpuE0ELNS1_3repE0EEENS1_30default_config_static_selectorELNS0_4arch9wavefront6targetE0EEEvSQ_.numbered_sgpr, 0
	.set _ZN7rocprim17ROCPRIM_400000_NS6detail17trampoline_kernelINS0_14default_configENS1_27upper_bound_config_selectorIjjEEZNS1_14transform_implILb0ES3_S5_N6thrust23THRUST_200600_302600_NS17counting_iteratorIjNS8_11use_defaultESA_SA_EENS8_6detail15normal_iteratorINS8_10device_ptrIjEEEEZNS1_13binary_searchIS3_S5_SG_SB_SG_NS1_21upper_bound_search_opENSC_16wrapped_functionINS0_4lessIvEEbEEEE10hipError_tPvRmT1_T2_T3_mmT4_T5_P12ihipStream_tbEUlRKjE_EESN_SR_SS_mST_SW_bEUlT_E_NS1_11comp_targetILNS1_3genE0ELNS1_11target_archE4294967295ELNS1_3gpuE0ELNS1_3repE0EEENS1_30default_config_static_selectorELNS0_4arch9wavefront6targetE0EEEvSQ_.num_named_barrier, 0
	.set _ZN7rocprim17ROCPRIM_400000_NS6detail17trampoline_kernelINS0_14default_configENS1_27upper_bound_config_selectorIjjEEZNS1_14transform_implILb0ES3_S5_N6thrust23THRUST_200600_302600_NS17counting_iteratorIjNS8_11use_defaultESA_SA_EENS8_6detail15normal_iteratorINS8_10device_ptrIjEEEEZNS1_13binary_searchIS3_S5_SG_SB_SG_NS1_21upper_bound_search_opENSC_16wrapped_functionINS0_4lessIvEEbEEEE10hipError_tPvRmT1_T2_T3_mmT4_T5_P12ihipStream_tbEUlRKjE_EESN_SR_SS_mST_SW_bEUlT_E_NS1_11comp_targetILNS1_3genE0ELNS1_11target_archE4294967295ELNS1_3gpuE0ELNS1_3repE0EEENS1_30default_config_static_selectorELNS0_4arch9wavefront6targetE0EEEvSQ_.private_seg_size, 0
	.set _ZN7rocprim17ROCPRIM_400000_NS6detail17trampoline_kernelINS0_14default_configENS1_27upper_bound_config_selectorIjjEEZNS1_14transform_implILb0ES3_S5_N6thrust23THRUST_200600_302600_NS17counting_iteratorIjNS8_11use_defaultESA_SA_EENS8_6detail15normal_iteratorINS8_10device_ptrIjEEEEZNS1_13binary_searchIS3_S5_SG_SB_SG_NS1_21upper_bound_search_opENSC_16wrapped_functionINS0_4lessIvEEbEEEE10hipError_tPvRmT1_T2_T3_mmT4_T5_P12ihipStream_tbEUlRKjE_EESN_SR_SS_mST_SW_bEUlT_E_NS1_11comp_targetILNS1_3genE0ELNS1_11target_archE4294967295ELNS1_3gpuE0ELNS1_3repE0EEENS1_30default_config_static_selectorELNS0_4arch9wavefront6targetE0EEEvSQ_.uses_vcc, 0
	.set _ZN7rocprim17ROCPRIM_400000_NS6detail17trampoline_kernelINS0_14default_configENS1_27upper_bound_config_selectorIjjEEZNS1_14transform_implILb0ES3_S5_N6thrust23THRUST_200600_302600_NS17counting_iteratorIjNS8_11use_defaultESA_SA_EENS8_6detail15normal_iteratorINS8_10device_ptrIjEEEEZNS1_13binary_searchIS3_S5_SG_SB_SG_NS1_21upper_bound_search_opENSC_16wrapped_functionINS0_4lessIvEEbEEEE10hipError_tPvRmT1_T2_T3_mmT4_T5_P12ihipStream_tbEUlRKjE_EESN_SR_SS_mST_SW_bEUlT_E_NS1_11comp_targetILNS1_3genE0ELNS1_11target_archE4294967295ELNS1_3gpuE0ELNS1_3repE0EEENS1_30default_config_static_selectorELNS0_4arch9wavefront6targetE0EEEvSQ_.uses_flat_scratch, 0
	.set _ZN7rocprim17ROCPRIM_400000_NS6detail17trampoline_kernelINS0_14default_configENS1_27upper_bound_config_selectorIjjEEZNS1_14transform_implILb0ES3_S5_N6thrust23THRUST_200600_302600_NS17counting_iteratorIjNS8_11use_defaultESA_SA_EENS8_6detail15normal_iteratorINS8_10device_ptrIjEEEEZNS1_13binary_searchIS3_S5_SG_SB_SG_NS1_21upper_bound_search_opENSC_16wrapped_functionINS0_4lessIvEEbEEEE10hipError_tPvRmT1_T2_T3_mmT4_T5_P12ihipStream_tbEUlRKjE_EESN_SR_SS_mST_SW_bEUlT_E_NS1_11comp_targetILNS1_3genE0ELNS1_11target_archE4294967295ELNS1_3gpuE0ELNS1_3repE0EEENS1_30default_config_static_selectorELNS0_4arch9wavefront6targetE0EEEvSQ_.has_dyn_sized_stack, 0
	.set _ZN7rocprim17ROCPRIM_400000_NS6detail17trampoline_kernelINS0_14default_configENS1_27upper_bound_config_selectorIjjEEZNS1_14transform_implILb0ES3_S5_N6thrust23THRUST_200600_302600_NS17counting_iteratorIjNS8_11use_defaultESA_SA_EENS8_6detail15normal_iteratorINS8_10device_ptrIjEEEEZNS1_13binary_searchIS3_S5_SG_SB_SG_NS1_21upper_bound_search_opENSC_16wrapped_functionINS0_4lessIvEEbEEEE10hipError_tPvRmT1_T2_T3_mmT4_T5_P12ihipStream_tbEUlRKjE_EESN_SR_SS_mST_SW_bEUlT_E_NS1_11comp_targetILNS1_3genE0ELNS1_11target_archE4294967295ELNS1_3gpuE0ELNS1_3repE0EEENS1_30default_config_static_selectorELNS0_4arch9wavefront6targetE0EEEvSQ_.has_recursion, 0
	.set _ZN7rocprim17ROCPRIM_400000_NS6detail17trampoline_kernelINS0_14default_configENS1_27upper_bound_config_selectorIjjEEZNS1_14transform_implILb0ES3_S5_N6thrust23THRUST_200600_302600_NS17counting_iteratorIjNS8_11use_defaultESA_SA_EENS8_6detail15normal_iteratorINS8_10device_ptrIjEEEEZNS1_13binary_searchIS3_S5_SG_SB_SG_NS1_21upper_bound_search_opENSC_16wrapped_functionINS0_4lessIvEEbEEEE10hipError_tPvRmT1_T2_T3_mmT4_T5_P12ihipStream_tbEUlRKjE_EESN_SR_SS_mST_SW_bEUlT_E_NS1_11comp_targetILNS1_3genE0ELNS1_11target_archE4294967295ELNS1_3gpuE0ELNS1_3repE0EEENS1_30default_config_static_selectorELNS0_4arch9wavefront6targetE0EEEvSQ_.has_indirect_call, 0
	.section	.AMDGPU.csdata,"",@progbits
; Kernel info:
; codeLenInByte = 0
; TotalNumSgprs: 0
; NumVgprs: 0
; ScratchSize: 0
; MemoryBound: 0
; FloatMode: 240
; IeeeMode: 1
; LDSByteSize: 0 bytes/workgroup (compile time only)
; SGPRBlocks: 0
; VGPRBlocks: 0
; NumSGPRsForWavesPerEU: 1
; NumVGPRsForWavesPerEU: 1
; Occupancy: 16
; WaveLimiterHint : 0
; COMPUTE_PGM_RSRC2:SCRATCH_EN: 0
; COMPUTE_PGM_RSRC2:USER_SGPR: 2
; COMPUTE_PGM_RSRC2:TRAP_HANDLER: 0
; COMPUTE_PGM_RSRC2:TGID_X_EN: 1
; COMPUTE_PGM_RSRC2:TGID_Y_EN: 0
; COMPUTE_PGM_RSRC2:TGID_Z_EN: 0
; COMPUTE_PGM_RSRC2:TIDIG_COMP_CNT: 0
	.section	.text._ZN7rocprim17ROCPRIM_400000_NS6detail17trampoline_kernelINS0_14default_configENS1_27upper_bound_config_selectorIjjEEZNS1_14transform_implILb0ES3_S5_N6thrust23THRUST_200600_302600_NS17counting_iteratorIjNS8_11use_defaultESA_SA_EENS8_6detail15normal_iteratorINS8_10device_ptrIjEEEEZNS1_13binary_searchIS3_S5_SG_SB_SG_NS1_21upper_bound_search_opENSC_16wrapped_functionINS0_4lessIvEEbEEEE10hipError_tPvRmT1_T2_T3_mmT4_T5_P12ihipStream_tbEUlRKjE_EESN_SR_SS_mST_SW_bEUlT_E_NS1_11comp_targetILNS1_3genE5ELNS1_11target_archE942ELNS1_3gpuE9ELNS1_3repE0EEENS1_30default_config_static_selectorELNS0_4arch9wavefront6targetE0EEEvSQ_,"axG",@progbits,_ZN7rocprim17ROCPRIM_400000_NS6detail17trampoline_kernelINS0_14default_configENS1_27upper_bound_config_selectorIjjEEZNS1_14transform_implILb0ES3_S5_N6thrust23THRUST_200600_302600_NS17counting_iteratorIjNS8_11use_defaultESA_SA_EENS8_6detail15normal_iteratorINS8_10device_ptrIjEEEEZNS1_13binary_searchIS3_S5_SG_SB_SG_NS1_21upper_bound_search_opENSC_16wrapped_functionINS0_4lessIvEEbEEEE10hipError_tPvRmT1_T2_T3_mmT4_T5_P12ihipStream_tbEUlRKjE_EESN_SR_SS_mST_SW_bEUlT_E_NS1_11comp_targetILNS1_3genE5ELNS1_11target_archE942ELNS1_3gpuE9ELNS1_3repE0EEENS1_30default_config_static_selectorELNS0_4arch9wavefront6targetE0EEEvSQ_,comdat
	.protected	_ZN7rocprim17ROCPRIM_400000_NS6detail17trampoline_kernelINS0_14default_configENS1_27upper_bound_config_selectorIjjEEZNS1_14transform_implILb0ES3_S5_N6thrust23THRUST_200600_302600_NS17counting_iteratorIjNS8_11use_defaultESA_SA_EENS8_6detail15normal_iteratorINS8_10device_ptrIjEEEEZNS1_13binary_searchIS3_S5_SG_SB_SG_NS1_21upper_bound_search_opENSC_16wrapped_functionINS0_4lessIvEEbEEEE10hipError_tPvRmT1_T2_T3_mmT4_T5_P12ihipStream_tbEUlRKjE_EESN_SR_SS_mST_SW_bEUlT_E_NS1_11comp_targetILNS1_3genE5ELNS1_11target_archE942ELNS1_3gpuE9ELNS1_3repE0EEENS1_30default_config_static_selectorELNS0_4arch9wavefront6targetE0EEEvSQ_ ; -- Begin function _ZN7rocprim17ROCPRIM_400000_NS6detail17trampoline_kernelINS0_14default_configENS1_27upper_bound_config_selectorIjjEEZNS1_14transform_implILb0ES3_S5_N6thrust23THRUST_200600_302600_NS17counting_iteratorIjNS8_11use_defaultESA_SA_EENS8_6detail15normal_iteratorINS8_10device_ptrIjEEEEZNS1_13binary_searchIS3_S5_SG_SB_SG_NS1_21upper_bound_search_opENSC_16wrapped_functionINS0_4lessIvEEbEEEE10hipError_tPvRmT1_T2_T3_mmT4_T5_P12ihipStream_tbEUlRKjE_EESN_SR_SS_mST_SW_bEUlT_E_NS1_11comp_targetILNS1_3genE5ELNS1_11target_archE942ELNS1_3gpuE9ELNS1_3repE0EEENS1_30default_config_static_selectorELNS0_4arch9wavefront6targetE0EEEvSQ_
	.globl	_ZN7rocprim17ROCPRIM_400000_NS6detail17trampoline_kernelINS0_14default_configENS1_27upper_bound_config_selectorIjjEEZNS1_14transform_implILb0ES3_S5_N6thrust23THRUST_200600_302600_NS17counting_iteratorIjNS8_11use_defaultESA_SA_EENS8_6detail15normal_iteratorINS8_10device_ptrIjEEEEZNS1_13binary_searchIS3_S5_SG_SB_SG_NS1_21upper_bound_search_opENSC_16wrapped_functionINS0_4lessIvEEbEEEE10hipError_tPvRmT1_T2_T3_mmT4_T5_P12ihipStream_tbEUlRKjE_EESN_SR_SS_mST_SW_bEUlT_E_NS1_11comp_targetILNS1_3genE5ELNS1_11target_archE942ELNS1_3gpuE9ELNS1_3repE0EEENS1_30default_config_static_selectorELNS0_4arch9wavefront6targetE0EEEvSQ_
	.p2align	8
	.type	_ZN7rocprim17ROCPRIM_400000_NS6detail17trampoline_kernelINS0_14default_configENS1_27upper_bound_config_selectorIjjEEZNS1_14transform_implILb0ES3_S5_N6thrust23THRUST_200600_302600_NS17counting_iteratorIjNS8_11use_defaultESA_SA_EENS8_6detail15normal_iteratorINS8_10device_ptrIjEEEEZNS1_13binary_searchIS3_S5_SG_SB_SG_NS1_21upper_bound_search_opENSC_16wrapped_functionINS0_4lessIvEEbEEEE10hipError_tPvRmT1_T2_T3_mmT4_T5_P12ihipStream_tbEUlRKjE_EESN_SR_SS_mST_SW_bEUlT_E_NS1_11comp_targetILNS1_3genE5ELNS1_11target_archE942ELNS1_3gpuE9ELNS1_3repE0EEENS1_30default_config_static_selectorELNS0_4arch9wavefront6targetE0EEEvSQ_,@function
_ZN7rocprim17ROCPRIM_400000_NS6detail17trampoline_kernelINS0_14default_configENS1_27upper_bound_config_selectorIjjEEZNS1_14transform_implILb0ES3_S5_N6thrust23THRUST_200600_302600_NS17counting_iteratorIjNS8_11use_defaultESA_SA_EENS8_6detail15normal_iteratorINS8_10device_ptrIjEEEEZNS1_13binary_searchIS3_S5_SG_SB_SG_NS1_21upper_bound_search_opENSC_16wrapped_functionINS0_4lessIvEEbEEEE10hipError_tPvRmT1_T2_T3_mmT4_T5_P12ihipStream_tbEUlRKjE_EESN_SR_SS_mST_SW_bEUlT_E_NS1_11comp_targetILNS1_3genE5ELNS1_11target_archE942ELNS1_3gpuE9ELNS1_3repE0EEENS1_30default_config_static_selectorELNS0_4arch9wavefront6targetE0EEEvSQ_: ; @_ZN7rocprim17ROCPRIM_400000_NS6detail17trampoline_kernelINS0_14default_configENS1_27upper_bound_config_selectorIjjEEZNS1_14transform_implILb0ES3_S5_N6thrust23THRUST_200600_302600_NS17counting_iteratorIjNS8_11use_defaultESA_SA_EENS8_6detail15normal_iteratorINS8_10device_ptrIjEEEEZNS1_13binary_searchIS3_S5_SG_SB_SG_NS1_21upper_bound_search_opENSC_16wrapped_functionINS0_4lessIvEEbEEEE10hipError_tPvRmT1_T2_T3_mmT4_T5_P12ihipStream_tbEUlRKjE_EESN_SR_SS_mST_SW_bEUlT_E_NS1_11comp_targetILNS1_3genE5ELNS1_11target_archE942ELNS1_3gpuE9ELNS1_3repE0EEENS1_30default_config_static_selectorELNS0_4arch9wavefront6targetE0EEEvSQ_
; %bb.0:
	.section	.rodata,"a",@progbits
	.p2align	6, 0x0
	.amdhsa_kernel _ZN7rocprim17ROCPRIM_400000_NS6detail17trampoline_kernelINS0_14default_configENS1_27upper_bound_config_selectorIjjEEZNS1_14transform_implILb0ES3_S5_N6thrust23THRUST_200600_302600_NS17counting_iteratorIjNS8_11use_defaultESA_SA_EENS8_6detail15normal_iteratorINS8_10device_ptrIjEEEEZNS1_13binary_searchIS3_S5_SG_SB_SG_NS1_21upper_bound_search_opENSC_16wrapped_functionINS0_4lessIvEEbEEEE10hipError_tPvRmT1_T2_T3_mmT4_T5_P12ihipStream_tbEUlRKjE_EESN_SR_SS_mST_SW_bEUlT_E_NS1_11comp_targetILNS1_3genE5ELNS1_11target_archE942ELNS1_3gpuE9ELNS1_3repE0EEENS1_30default_config_static_selectorELNS0_4arch9wavefront6targetE0EEEvSQ_
		.amdhsa_group_segment_fixed_size 0
		.amdhsa_private_segment_fixed_size 0
		.amdhsa_kernarg_size 56
		.amdhsa_user_sgpr_count 2
		.amdhsa_user_sgpr_dispatch_ptr 0
		.amdhsa_user_sgpr_queue_ptr 0
		.amdhsa_user_sgpr_kernarg_segment_ptr 1
		.amdhsa_user_sgpr_dispatch_id 0
		.amdhsa_user_sgpr_private_segment_size 0
		.amdhsa_wavefront_size32 1
		.amdhsa_uses_dynamic_stack 0
		.amdhsa_enable_private_segment 0
		.amdhsa_system_sgpr_workgroup_id_x 1
		.amdhsa_system_sgpr_workgroup_id_y 0
		.amdhsa_system_sgpr_workgroup_id_z 0
		.amdhsa_system_sgpr_workgroup_info 0
		.amdhsa_system_vgpr_workitem_id 0
		.amdhsa_next_free_vgpr 1
		.amdhsa_next_free_sgpr 1
		.amdhsa_reserve_vcc 0
		.amdhsa_float_round_mode_32 0
		.amdhsa_float_round_mode_16_64 0
		.amdhsa_float_denorm_mode_32 3
		.amdhsa_float_denorm_mode_16_64 3
		.amdhsa_fp16_overflow 0
		.amdhsa_workgroup_processor_mode 1
		.amdhsa_memory_ordered 1
		.amdhsa_forward_progress 1
		.amdhsa_inst_pref_size 0
		.amdhsa_round_robin_scheduling 0
		.amdhsa_exception_fp_ieee_invalid_op 0
		.amdhsa_exception_fp_denorm_src 0
		.amdhsa_exception_fp_ieee_div_zero 0
		.amdhsa_exception_fp_ieee_overflow 0
		.amdhsa_exception_fp_ieee_underflow 0
		.amdhsa_exception_fp_ieee_inexact 0
		.amdhsa_exception_int_div_zero 0
	.end_amdhsa_kernel
	.section	.text._ZN7rocprim17ROCPRIM_400000_NS6detail17trampoline_kernelINS0_14default_configENS1_27upper_bound_config_selectorIjjEEZNS1_14transform_implILb0ES3_S5_N6thrust23THRUST_200600_302600_NS17counting_iteratorIjNS8_11use_defaultESA_SA_EENS8_6detail15normal_iteratorINS8_10device_ptrIjEEEEZNS1_13binary_searchIS3_S5_SG_SB_SG_NS1_21upper_bound_search_opENSC_16wrapped_functionINS0_4lessIvEEbEEEE10hipError_tPvRmT1_T2_T3_mmT4_T5_P12ihipStream_tbEUlRKjE_EESN_SR_SS_mST_SW_bEUlT_E_NS1_11comp_targetILNS1_3genE5ELNS1_11target_archE942ELNS1_3gpuE9ELNS1_3repE0EEENS1_30default_config_static_selectorELNS0_4arch9wavefront6targetE0EEEvSQ_,"axG",@progbits,_ZN7rocprim17ROCPRIM_400000_NS6detail17trampoline_kernelINS0_14default_configENS1_27upper_bound_config_selectorIjjEEZNS1_14transform_implILb0ES3_S5_N6thrust23THRUST_200600_302600_NS17counting_iteratorIjNS8_11use_defaultESA_SA_EENS8_6detail15normal_iteratorINS8_10device_ptrIjEEEEZNS1_13binary_searchIS3_S5_SG_SB_SG_NS1_21upper_bound_search_opENSC_16wrapped_functionINS0_4lessIvEEbEEEE10hipError_tPvRmT1_T2_T3_mmT4_T5_P12ihipStream_tbEUlRKjE_EESN_SR_SS_mST_SW_bEUlT_E_NS1_11comp_targetILNS1_3genE5ELNS1_11target_archE942ELNS1_3gpuE9ELNS1_3repE0EEENS1_30default_config_static_selectorELNS0_4arch9wavefront6targetE0EEEvSQ_,comdat
.Lfunc_end240:
	.size	_ZN7rocprim17ROCPRIM_400000_NS6detail17trampoline_kernelINS0_14default_configENS1_27upper_bound_config_selectorIjjEEZNS1_14transform_implILb0ES3_S5_N6thrust23THRUST_200600_302600_NS17counting_iteratorIjNS8_11use_defaultESA_SA_EENS8_6detail15normal_iteratorINS8_10device_ptrIjEEEEZNS1_13binary_searchIS3_S5_SG_SB_SG_NS1_21upper_bound_search_opENSC_16wrapped_functionINS0_4lessIvEEbEEEE10hipError_tPvRmT1_T2_T3_mmT4_T5_P12ihipStream_tbEUlRKjE_EESN_SR_SS_mST_SW_bEUlT_E_NS1_11comp_targetILNS1_3genE5ELNS1_11target_archE942ELNS1_3gpuE9ELNS1_3repE0EEENS1_30default_config_static_selectorELNS0_4arch9wavefront6targetE0EEEvSQ_, .Lfunc_end240-_ZN7rocprim17ROCPRIM_400000_NS6detail17trampoline_kernelINS0_14default_configENS1_27upper_bound_config_selectorIjjEEZNS1_14transform_implILb0ES3_S5_N6thrust23THRUST_200600_302600_NS17counting_iteratorIjNS8_11use_defaultESA_SA_EENS8_6detail15normal_iteratorINS8_10device_ptrIjEEEEZNS1_13binary_searchIS3_S5_SG_SB_SG_NS1_21upper_bound_search_opENSC_16wrapped_functionINS0_4lessIvEEbEEEE10hipError_tPvRmT1_T2_T3_mmT4_T5_P12ihipStream_tbEUlRKjE_EESN_SR_SS_mST_SW_bEUlT_E_NS1_11comp_targetILNS1_3genE5ELNS1_11target_archE942ELNS1_3gpuE9ELNS1_3repE0EEENS1_30default_config_static_selectorELNS0_4arch9wavefront6targetE0EEEvSQ_
                                        ; -- End function
	.set _ZN7rocprim17ROCPRIM_400000_NS6detail17trampoline_kernelINS0_14default_configENS1_27upper_bound_config_selectorIjjEEZNS1_14transform_implILb0ES3_S5_N6thrust23THRUST_200600_302600_NS17counting_iteratorIjNS8_11use_defaultESA_SA_EENS8_6detail15normal_iteratorINS8_10device_ptrIjEEEEZNS1_13binary_searchIS3_S5_SG_SB_SG_NS1_21upper_bound_search_opENSC_16wrapped_functionINS0_4lessIvEEbEEEE10hipError_tPvRmT1_T2_T3_mmT4_T5_P12ihipStream_tbEUlRKjE_EESN_SR_SS_mST_SW_bEUlT_E_NS1_11comp_targetILNS1_3genE5ELNS1_11target_archE942ELNS1_3gpuE9ELNS1_3repE0EEENS1_30default_config_static_selectorELNS0_4arch9wavefront6targetE0EEEvSQ_.num_vgpr, 0
	.set _ZN7rocprim17ROCPRIM_400000_NS6detail17trampoline_kernelINS0_14default_configENS1_27upper_bound_config_selectorIjjEEZNS1_14transform_implILb0ES3_S5_N6thrust23THRUST_200600_302600_NS17counting_iteratorIjNS8_11use_defaultESA_SA_EENS8_6detail15normal_iteratorINS8_10device_ptrIjEEEEZNS1_13binary_searchIS3_S5_SG_SB_SG_NS1_21upper_bound_search_opENSC_16wrapped_functionINS0_4lessIvEEbEEEE10hipError_tPvRmT1_T2_T3_mmT4_T5_P12ihipStream_tbEUlRKjE_EESN_SR_SS_mST_SW_bEUlT_E_NS1_11comp_targetILNS1_3genE5ELNS1_11target_archE942ELNS1_3gpuE9ELNS1_3repE0EEENS1_30default_config_static_selectorELNS0_4arch9wavefront6targetE0EEEvSQ_.num_agpr, 0
	.set _ZN7rocprim17ROCPRIM_400000_NS6detail17trampoline_kernelINS0_14default_configENS1_27upper_bound_config_selectorIjjEEZNS1_14transform_implILb0ES3_S5_N6thrust23THRUST_200600_302600_NS17counting_iteratorIjNS8_11use_defaultESA_SA_EENS8_6detail15normal_iteratorINS8_10device_ptrIjEEEEZNS1_13binary_searchIS3_S5_SG_SB_SG_NS1_21upper_bound_search_opENSC_16wrapped_functionINS0_4lessIvEEbEEEE10hipError_tPvRmT1_T2_T3_mmT4_T5_P12ihipStream_tbEUlRKjE_EESN_SR_SS_mST_SW_bEUlT_E_NS1_11comp_targetILNS1_3genE5ELNS1_11target_archE942ELNS1_3gpuE9ELNS1_3repE0EEENS1_30default_config_static_selectorELNS0_4arch9wavefront6targetE0EEEvSQ_.numbered_sgpr, 0
	.set _ZN7rocprim17ROCPRIM_400000_NS6detail17trampoline_kernelINS0_14default_configENS1_27upper_bound_config_selectorIjjEEZNS1_14transform_implILb0ES3_S5_N6thrust23THRUST_200600_302600_NS17counting_iteratorIjNS8_11use_defaultESA_SA_EENS8_6detail15normal_iteratorINS8_10device_ptrIjEEEEZNS1_13binary_searchIS3_S5_SG_SB_SG_NS1_21upper_bound_search_opENSC_16wrapped_functionINS0_4lessIvEEbEEEE10hipError_tPvRmT1_T2_T3_mmT4_T5_P12ihipStream_tbEUlRKjE_EESN_SR_SS_mST_SW_bEUlT_E_NS1_11comp_targetILNS1_3genE5ELNS1_11target_archE942ELNS1_3gpuE9ELNS1_3repE0EEENS1_30default_config_static_selectorELNS0_4arch9wavefront6targetE0EEEvSQ_.num_named_barrier, 0
	.set _ZN7rocprim17ROCPRIM_400000_NS6detail17trampoline_kernelINS0_14default_configENS1_27upper_bound_config_selectorIjjEEZNS1_14transform_implILb0ES3_S5_N6thrust23THRUST_200600_302600_NS17counting_iteratorIjNS8_11use_defaultESA_SA_EENS8_6detail15normal_iteratorINS8_10device_ptrIjEEEEZNS1_13binary_searchIS3_S5_SG_SB_SG_NS1_21upper_bound_search_opENSC_16wrapped_functionINS0_4lessIvEEbEEEE10hipError_tPvRmT1_T2_T3_mmT4_T5_P12ihipStream_tbEUlRKjE_EESN_SR_SS_mST_SW_bEUlT_E_NS1_11comp_targetILNS1_3genE5ELNS1_11target_archE942ELNS1_3gpuE9ELNS1_3repE0EEENS1_30default_config_static_selectorELNS0_4arch9wavefront6targetE0EEEvSQ_.private_seg_size, 0
	.set _ZN7rocprim17ROCPRIM_400000_NS6detail17trampoline_kernelINS0_14default_configENS1_27upper_bound_config_selectorIjjEEZNS1_14transform_implILb0ES3_S5_N6thrust23THRUST_200600_302600_NS17counting_iteratorIjNS8_11use_defaultESA_SA_EENS8_6detail15normal_iteratorINS8_10device_ptrIjEEEEZNS1_13binary_searchIS3_S5_SG_SB_SG_NS1_21upper_bound_search_opENSC_16wrapped_functionINS0_4lessIvEEbEEEE10hipError_tPvRmT1_T2_T3_mmT4_T5_P12ihipStream_tbEUlRKjE_EESN_SR_SS_mST_SW_bEUlT_E_NS1_11comp_targetILNS1_3genE5ELNS1_11target_archE942ELNS1_3gpuE9ELNS1_3repE0EEENS1_30default_config_static_selectorELNS0_4arch9wavefront6targetE0EEEvSQ_.uses_vcc, 0
	.set _ZN7rocprim17ROCPRIM_400000_NS6detail17trampoline_kernelINS0_14default_configENS1_27upper_bound_config_selectorIjjEEZNS1_14transform_implILb0ES3_S5_N6thrust23THRUST_200600_302600_NS17counting_iteratorIjNS8_11use_defaultESA_SA_EENS8_6detail15normal_iteratorINS8_10device_ptrIjEEEEZNS1_13binary_searchIS3_S5_SG_SB_SG_NS1_21upper_bound_search_opENSC_16wrapped_functionINS0_4lessIvEEbEEEE10hipError_tPvRmT1_T2_T3_mmT4_T5_P12ihipStream_tbEUlRKjE_EESN_SR_SS_mST_SW_bEUlT_E_NS1_11comp_targetILNS1_3genE5ELNS1_11target_archE942ELNS1_3gpuE9ELNS1_3repE0EEENS1_30default_config_static_selectorELNS0_4arch9wavefront6targetE0EEEvSQ_.uses_flat_scratch, 0
	.set _ZN7rocprim17ROCPRIM_400000_NS6detail17trampoline_kernelINS0_14default_configENS1_27upper_bound_config_selectorIjjEEZNS1_14transform_implILb0ES3_S5_N6thrust23THRUST_200600_302600_NS17counting_iteratorIjNS8_11use_defaultESA_SA_EENS8_6detail15normal_iteratorINS8_10device_ptrIjEEEEZNS1_13binary_searchIS3_S5_SG_SB_SG_NS1_21upper_bound_search_opENSC_16wrapped_functionINS0_4lessIvEEbEEEE10hipError_tPvRmT1_T2_T3_mmT4_T5_P12ihipStream_tbEUlRKjE_EESN_SR_SS_mST_SW_bEUlT_E_NS1_11comp_targetILNS1_3genE5ELNS1_11target_archE942ELNS1_3gpuE9ELNS1_3repE0EEENS1_30default_config_static_selectorELNS0_4arch9wavefront6targetE0EEEvSQ_.has_dyn_sized_stack, 0
	.set _ZN7rocprim17ROCPRIM_400000_NS6detail17trampoline_kernelINS0_14default_configENS1_27upper_bound_config_selectorIjjEEZNS1_14transform_implILb0ES3_S5_N6thrust23THRUST_200600_302600_NS17counting_iteratorIjNS8_11use_defaultESA_SA_EENS8_6detail15normal_iteratorINS8_10device_ptrIjEEEEZNS1_13binary_searchIS3_S5_SG_SB_SG_NS1_21upper_bound_search_opENSC_16wrapped_functionINS0_4lessIvEEbEEEE10hipError_tPvRmT1_T2_T3_mmT4_T5_P12ihipStream_tbEUlRKjE_EESN_SR_SS_mST_SW_bEUlT_E_NS1_11comp_targetILNS1_3genE5ELNS1_11target_archE942ELNS1_3gpuE9ELNS1_3repE0EEENS1_30default_config_static_selectorELNS0_4arch9wavefront6targetE0EEEvSQ_.has_recursion, 0
	.set _ZN7rocprim17ROCPRIM_400000_NS6detail17trampoline_kernelINS0_14default_configENS1_27upper_bound_config_selectorIjjEEZNS1_14transform_implILb0ES3_S5_N6thrust23THRUST_200600_302600_NS17counting_iteratorIjNS8_11use_defaultESA_SA_EENS8_6detail15normal_iteratorINS8_10device_ptrIjEEEEZNS1_13binary_searchIS3_S5_SG_SB_SG_NS1_21upper_bound_search_opENSC_16wrapped_functionINS0_4lessIvEEbEEEE10hipError_tPvRmT1_T2_T3_mmT4_T5_P12ihipStream_tbEUlRKjE_EESN_SR_SS_mST_SW_bEUlT_E_NS1_11comp_targetILNS1_3genE5ELNS1_11target_archE942ELNS1_3gpuE9ELNS1_3repE0EEENS1_30default_config_static_selectorELNS0_4arch9wavefront6targetE0EEEvSQ_.has_indirect_call, 0
	.section	.AMDGPU.csdata,"",@progbits
; Kernel info:
; codeLenInByte = 0
; TotalNumSgprs: 0
; NumVgprs: 0
; ScratchSize: 0
; MemoryBound: 0
; FloatMode: 240
; IeeeMode: 1
; LDSByteSize: 0 bytes/workgroup (compile time only)
; SGPRBlocks: 0
; VGPRBlocks: 0
; NumSGPRsForWavesPerEU: 1
; NumVGPRsForWavesPerEU: 1
; Occupancy: 16
; WaveLimiterHint : 0
; COMPUTE_PGM_RSRC2:SCRATCH_EN: 0
; COMPUTE_PGM_RSRC2:USER_SGPR: 2
; COMPUTE_PGM_RSRC2:TRAP_HANDLER: 0
; COMPUTE_PGM_RSRC2:TGID_X_EN: 1
; COMPUTE_PGM_RSRC2:TGID_Y_EN: 0
; COMPUTE_PGM_RSRC2:TGID_Z_EN: 0
; COMPUTE_PGM_RSRC2:TIDIG_COMP_CNT: 0
	.section	.text._ZN7rocprim17ROCPRIM_400000_NS6detail17trampoline_kernelINS0_14default_configENS1_27upper_bound_config_selectorIjjEEZNS1_14transform_implILb0ES3_S5_N6thrust23THRUST_200600_302600_NS17counting_iteratorIjNS8_11use_defaultESA_SA_EENS8_6detail15normal_iteratorINS8_10device_ptrIjEEEEZNS1_13binary_searchIS3_S5_SG_SB_SG_NS1_21upper_bound_search_opENSC_16wrapped_functionINS0_4lessIvEEbEEEE10hipError_tPvRmT1_T2_T3_mmT4_T5_P12ihipStream_tbEUlRKjE_EESN_SR_SS_mST_SW_bEUlT_E_NS1_11comp_targetILNS1_3genE4ELNS1_11target_archE910ELNS1_3gpuE8ELNS1_3repE0EEENS1_30default_config_static_selectorELNS0_4arch9wavefront6targetE0EEEvSQ_,"axG",@progbits,_ZN7rocprim17ROCPRIM_400000_NS6detail17trampoline_kernelINS0_14default_configENS1_27upper_bound_config_selectorIjjEEZNS1_14transform_implILb0ES3_S5_N6thrust23THRUST_200600_302600_NS17counting_iteratorIjNS8_11use_defaultESA_SA_EENS8_6detail15normal_iteratorINS8_10device_ptrIjEEEEZNS1_13binary_searchIS3_S5_SG_SB_SG_NS1_21upper_bound_search_opENSC_16wrapped_functionINS0_4lessIvEEbEEEE10hipError_tPvRmT1_T2_T3_mmT4_T5_P12ihipStream_tbEUlRKjE_EESN_SR_SS_mST_SW_bEUlT_E_NS1_11comp_targetILNS1_3genE4ELNS1_11target_archE910ELNS1_3gpuE8ELNS1_3repE0EEENS1_30default_config_static_selectorELNS0_4arch9wavefront6targetE0EEEvSQ_,comdat
	.protected	_ZN7rocprim17ROCPRIM_400000_NS6detail17trampoline_kernelINS0_14default_configENS1_27upper_bound_config_selectorIjjEEZNS1_14transform_implILb0ES3_S5_N6thrust23THRUST_200600_302600_NS17counting_iteratorIjNS8_11use_defaultESA_SA_EENS8_6detail15normal_iteratorINS8_10device_ptrIjEEEEZNS1_13binary_searchIS3_S5_SG_SB_SG_NS1_21upper_bound_search_opENSC_16wrapped_functionINS0_4lessIvEEbEEEE10hipError_tPvRmT1_T2_T3_mmT4_T5_P12ihipStream_tbEUlRKjE_EESN_SR_SS_mST_SW_bEUlT_E_NS1_11comp_targetILNS1_3genE4ELNS1_11target_archE910ELNS1_3gpuE8ELNS1_3repE0EEENS1_30default_config_static_selectorELNS0_4arch9wavefront6targetE0EEEvSQ_ ; -- Begin function _ZN7rocprim17ROCPRIM_400000_NS6detail17trampoline_kernelINS0_14default_configENS1_27upper_bound_config_selectorIjjEEZNS1_14transform_implILb0ES3_S5_N6thrust23THRUST_200600_302600_NS17counting_iteratorIjNS8_11use_defaultESA_SA_EENS8_6detail15normal_iteratorINS8_10device_ptrIjEEEEZNS1_13binary_searchIS3_S5_SG_SB_SG_NS1_21upper_bound_search_opENSC_16wrapped_functionINS0_4lessIvEEbEEEE10hipError_tPvRmT1_T2_T3_mmT4_T5_P12ihipStream_tbEUlRKjE_EESN_SR_SS_mST_SW_bEUlT_E_NS1_11comp_targetILNS1_3genE4ELNS1_11target_archE910ELNS1_3gpuE8ELNS1_3repE0EEENS1_30default_config_static_selectorELNS0_4arch9wavefront6targetE0EEEvSQ_
	.globl	_ZN7rocprim17ROCPRIM_400000_NS6detail17trampoline_kernelINS0_14default_configENS1_27upper_bound_config_selectorIjjEEZNS1_14transform_implILb0ES3_S5_N6thrust23THRUST_200600_302600_NS17counting_iteratorIjNS8_11use_defaultESA_SA_EENS8_6detail15normal_iteratorINS8_10device_ptrIjEEEEZNS1_13binary_searchIS3_S5_SG_SB_SG_NS1_21upper_bound_search_opENSC_16wrapped_functionINS0_4lessIvEEbEEEE10hipError_tPvRmT1_T2_T3_mmT4_T5_P12ihipStream_tbEUlRKjE_EESN_SR_SS_mST_SW_bEUlT_E_NS1_11comp_targetILNS1_3genE4ELNS1_11target_archE910ELNS1_3gpuE8ELNS1_3repE0EEENS1_30default_config_static_selectorELNS0_4arch9wavefront6targetE0EEEvSQ_
	.p2align	8
	.type	_ZN7rocprim17ROCPRIM_400000_NS6detail17trampoline_kernelINS0_14default_configENS1_27upper_bound_config_selectorIjjEEZNS1_14transform_implILb0ES3_S5_N6thrust23THRUST_200600_302600_NS17counting_iteratorIjNS8_11use_defaultESA_SA_EENS8_6detail15normal_iteratorINS8_10device_ptrIjEEEEZNS1_13binary_searchIS3_S5_SG_SB_SG_NS1_21upper_bound_search_opENSC_16wrapped_functionINS0_4lessIvEEbEEEE10hipError_tPvRmT1_T2_T3_mmT4_T5_P12ihipStream_tbEUlRKjE_EESN_SR_SS_mST_SW_bEUlT_E_NS1_11comp_targetILNS1_3genE4ELNS1_11target_archE910ELNS1_3gpuE8ELNS1_3repE0EEENS1_30default_config_static_selectorELNS0_4arch9wavefront6targetE0EEEvSQ_,@function
_ZN7rocprim17ROCPRIM_400000_NS6detail17trampoline_kernelINS0_14default_configENS1_27upper_bound_config_selectorIjjEEZNS1_14transform_implILb0ES3_S5_N6thrust23THRUST_200600_302600_NS17counting_iteratorIjNS8_11use_defaultESA_SA_EENS8_6detail15normal_iteratorINS8_10device_ptrIjEEEEZNS1_13binary_searchIS3_S5_SG_SB_SG_NS1_21upper_bound_search_opENSC_16wrapped_functionINS0_4lessIvEEbEEEE10hipError_tPvRmT1_T2_T3_mmT4_T5_P12ihipStream_tbEUlRKjE_EESN_SR_SS_mST_SW_bEUlT_E_NS1_11comp_targetILNS1_3genE4ELNS1_11target_archE910ELNS1_3gpuE8ELNS1_3repE0EEENS1_30default_config_static_selectorELNS0_4arch9wavefront6targetE0EEEvSQ_: ; @_ZN7rocprim17ROCPRIM_400000_NS6detail17trampoline_kernelINS0_14default_configENS1_27upper_bound_config_selectorIjjEEZNS1_14transform_implILb0ES3_S5_N6thrust23THRUST_200600_302600_NS17counting_iteratorIjNS8_11use_defaultESA_SA_EENS8_6detail15normal_iteratorINS8_10device_ptrIjEEEEZNS1_13binary_searchIS3_S5_SG_SB_SG_NS1_21upper_bound_search_opENSC_16wrapped_functionINS0_4lessIvEEbEEEE10hipError_tPvRmT1_T2_T3_mmT4_T5_P12ihipStream_tbEUlRKjE_EESN_SR_SS_mST_SW_bEUlT_E_NS1_11comp_targetILNS1_3genE4ELNS1_11target_archE910ELNS1_3gpuE8ELNS1_3repE0EEENS1_30default_config_static_selectorELNS0_4arch9wavefront6targetE0EEEvSQ_
; %bb.0:
	.section	.rodata,"a",@progbits
	.p2align	6, 0x0
	.amdhsa_kernel _ZN7rocprim17ROCPRIM_400000_NS6detail17trampoline_kernelINS0_14default_configENS1_27upper_bound_config_selectorIjjEEZNS1_14transform_implILb0ES3_S5_N6thrust23THRUST_200600_302600_NS17counting_iteratorIjNS8_11use_defaultESA_SA_EENS8_6detail15normal_iteratorINS8_10device_ptrIjEEEEZNS1_13binary_searchIS3_S5_SG_SB_SG_NS1_21upper_bound_search_opENSC_16wrapped_functionINS0_4lessIvEEbEEEE10hipError_tPvRmT1_T2_T3_mmT4_T5_P12ihipStream_tbEUlRKjE_EESN_SR_SS_mST_SW_bEUlT_E_NS1_11comp_targetILNS1_3genE4ELNS1_11target_archE910ELNS1_3gpuE8ELNS1_3repE0EEENS1_30default_config_static_selectorELNS0_4arch9wavefront6targetE0EEEvSQ_
		.amdhsa_group_segment_fixed_size 0
		.amdhsa_private_segment_fixed_size 0
		.amdhsa_kernarg_size 56
		.amdhsa_user_sgpr_count 2
		.amdhsa_user_sgpr_dispatch_ptr 0
		.amdhsa_user_sgpr_queue_ptr 0
		.amdhsa_user_sgpr_kernarg_segment_ptr 1
		.amdhsa_user_sgpr_dispatch_id 0
		.amdhsa_user_sgpr_private_segment_size 0
		.amdhsa_wavefront_size32 1
		.amdhsa_uses_dynamic_stack 0
		.amdhsa_enable_private_segment 0
		.amdhsa_system_sgpr_workgroup_id_x 1
		.amdhsa_system_sgpr_workgroup_id_y 0
		.amdhsa_system_sgpr_workgroup_id_z 0
		.amdhsa_system_sgpr_workgroup_info 0
		.amdhsa_system_vgpr_workitem_id 0
		.amdhsa_next_free_vgpr 1
		.amdhsa_next_free_sgpr 1
		.amdhsa_reserve_vcc 0
		.amdhsa_float_round_mode_32 0
		.amdhsa_float_round_mode_16_64 0
		.amdhsa_float_denorm_mode_32 3
		.amdhsa_float_denorm_mode_16_64 3
		.amdhsa_fp16_overflow 0
		.amdhsa_workgroup_processor_mode 1
		.amdhsa_memory_ordered 1
		.amdhsa_forward_progress 1
		.amdhsa_inst_pref_size 0
		.amdhsa_round_robin_scheduling 0
		.amdhsa_exception_fp_ieee_invalid_op 0
		.amdhsa_exception_fp_denorm_src 0
		.amdhsa_exception_fp_ieee_div_zero 0
		.amdhsa_exception_fp_ieee_overflow 0
		.amdhsa_exception_fp_ieee_underflow 0
		.amdhsa_exception_fp_ieee_inexact 0
		.amdhsa_exception_int_div_zero 0
	.end_amdhsa_kernel
	.section	.text._ZN7rocprim17ROCPRIM_400000_NS6detail17trampoline_kernelINS0_14default_configENS1_27upper_bound_config_selectorIjjEEZNS1_14transform_implILb0ES3_S5_N6thrust23THRUST_200600_302600_NS17counting_iteratorIjNS8_11use_defaultESA_SA_EENS8_6detail15normal_iteratorINS8_10device_ptrIjEEEEZNS1_13binary_searchIS3_S5_SG_SB_SG_NS1_21upper_bound_search_opENSC_16wrapped_functionINS0_4lessIvEEbEEEE10hipError_tPvRmT1_T2_T3_mmT4_T5_P12ihipStream_tbEUlRKjE_EESN_SR_SS_mST_SW_bEUlT_E_NS1_11comp_targetILNS1_3genE4ELNS1_11target_archE910ELNS1_3gpuE8ELNS1_3repE0EEENS1_30default_config_static_selectorELNS0_4arch9wavefront6targetE0EEEvSQ_,"axG",@progbits,_ZN7rocprim17ROCPRIM_400000_NS6detail17trampoline_kernelINS0_14default_configENS1_27upper_bound_config_selectorIjjEEZNS1_14transform_implILb0ES3_S5_N6thrust23THRUST_200600_302600_NS17counting_iteratorIjNS8_11use_defaultESA_SA_EENS8_6detail15normal_iteratorINS8_10device_ptrIjEEEEZNS1_13binary_searchIS3_S5_SG_SB_SG_NS1_21upper_bound_search_opENSC_16wrapped_functionINS0_4lessIvEEbEEEE10hipError_tPvRmT1_T2_T3_mmT4_T5_P12ihipStream_tbEUlRKjE_EESN_SR_SS_mST_SW_bEUlT_E_NS1_11comp_targetILNS1_3genE4ELNS1_11target_archE910ELNS1_3gpuE8ELNS1_3repE0EEENS1_30default_config_static_selectorELNS0_4arch9wavefront6targetE0EEEvSQ_,comdat
.Lfunc_end241:
	.size	_ZN7rocprim17ROCPRIM_400000_NS6detail17trampoline_kernelINS0_14default_configENS1_27upper_bound_config_selectorIjjEEZNS1_14transform_implILb0ES3_S5_N6thrust23THRUST_200600_302600_NS17counting_iteratorIjNS8_11use_defaultESA_SA_EENS8_6detail15normal_iteratorINS8_10device_ptrIjEEEEZNS1_13binary_searchIS3_S5_SG_SB_SG_NS1_21upper_bound_search_opENSC_16wrapped_functionINS0_4lessIvEEbEEEE10hipError_tPvRmT1_T2_T3_mmT4_T5_P12ihipStream_tbEUlRKjE_EESN_SR_SS_mST_SW_bEUlT_E_NS1_11comp_targetILNS1_3genE4ELNS1_11target_archE910ELNS1_3gpuE8ELNS1_3repE0EEENS1_30default_config_static_selectorELNS0_4arch9wavefront6targetE0EEEvSQ_, .Lfunc_end241-_ZN7rocprim17ROCPRIM_400000_NS6detail17trampoline_kernelINS0_14default_configENS1_27upper_bound_config_selectorIjjEEZNS1_14transform_implILb0ES3_S5_N6thrust23THRUST_200600_302600_NS17counting_iteratorIjNS8_11use_defaultESA_SA_EENS8_6detail15normal_iteratorINS8_10device_ptrIjEEEEZNS1_13binary_searchIS3_S5_SG_SB_SG_NS1_21upper_bound_search_opENSC_16wrapped_functionINS0_4lessIvEEbEEEE10hipError_tPvRmT1_T2_T3_mmT4_T5_P12ihipStream_tbEUlRKjE_EESN_SR_SS_mST_SW_bEUlT_E_NS1_11comp_targetILNS1_3genE4ELNS1_11target_archE910ELNS1_3gpuE8ELNS1_3repE0EEENS1_30default_config_static_selectorELNS0_4arch9wavefront6targetE0EEEvSQ_
                                        ; -- End function
	.set _ZN7rocprim17ROCPRIM_400000_NS6detail17trampoline_kernelINS0_14default_configENS1_27upper_bound_config_selectorIjjEEZNS1_14transform_implILb0ES3_S5_N6thrust23THRUST_200600_302600_NS17counting_iteratorIjNS8_11use_defaultESA_SA_EENS8_6detail15normal_iteratorINS8_10device_ptrIjEEEEZNS1_13binary_searchIS3_S5_SG_SB_SG_NS1_21upper_bound_search_opENSC_16wrapped_functionINS0_4lessIvEEbEEEE10hipError_tPvRmT1_T2_T3_mmT4_T5_P12ihipStream_tbEUlRKjE_EESN_SR_SS_mST_SW_bEUlT_E_NS1_11comp_targetILNS1_3genE4ELNS1_11target_archE910ELNS1_3gpuE8ELNS1_3repE0EEENS1_30default_config_static_selectorELNS0_4arch9wavefront6targetE0EEEvSQ_.num_vgpr, 0
	.set _ZN7rocprim17ROCPRIM_400000_NS6detail17trampoline_kernelINS0_14default_configENS1_27upper_bound_config_selectorIjjEEZNS1_14transform_implILb0ES3_S5_N6thrust23THRUST_200600_302600_NS17counting_iteratorIjNS8_11use_defaultESA_SA_EENS8_6detail15normal_iteratorINS8_10device_ptrIjEEEEZNS1_13binary_searchIS3_S5_SG_SB_SG_NS1_21upper_bound_search_opENSC_16wrapped_functionINS0_4lessIvEEbEEEE10hipError_tPvRmT1_T2_T3_mmT4_T5_P12ihipStream_tbEUlRKjE_EESN_SR_SS_mST_SW_bEUlT_E_NS1_11comp_targetILNS1_3genE4ELNS1_11target_archE910ELNS1_3gpuE8ELNS1_3repE0EEENS1_30default_config_static_selectorELNS0_4arch9wavefront6targetE0EEEvSQ_.num_agpr, 0
	.set _ZN7rocprim17ROCPRIM_400000_NS6detail17trampoline_kernelINS0_14default_configENS1_27upper_bound_config_selectorIjjEEZNS1_14transform_implILb0ES3_S5_N6thrust23THRUST_200600_302600_NS17counting_iteratorIjNS8_11use_defaultESA_SA_EENS8_6detail15normal_iteratorINS8_10device_ptrIjEEEEZNS1_13binary_searchIS3_S5_SG_SB_SG_NS1_21upper_bound_search_opENSC_16wrapped_functionINS0_4lessIvEEbEEEE10hipError_tPvRmT1_T2_T3_mmT4_T5_P12ihipStream_tbEUlRKjE_EESN_SR_SS_mST_SW_bEUlT_E_NS1_11comp_targetILNS1_3genE4ELNS1_11target_archE910ELNS1_3gpuE8ELNS1_3repE0EEENS1_30default_config_static_selectorELNS0_4arch9wavefront6targetE0EEEvSQ_.numbered_sgpr, 0
	.set _ZN7rocprim17ROCPRIM_400000_NS6detail17trampoline_kernelINS0_14default_configENS1_27upper_bound_config_selectorIjjEEZNS1_14transform_implILb0ES3_S5_N6thrust23THRUST_200600_302600_NS17counting_iteratorIjNS8_11use_defaultESA_SA_EENS8_6detail15normal_iteratorINS8_10device_ptrIjEEEEZNS1_13binary_searchIS3_S5_SG_SB_SG_NS1_21upper_bound_search_opENSC_16wrapped_functionINS0_4lessIvEEbEEEE10hipError_tPvRmT1_T2_T3_mmT4_T5_P12ihipStream_tbEUlRKjE_EESN_SR_SS_mST_SW_bEUlT_E_NS1_11comp_targetILNS1_3genE4ELNS1_11target_archE910ELNS1_3gpuE8ELNS1_3repE0EEENS1_30default_config_static_selectorELNS0_4arch9wavefront6targetE0EEEvSQ_.num_named_barrier, 0
	.set _ZN7rocprim17ROCPRIM_400000_NS6detail17trampoline_kernelINS0_14default_configENS1_27upper_bound_config_selectorIjjEEZNS1_14transform_implILb0ES3_S5_N6thrust23THRUST_200600_302600_NS17counting_iteratorIjNS8_11use_defaultESA_SA_EENS8_6detail15normal_iteratorINS8_10device_ptrIjEEEEZNS1_13binary_searchIS3_S5_SG_SB_SG_NS1_21upper_bound_search_opENSC_16wrapped_functionINS0_4lessIvEEbEEEE10hipError_tPvRmT1_T2_T3_mmT4_T5_P12ihipStream_tbEUlRKjE_EESN_SR_SS_mST_SW_bEUlT_E_NS1_11comp_targetILNS1_3genE4ELNS1_11target_archE910ELNS1_3gpuE8ELNS1_3repE0EEENS1_30default_config_static_selectorELNS0_4arch9wavefront6targetE0EEEvSQ_.private_seg_size, 0
	.set _ZN7rocprim17ROCPRIM_400000_NS6detail17trampoline_kernelINS0_14default_configENS1_27upper_bound_config_selectorIjjEEZNS1_14transform_implILb0ES3_S5_N6thrust23THRUST_200600_302600_NS17counting_iteratorIjNS8_11use_defaultESA_SA_EENS8_6detail15normal_iteratorINS8_10device_ptrIjEEEEZNS1_13binary_searchIS3_S5_SG_SB_SG_NS1_21upper_bound_search_opENSC_16wrapped_functionINS0_4lessIvEEbEEEE10hipError_tPvRmT1_T2_T3_mmT4_T5_P12ihipStream_tbEUlRKjE_EESN_SR_SS_mST_SW_bEUlT_E_NS1_11comp_targetILNS1_3genE4ELNS1_11target_archE910ELNS1_3gpuE8ELNS1_3repE0EEENS1_30default_config_static_selectorELNS0_4arch9wavefront6targetE0EEEvSQ_.uses_vcc, 0
	.set _ZN7rocprim17ROCPRIM_400000_NS6detail17trampoline_kernelINS0_14default_configENS1_27upper_bound_config_selectorIjjEEZNS1_14transform_implILb0ES3_S5_N6thrust23THRUST_200600_302600_NS17counting_iteratorIjNS8_11use_defaultESA_SA_EENS8_6detail15normal_iteratorINS8_10device_ptrIjEEEEZNS1_13binary_searchIS3_S5_SG_SB_SG_NS1_21upper_bound_search_opENSC_16wrapped_functionINS0_4lessIvEEbEEEE10hipError_tPvRmT1_T2_T3_mmT4_T5_P12ihipStream_tbEUlRKjE_EESN_SR_SS_mST_SW_bEUlT_E_NS1_11comp_targetILNS1_3genE4ELNS1_11target_archE910ELNS1_3gpuE8ELNS1_3repE0EEENS1_30default_config_static_selectorELNS0_4arch9wavefront6targetE0EEEvSQ_.uses_flat_scratch, 0
	.set _ZN7rocprim17ROCPRIM_400000_NS6detail17trampoline_kernelINS0_14default_configENS1_27upper_bound_config_selectorIjjEEZNS1_14transform_implILb0ES3_S5_N6thrust23THRUST_200600_302600_NS17counting_iteratorIjNS8_11use_defaultESA_SA_EENS8_6detail15normal_iteratorINS8_10device_ptrIjEEEEZNS1_13binary_searchIS3_S5_SG_SB_SG_NS1_21upper_bound_search_opENSC_16wrapped_functionINS0_4lessIvEEbEEEE10hipError_tPvRmT1_T2_T3_mmT4_T5_P12ihipStream_tbEUlRKjE_EESN_SR_SS_mST_SW_bEUlT_E_NS1_11comp_targetILNS1_3genE4ELNS1_11target_archE910ELNS1_3gpuE8ELNS1_3repE0EEENS1_30default_config_static_selectorELNS0_4arch9wavefront6targetE0EEEvSQ_.has_dyn_sized_stack, 0
	.set _ZN7rocprim17ROCPRIM_400000_NS6detail17trampoline_kernelINS0_14default_configENS1_27upper_bound_config_selectorIjjEEZNS1_14transform_implILb0ES3_S5_N6thrust23THRUST_200600_302600_NS17counting_iteratorIjNS8_11use_defaultESA_SA_EENS8_6detail15normal_iteratorINS8_10device_ptrIjEEEEZNS1_13binary_searchIS3_S5_SG_SB_SG_NS1_21upper_bound_search_opENSC_16wrapped_functionINS0_4lessIvEEbEEEE10hipError_tPvRmT1_T2_T3_mmT4_T5_P12ihipStream_tbEUlRKjE_EESN_SR_SS_mST_SW_bEUlT_E_NS1_11comp_targetILNS1_3genE4ELNS1_11target_archE910ELNS1_3gpuE8ELNS1_3repE0EEENS1_30default_config_static_selectorELNS0_4arch9wavefront6targetE0EEEvSQ_.has_recursion, 0
	.set _ZN7rocprim17ROCPRIM_400000_NS6detail17trampoline_kernelINS0_14default_configENS1_27upper_bound_config_selectorIjjEEZNS1_14transform_implILb0ES3_S5_N6thrust23THRUST_200600_302600_NS17counting_iteratorIjNS8_11use_defaultESA_SA_EENS8_6detail15normal_iteratorINS8_10device_ptrIjEEEEZNS1_13binary_searchIS3_S5_SG_SB_SG_NS1_21upper_bound_search_opENSC_16wrapped_functionINS0_4lessIvEEbEEEE10hipError_tPvRmT1_T2_T3_mmT4_T5_P12ihipStream_tbEUlRKjE_EESN_SR_SS_mST_SW_bEUlT_E_NS1_11comp_targetILNS1_3genE4ELNS1_11target_archE910ELNS1_3gpuE8ELNS1_3repE0EEENS1_30default_config_static_selectorELNS0_4arch9wavefront6targetE0EEEvSQ_.has_indirect_call, 0
	.section	.AMDGPU.csdata,"",@progbits
; Kernel info:
; codeLenInByte = 0
; TotalNumSgprs: 0
; NumVgprs: 0
; ScratchSize: 0
; MemoryBound: 0
; FloatMode: 240
; IeeeMode: 1
; LDSByteSize: 0 bytes/workgroup (compile time only)
; SGPRBlocks: 0
; VGPRBlocks: 0
; NumSGPRsForWavesPerEU: 1
; NumVGPRsForWavesPerEU: 1
; Occupancy: 16
; WaveLimiterHint : 0
; COMPUTE_PGM_RSRC2:SCRATCH_EN: 0
; COMPUTE_PGM_RSRC2:USER_SGPR: 2
; COMPUTE_PGM_RSRC2:TRAP_HANDLER: 0
; COMPUTE_PGM_RSRC2:TGID_X_EN: 1
; COMPUTE_PGM_RSRC2:TGID_Y_EN: 0
; COMPUTE_PGM_RSRC2:TGID_Z_EN: 0
; COMPUTE_PGM_RSRC2:TIDIG_COMP_CNT: 0
	.section	.text._ZN7rocprim17ROCPRIM_400000_NS6detail17trampoline_kernelINS0_14default_configENS1_27upper_bound_config_selectorIjjEEZNS1_14transform_implILb0ES3_S5_N6thrust23THRUST_200600_302600_NS17counting_iteratorIjNS8_11use_defaultESA_SA_EENS8_6detail15normal_iteratorINS8_10device_ptrIjEEEEZNS1_13binary_searchIS3_S5_SG_SB_SG_NS1_21upper_bound_search_opENSC_16wrapped_functionINS0_4lessIvEEbEEEE10hipError_tPvRmT1_T2_T3_mmT4_T5_P12ihipStream_tbEUlRKjE_EESN_SR_SS_mST_SW_bEUlT_E_NS1_11comp_targetILNS1_3genE3ELNS1_11target_archE908ELNS1_3gpuE7ELNS1_3repE0EEENS1_30default_config_static_selectorELNS0_4arch9wavefront6targetE0EEEvSQ_,"axG",@progbits,_ZN7rocprim17ROCPRIM_400000_NS6detail17trampoline_kernelINS0_14default_configENS1_27upper_bound_config_selectorIjjEEZNS1_14transform_implILb0ES3_S5_N6thrust23THRUST_200600_302600_NS17counting_iteratorIjNS8_11use_defaultESA_SA_EENS8_6detail15normal_iteratorINS8_10device_ptrIjEEEEZNS1_13binary_searchIS3_S5_SG_SB_SG_NS1_21upper_bound_search_opENSC_16wrapped_functionINS0_4lessIvEEbEEEE10hipError_tPvRmT1_T2_T3_mmT4_T5_P12ihipStream_tbEUlRKjE_EESN_SR_SS_mST_SW_bEUlT_E_NS1_11comp_targetILNS1_3genE3ELNS1_11target_archE908ELNS1_3gpuE7ELNS1_3repE0EEENS1_30default_config_static_selectorELNS0_4arch9wavefront6targetE0EEEvSQ_,comdat
	.protected	_ZN7rocprim17ROCPRIM_400000_NS6detail17trampoline_kernelINS0_14default_configENS1_27upper_bound_config_selectorIjjEEZNS1_14transform_implILb0ES3_S5_N6thrust23THRUST_200600_302600_NS17counting_iteratorIjNS8_11use_defaultESA_SA_EENS8_6detail15normal_iteratorINS8_10device_ptrIjEEEEZNS1_13binary_searchIS3_S5_SG_SB_SG_NS1_21upper_bound_search_opENSC_16wrapped_functionINS0_4lessIvEEbEEEE10hipError_tPvRmT1_T2_T3_mmT4_T5_P12ihipStream_tbEUlRKjE_EESN_SR_SS_mST_SW_bEUlT_E_NS1_11comp_targetILNS1_3genE3ELNS1_11target_archE908ELNS1_3gpuE7ELNS1_3repE0EEENS1_30default_config_static_selectorELNS0_4arch9wavefront6targetE0EEEvSQ_ ; -- Begin function _ZN7rocprim17ROCPRIM_400000_NS6detail17trampoline_kernelINS0_14default_configENS1_27upper_bound_config_selectorIjjEEZNS1_14transform_implILb0ES3_S5_N6thrust23THRUST_200600_302600_NS17counting_iteratorIjNS8_11use_defaultESA_SA_EENS8_6detail15normal_iteratorINS8_10device_ptrIjEEEEZNS1_13binary_searchIS3_S5_SG_SB_SG_NS1_21upper_bound_search_opENSC_16wrapped_functionINS0_4lessIvEEbEEEE10hipError_tPvRmT1_T2_T3_mmT4_T5_P12ihipStream_tbEUlRKjE_EESN_SR_SS_mST_SW_bEUlT_E_NS1_11comp_targetILNS1_3genE3ELNS1_11target_archE908ELNS1_3gpuE7ELNS1_3repE0EEENS1_30default_config_static_selectorELNS0_4arch9wavefront6targetE0EEEvSQ_
	.globl	_ZN7rocprim17ROCPRIM_400000_NS6detail17trampoline_kernelINS0_14default_configENS1_27upper_bound_config_selectorIjjEEZNS1_14transform_implILb0ES3_S5_N6thrust23THRUST_200600_302600_NS17counting_iteratorIjNS8_11use_defaultESA_SA_EENS8_6detail15normal_iteratorINS8_10device_ptrIjEEEEZNS1_13binary_searchIS3_S5_SG_SB_SG_NS1_21upper_bound_search_opENSC_16wrapped_functionINS0_4lessIvEEbEEEE10hipError_tPvRmT1_T2_T3_mmT4_T5_P12ihipStream_tbEUlRKjE_EESN_SR_SS_mST_SW_bEUlT_E_NS1_11comp_targetILNS1_3genE3ELNS1_11target_archE908ELNS1_3gpuE7ELNS1_3repE0EEENS1_30default_config_static_selectorELNS0_4arch9wavefront6targetE0EEEvSQ_
	.p2align	8
	.type	_ZN7rocprim17ROCPRIM_400000_NS6detail17trampoline_kernelINS0_14default_configENS1_27upper_bound_config_selectorIjjEEZNS1_14transform_implILb0ES3_S5_N6thrust23THRUST_200600_302600_NS17counting_iteratorIjNS8_11use_defaultESA_SA_EENS8_6detail15normal_iteratorINS8_10device_ptrIjEEEEZNS1_13binary_searchIS3_S5_SG_SB_SG_NS1_21upper_bound_search_opENSC_16wrapped_functionINS0_4lessIvEEbEEEE10hipError_tPvRmT1_T2_T3_mmT4_T5_P12ihipStream_tbEUlRKjE_EESN_SR_SS_mST_SW_bEUlT_E_NS1_11comp_targetILNS1_3genE3ELNS1_11target_archE908ELNS1_3gpuE7ELNS1_3repE0EEENS1_30default_config_static_selectorELNS0_4arch9wavefront6targetE0EEEvSQ_,@function
_ZN7rocprim17ROCPRIM_400000_NS6detail17trampoline_kernelINS0_14default_configENS1_27upper_bound_config_selectorIjjEEZNS1_14transform_implILb0ES3_S5_N6thrust23THRUST_200600_302600_NS17counting_iteratorIjNS8_11use_defaultESA_SA_EENS8_6detail15normal_iteratorINS8_10device_ptrIjEEEEZNS1_13binary_searchIS3_S5_SG_SB_SG_NS1_21upper_bound_search_opENSC_16wrapped_functionINS0_4lessIvEEbEEEE10hipError_tPvRmT1_T2_T3_mmT4_T5_P12ihipStream_tbEUlRKjE_EESN_SR_SS_mST_SW_bEUlT_E_NS1_11comp_targetILNS1_3genE3ELNS1_11target_archE908ELNS1_3gpuE7ELNS1_3repE0EEENS1_30default_config_static_selectorELNS0_4arch9wavefront6targetE0EEEvSQ_: ; @_ZN7rocprim17ROCPRIM_400000_NS6detail17trampoline_kernelINS0_14default_configENS1_27upper_bound_config_selectorIjjEEZNS1_14transform_implILb0ES3_S5_N6thrust23THRUST_200600_302600_NS17counting_iteratorIjNS8_11use_defaultESA_SA_EENS8_6detail15normal_iteratorINS8_10device_ptrIjEEEEZNS1_13binary_searchIS3_S5_SG_SB_SG_NS1_21upper_bound_search_opENSC_16wrapped_functionINS0_4lessIvEEbEEEE10hipError_tPvRmT1_T2_T3_mmT4_T5_P12ihipStream_tbEUlRKjE_EESN_SR_SS_mST_SW_bEUlT_E_NS1_11comp_targetILNS1_3genE3ELNS1_11target_archE908ELNS1_3gpuE7ELNS1_3repE0EEENS1_30default_config_static_selectorELNS0_4arch9wavefront6targetE0EEEvSQ_
; %bb.0:
	.section	.rodata,"a",@progbits
	.p2align	6, 0x0
	.amdhsa_kernel _ZN7rocprim17ROCPRIM_400000_NS6detail17trampoline_kernelINS0_14default_configENS1_27upper_bound_config_selectorIjjEEZNS1_14transform_implILb0ES3_S5_N6thrust23THRUST_200600_302600_NS17counting_iteratorIjNS8_11use_defaultESA_SA_EENS8_6detail15normal_iteratorINS8_10device_ptrIjEEEEZNS1_13binary_searchIS3_S5_SG_SB_SG_NS1_21upper_bound_search_opENSC_16wrapped_functionINS0_4lessIvEEbEEEE10hipError_tPvRmT1_T2_T3_mmT4_T5_P12ihipStream_tbEUlRKjE_EESN_SR_SS_mST_SW_bEUlT_E_NS1_11comp_targetILNS1_3genE3ELNS1_11target_archE908ELNS1_3gpuE7ELNS1_3repE0EEENS1_30default_config_static_selectorELNS0_4arch9wavefront6targetE0EEEvSQ_
		.amdhsa_group_segment_fixed_size 0
		.amdhsa_private_segment_fixed_size 0
		.amdhsa_kernarg_size 56
		.amdhsa_user_sgpr_count 2
		.amdhsa_user_sgpr_dispatch_ptr 0
		.amdhsa_user_sgpr_queue_ptr 0
		.amdhsa_user_sgpr_kernarg_segment_ptr 1
		.amdhsa_user_sgpr_dispatch_id 0
		.amdhsa_user_sgpr_private_segment_size 0
		.amdhsa_wavefront_size32 1
		.amdhsa_uses_dynamic_stack 0
		.amdhsa_enable_private_segment 0
		.amdhsa_system_sgpr_workgroup_id_x 1
		.amdhsa_system_sgpr_workgroup_id_y 0
		.amdhsa_system_sgpr_workgroup_id_z 0
		.amdhsa_system_sgpr_workgroup_info 0
		.amdhsa_system_vgpr_workitem_id 0
		.amdhsa_next_free_vgpr 1
		.amdhsa_next_free_sgpr 1
		.amdhsa_reserve_vcc 0
		.amdhsa_float_round_mode_32 0
		.amdhsa_float_round_mode_16_64 0
		.amdhsa_float_denorm_mode_32 3
		.amdhsa_float_denorm_mode_16_64 3
		.amdhsa_fp16_overflow 0
		.amdhsa_workgroup_processor_mode 1
		.amdhsa_memory_ordered 1
		.amdhsa_forward_progress 1
		.amdhsa_inst_pref_size 0
		.amdhsa_round_robin_scheduling 0
		.amdhsa_exception_fp_ieee_invalid_op 0
		.amdhsa_exception_fp_denorm_src 0
		.amdhsa_exception_fp_ieee_div_zero 0
		.amdhsa_exception_fp_ieee_overflow 0
		.amdhsa_exception_fp_ieee_underflow 0
		.amdhsa_exception_fp_ieee_inexact 0
		.amdhsa_exception_int_div_zero 0
	.end_amdhsa_kernel
	.section	.text._ZN7rocprim17ROCPRIM_400000_NS6detail17trampoline_kernelINS0_14default_configENS1_27upper_bound_config_selectorIjjEEZNS1_14transform_implILb0ES3_S5_N6thrust23THRUST_200600_302600_NS17counting_iteratorIjNS8_11use_defaultESA_SA_EENS8_6detail15normal_iteratorINS8_10device_ptrIjEEEEZNS1_13binary_searchIS3_S5_SG_SB_SG_NS1_21upper_bound_search_opENSC_16wrapped_functionINS0_4lessIvEEbEEEE10hipError_tPvRmT1_T2_T3_mmT4_T5_P12ihipStream_tbEUlRKjE_EESN_SR_SS_mST_SW_bEUlT_E_NS1_11comp_targetILNS1_3genE3ELNS1_11target_archE908ELNS1_3gpuE7ELNS1_3repE0EEENS1_30default_config_static_selectorELNS0_4arch9wavefront6targetE0EEEvSQ_,"axG",@progbits,_ZN7rocprim17ROCPRIM_400000_NS6detail17trampoline_kernelINS0_14default_configENS1_27upper_bound_config_selectorIjjEEZNS1_14transform_implILb0ES3_S5_N6thrust23THRUST_200600_302600_NS17counting_iteratorIjNS8_11use_defaultESA_SA_EENS8_6detail15normal_iteratorINS8_10device_ptrIjEEEEZNS1_13binary_searchIS3_S5_SG_SB_SG_NS1_21upper_bound_search_opENSC_16wrapped_functionINS0_4lessIvEEbEEEE10hipError_tPvRmT1_T2_T3_mmT4_T5_P12ihipStream_tbEUlRKjE_EESN_SR_SS_mST_SW_bEUlT_E_NS1_11comp_targetILNS1_3genE3ELNS1_11target_archE908ELNS1_3gpuE7ELNS1_3repE0EEENS1_30default_config_static_selectorELNS0_4arch9wavefront6targetE0EEEvSQ_,comdat
.Lfunc_end242:
	.size	_ZN7rocprim17ROCPRIM_400000_NS6detail17trampoline_kernelINS0_14default_configENS1_27upper_bound_config_selectorIjjEEZNS1_14transform_implILb0ES3_S5_N6thrust23THRUST_200600_302600_NS17counting_iteratorIjNS8_11use_defaultESA_SA_EENS8_6detail15normal_iteratorINS8_10device_ptrIjEEEEZNS1_13binary_searchIS3_S5_SG_SB_SG_NS1_21upper_bound_search_opENSC_16wrapped_functionINS0_4lessIvEEbEEEE10hipError_tPvRmT1_T2_T3_mmT4_T5_P12ihipStream_tbEUlRKjE_EESN_SR_SS_mST_SW_bEUlT_E_NS1_11comp_targetILNS1_3genE3ELNS1_11target_archE908ELNS1_3gpuE7ELNS1_3repE0EEENS1_30default_config_static_selectorELNS0_4arch9wavefront6targetE0EEEvSQ_, .Lfunc_end242-_ZN7rocprim17ROCPRIM_400000_NS6detail17trampoline_kernelINS0_14default_configENS1_27upper_bound_config_selectorIjjEEZNS1_14transform_implILb0ES3_S5_N6thrust23THRUST_200600_302600_NS17counting_iteratorIjNS8_11use_defaultESA_SA_EENS8_6detail15normal_iteratorINS8_10device_ptrIjEEEEZNS1_13binary_searchIS3_S5_SG_SB_SG_NS1_21upper_bound_search_opENSC_16wrapped_functionINS0_4lessIvEEbEEEE10hipError_tPvRmT1_T2_T3_mmT4_T5_P12ihipStream_tbEUlRKjE_EESN_SR_SS_mST_SW_bEUlT_E_NS1_11comp_targetILNS1_3genE3ELNS1_11target_archE908ELNS1_3gpuE7ELNS1_3repE0EEENS1_30default_config_static_selectorELNS0_4arch9wavefront6targetE0EEEvSQ_
                                        ; -- End function
	.set _ZN7rocprim17ROCPRIM_400000_NS6detail17trampoline_kernelINS0_14default_configENS1_27upper_bound_config_selectorIjjEEZNS1_14transform_implILb0ES3_S5_N6thrust23THRUST_200600_302600_NS17counting_iteratorIjNS8_11use_defaultESA_SA_EENS8_6detail15normal_iteratorINS8_10device_ptrIjEEEEZNS1_13binary_searchIS3_S5_SG_SB_SG_NS1_21upper_bound_search_opENSC_16wrapped_functionINS0_4lessIvEEbEEEE10hipError_tPvRmT1_T2_T3_mmT4_T5_P12ihipStream_tbEUlRKjE_EESN_SR_SS_mST_SW_bEUlT_E_NS1_11comp_targetILNS1_3genE3ELNS1_11target_archE908ELNS1_3gpuE7ELNS1_3repE0EEENS1_30default_config_static_selectorELNS0_4arch9wavefront6targetE0EEEvSQ_.num_vgpr, 0
	.set _ZN7rocprim17ROCPRIM_400000_NS6detail17trampoline_kernelINS0_14default_configENS1_27upper_bound_config_selectorIjjEEZNS1_14transform_implILb0ES3_S5_N6thrust23THRUST_200600_302600_NS17counting_iteratorIjNS8_11use_defaultESA_SA_EENS8_6detail15normal_iteratorINS8_10device_ptrIjEEEEZNS1_13binary_searchIS3_S5_SG_SB_SG_NS1_21upper_bound_search_opENSC_16wrapped_functionINS0_4lessIvEEbEEEE10hipError_tPvRmT1_T2_T3_mmT4_T5_P12ihipStream_tbEUlRKjE_EESN_SR_SS_mST_SW_bEUlT_E_NS1_11comp_targetILNS1_3genE3ELNS1_11target_archE908ELNS1_3gpuE7ELNS1_3repE0EEENS1_30default_config_static_selectorELNS0_4arch9wavefront6targetE0EEEvSQ_.num_agpr, 0
	.set _ZN7rocprim17ROCPRIM_400000_NS6detail17trampoline_kernelINS0_14default_configENS1_27upper_bound_config_selectorIjjEEZNS1_14transform_implILb0ES3_S5_N6thrust23THRUST_200600_302600_NS17counting_iteratorIjNS8_11use_defaultESA_SA_EENS8_6detail15normal_iteratorINS8_10device_ptrIjEEEEZNS1_13binary_searchIS3_S5_SG_SB_SG_NS1_21upper_bound_search_opENSC_16wrapped_functionINS0_4lessIvEEbEEEE10hipError_tPvRmT1_T2_T3_mmT4_T5_P12ihipStream_tbEUlRKjE_EESN_SR_SS_mST_SW_bEUlT_E_NS1_11comp_targetILNS1_3genE3ELNS1_11target_archE908ELNS1_3gpuE7ELNS1_3repE0EEENS1_30default_config_static_selectorELNS0_4arch9wavefront6targetE0EEEvSQ_.numbered_sgpr, 0
	.set _ZN7rocprim17ROCPRIM_400000_NS6detail17trampoline_kernelINS0_14default_configENS1_27upper_bound_config_selectorIjjEEZNS1_14transform_implILb0ES3_S5_N6thrust23THRUST_200600_302600_NS17counting_iteratorIjNS8_11use_defaultESA_SA_EENS8_6detail15normal_iteratorINS8_10device_ptrIjEEEEZNS1_13binary_searchIS3_S5_SG_SB_SG_NS1_21upper_bound_search_opENSC_16wrapped_functionINS0_4lessIvEEbEEEE10hipError_tPvRmT1_T2_T3_mmT4_T5_P12ihipStream_tbEUlRKjE_EESN_SR_SS_mST_SW_bEUlT_E_NS1_11comp_targetILNS1_3genE3ELNS1_11target_archE908ELNS1_3gpuE7ELNS1_3repE0EEENS1_30default_config_static_selectorELNS0_4arch9wavefront6targetE0EEEvSQ_.num_named_barrier, 0
	.set _ZN7rocprim17ROCPRIM_400000_NS6detail17trampoline_kernelINS0_14default_configENS1_27upper_bound_config_selectorIjjEEZNS1_14transform_implILb0ES3_S5_N6thrust23THRUST_200600_302600_NS17counting_iteratorIjNS8_11use_defaultESA_SA_EENS8_6detail15normal_iteratorINS8_10device_ptrIjEEEEZNS1_13binary_searchIS3_S5_SG_SB_SG_NS1_21upper_bound_search_opENSC_16wrapped_functionINS0_4lessIvEEbEEEE10hipError_tPvRmT1_T2_T3_mmT4_T5_P12ihipStream_tbEUlRKjE_EESN_SR_SS_mST_SW_bEUlT_E_NS1_11comp_targetILNS1_3genE3ELNS1_11target_archE908ELNS1_3gpuE7ELNS1_3repE0EEENS1_30default_config_static_selectorELNS0_4arch9wavefront6targetE0EEEvSQ_.private_seg_size, 0
	.set _ZN7rocprim17ROCPRIM_400000_NS6detail17trampoline_kernelINS0_14default_configENS1_27upper_bound_config_selectorIjjEEZNS1_14transform_implILb0ES3_S5_N6thrust23THRUST_200600_302600_NS17counting_iteratorIjNS8_11use_defaultESA_SA_EENS8_6detail15normal_iteratorINS8_10device_ptrIjEEEEZNS1_13binary_searchIS3_S5_SG_SB_SG_NS1_21upper_bound_search_opENSC_16wrapped_functionINS0_4lessIvEEbEEEE10hipError_tPvRmT1_T2_T3_mmT4_T5_P12ihipStream_tbEUlRKjE_EESN_SR_SS_mST_SW_bEUlT_E_NS1_11comp_targetILNS1_3genE3ELNS1_11target_archE908ELNS1_3gpuE7ELNS1_3repE0EEENS1_30default_config_static_selectorELNS0_4arch9wavefront6targetE0EEEvSQ_.uses_vcc, 0
	.set _ZN7rocprim17ROCPRIM_400000_NS6detail17trampoline_kernelINS0_14default_configENS1_27upper_bound_config_selectorIjjEEZNS1_14transform_implILb0ES3_S5_N6thrust23THRUST_200600_302600_NS17counting_iteratorIjNS8_11use_defaultESA_SA_EENS8_6detail15normal_iteratorINS8_10device_ptrIjEEEEZNS1_13binary_searchIS3_S5_SG_SB_SG_NS1_21upper_bound_search_opENSC_16wrapped_functionINS0_4lessIvEEbEEEE10hipError_tPvRmT1_T2_T3_mmT4_T5_P12ihipStream_tbEUlRKjE_EESN_SR_SS_mST_SW_bEUlT_E_NS1_11comp_targetILNS1_3genE3ELNS1_11target_archE908ELNS1_3gpuE7ELNS1_3repE0EEENS1_30default_config_static_selectorELNS0_4arch9wavefront6targetE0EEEvSQ_.uses_flat_scratch, 0
	.set _ZN7rocprim17ROCPRIM_400000_NS6detail17trampoline_kernelINS0_14default_configENS1_27upper_bound_config_selectorIjjEEZNS1_14transform_implILb0ES3_S5_N6thrust23THRUST_200600_302600_NS17counting_iteratorIjNS8_11use_defaultESA_SA_EENS8_6detail15normal_iteratorINS8_10device_ptrIjEEEEZNS1_13binary_searchIS3_S5_SG_SB_SG_NS1_21upper_bound_search_opENSC_16wrapped_functionINS0_4lessIvEEbEEEE10hipError_tPvRmT1_T2_T3_mmT4_T5_P12ihipStream_tbEUlRKjE_EESN_SR_SS_mST_SW_bEUlT_E_NS1_11comp_targetILNS1_3genE3ELNS1_11target_archE908ELNS1_3gpuE7ELNS1_3repE0EEENS1_30default_config_static_selectorELNS0_4arch9wavefront6targetE0EEEvSQ_.has_dyn_sized_stack, 0
	.set _ZN7rocprim17ROCPRIM_400000_NS6detail17trampoline_kernelINS0_14default_configENS1_27upper_bound_config_selectorIjjEEZNS1_14transform_implILb0ES3_S5_N6thrust23THRUST_200600_302600_NS17counting_iteratorIjNS8_11use_defaultESA_SA_EENS8_6detail15normal_iteratorINS8_10device_ptrIjEEEEZNS1_13binary_searchIS3_S5_SG_SB_SG_NS1_21upper_bound_search_opENSC_16wrapped_functionINS0_4lessIvEEbEEEE10hipError_tPvRmT1_T2_T3_mmT4_T5_P12ihipStream_tbEUlRKjE_EESN_SR_SS_mST_SW_bEUlT_E_NS1_11comp_targetILNS1_3genE3ELNS1_11target_archE908ELNS1_3gpuE7ELNS1_3repE0EEENS1_30default_config_static_selectorELNS0_4arch9wavefront6targetE0EEEvSQ_.has_recursion, 0
	.set _ZN7rocprim17ROCPRIM_400000_NS6detail17trampoline_kernelINS0_14default_configENS1_27upper_bound_config_selectorIjjEEZNS1_14transform_implILb0ES3_S5_N6thrust23THRUST_200600_302600_NS17counting_iteratorIjNS8_11use_defaultESA_SA_EENS8_6detail15normal_iteratorINS8_10device_ptrIjEEEEZNS1_13binary_searchIS3_S5_SG_SB_SG_NS1_21upper_bound_search_opENSC_16wrapped_functionINS0_4lessIvEEbEEEE10hipError_tPvRmT1_T2_T3_mmT4_T5_P12ihipStream_tbEUlRKjE_EESN_SR_SS_mST_SW_bEUlT_E_NS1_11comp_targetILNS1_3genE3ELNS1_11target_archE908ELNS1_3gpuE7ELNS1_3repE0EEENS1_30default_config_static_selectorELNS0_4arch9wavefront6targetE0EEEvSQ_.has_indirect_call, 0
	.section	.AMDGPU.csdata,"",@progbits
; Kernel info:
; codeLenInByte = 0
; TotalNumSgprs: 0
; NumVgprs: 0
; ScratchSize: 0
; MemoryBound: 0
; FloatMode: 240
; IeeeMode: 1
; LDSByteSize: 0 bytes/workgroup (compile time only)
; SGPRBlocks: 0
; VGPRBlocks: 0
; NumSGPRsForWavesPerEU: 1
; NumVGPRsForWavesPerEU: 1
; Occupancy: 16
; WaveLimiterHint : 0
; COMPUTE_PGM_RSRC2:SCRATCH_EN: 0
; COMPUTE_PGM_RSRC2:USER_SGPR: 2
; COMPUTE_PGM_RSRC2:TRAP_HANDLER: 0
; COMPUTE_PGM_RSRC2:TGID_X_EN: 1
; COMPUTE_PGM_RSRC2:TGID_Y_EN: 0
; COMPUTE_PGM_RSRC2:TGID_Z_EN: 0
; COMPUTE_PGM_RSRC2:TIDIG_COMP_CNT: 0
	.section	.text._ZN7rocprim17ROCPRIM_400000_NS6detail17trampoline_kernelINS0_14default_configENS1_27upper_bound_config_selectorIjjEEZNS1_14transform_implILb0ES3_S5_N6thrust23THRUST_200600_302600_NS17counting_iteratorIjNS8_11use_defaultESA_SA_EENS8_6detail15normal_iteratorINS8_10device_ptrIjEEEEZNS1_13binary_searchIS3_S5_SG_SB_SG_NS1_21upper_bound_search_opENSC_16wrapped_functionINS0_4lessIvEEbEEEE10hipError_tPvRmT1_T2_T3_mmT4_T5_P12ihipStream_tbEUlRKjE_EESN_SR_SS_mST_SW_bEUlT_E_NS1_11comp_targetILNS1_3genE2ELNS1_11target_archE906ELNS1_3gpuE6ELNS1_3repE0EEENS1_30default_config_static_selectorELNS0_4arch9wavefront6targetE0EEEvSQ_,"axG",@progbits,_ZN7rocprim17ROCPRIM_400000_NS6detail17trampoline_kernelINS0_14default_configENS1_27upper_bound_config_selectorIjjEEZNS1_14transform_implILb0ES3_S5_N6thrust23THRUST_200600_302600_NS17counting_iteratorIjNS8_11use_defaultESA_SA_EENS8_6detail15normal_iteratorINS8_10device_ptrIjEEEEZNS1_13binary_searchIS3_S5_SG_SB_SG_NS1_21upper_bound_search_opENSC_16wrapped_functionINS0_4lessIvEEbEEEE10hipError_tPvRmT1_T2_T3_mmT4_T5_P12ihipStream_tbEUlRKjE_EESN_SR_SS_mST_SW_bEUlT_E_NS1_11comp_targetILNS1_3genE2ELNS1_11target_archE906ELNS1_3gpuE6ELNS1_3repE0EEENS1_30default_config_static_selectorELNS0_4arch9wavefront6targetE0EEEvSQ_,comdat
	.protected	_ZN7rocprim17ROCPRIM_400000_NS6detail17trampoline_kernelINS0_14default_configENS1_27upper_bound_config_selectorIjjEEZNS1_14transform_implILb0ES3_S5_N6thrust23THRUST_200600_302600_NS17counting_iteratorIjNS8_11use_defaultESA_SA_EENS8_6detail15normal_iteratorINS8_10device_ptrIjEEEEZNS1_13binary_searchIS3_S5_SG_SB_SG_NS1_21upper_bound_search_opENSC_16wrapped_functionINS0_4lessIvEEbEEEE10hipError_tPvRmT1_T2_T3_mmT4_T5_P12ihipStream_tbEUlRKjE_EESN_SR_SS_mST_SW_bEUlT_E_NS1_11comp_targetILNS1_3genE2ELNS1_11target_archE906ELNS1_3gpuE6ELNS1_3repE0EEENS1_30default_config_static_selectorELNS0_4arch9wavefront6targetE0EEEvSQ_ ; -- Begin function _ZN7rocprim17ROCPRIM_400000_NS6detail17trampoline_kernelINS0_14default_configENS1_27upper_bound_config_selectorIjjEEZNS1_14transform_implILb0ES3_S5_N6thrust23THRUST_200600_302600_NS17counting_iteratorIjNS8_11use_defaultESA_SA_EENS8_6detail15normal_iteratorINS8_10device_ptrIjEEEEZNS1_13binary_searchIS3_S5_SG_SB_SG_NS1_21upper_bound_search_opENSC_16wrapped_functionINS0_4lessIvEEbEEEE10hipError_tPvRmT1_T2_T3_mmT4_T5_P12ihipStream_tbEUlRKjE_EESN_SR_SS_mST_SW_bEUlT_E_NS1_11comp_targetILNS1_3genE2ELNS1_11target_archE906ELNS1_3gpuE6ELNS1_3repE0EEENS1_30default_config_static_selectorELNS0_4arch9wavefront6targetE0EEEvSQ_
	.globl	_ZN7rocprim17ROCPRIM_400000_NS6detail17trampoline_kernelINS0_14default_configENS1_27upper_bound_config_selectorIjjEEZNS1_14transform_implILb0ES3_S5_N6thrust23THRUST_200600_302600_NS17counting_iteratorIjNS8_11use_defaultESA_SA_EENS8_6detail15normal_iteratorINS8_10device_ptrIjEEEEZNS1_13binary_searchIS3_S5_SG_SB_SG_NS1_21upper_bound_search_opENSC_16wrapped_functionINS0_4lessIvEEbEEEE10hipError_tPvRmT1_T2_T3_mmT4_T5_P12ihipStream_tbEUlRKjE_EESN_SR_SS_mST_SW_bEUlT_E_NS1_11comp_targetILNS1_3genE2ELNS1_11target_archE906ELNS1_3gpuE6ELNS1_3repE0EEENS1_30default_config_static_selectorELNS0_4arch9wavefront6targetE0EEEvSQ_
	.p2align	8
	.type	_ZN7rocprim17ROCPRIM_400000_NS6detail17trampoline_kernelINS0_14default_configENS1_27upper_bound_config_selectorIjjEEZNS1_14transform_implILb0ES3_S5_N6thrust23THRUST_200600_302600_NS17counting_iteratorIjNS8_11use_defaultESA_SA_EENS8_6detail15normal_iteratorINS8_10device_ptrIjEEEEZNS1_13binary_searchIS3_S5_SG_SB_SG_NS1_21upper_bound_search_opENSC_16wrapped_functionINS0_4lessIvEEbEEEE10hipError_tPvRmT1_T2_T3_mmT4_T5_P12ihipStream_tbEUlRKjE_EESN_SR_SS_mST_SW_bEUlT_E_NS1_11comp_targetILNS1_3genE2ELNS1_11target_archE906ELNS1_3gpuE6ELNS1_3repE0EEENS1_30default_config_static_selectorELNS0_4arch9wavefront6targetE0EEEvSQ_,@function
_ZN7rocprim17ROCPRIM_400000_NS6detail17trampoline_kernelINS0_14default_configENS1_27upper_bound_config_selectorIjjEEZNS1_14transform_implILb0ES3_S5_N6thrust23THRUST_200600_302600_NS17counting_iteratorIjNS8_11use_defaultESA_SA_EENS8_6detail15normal_iteratorINS8_10device_ptrIjEEEEZNS1_13binary_searchIS3_S5_SG_SB_SG_NS1_21upper_bound_search_opENSC_16wrapped_functionINS0_4lessIvEEbEEEE10hipError_tPvRmT1_T2_T3_mmT4_T5_P12ihipStream_tbEUlRKjE_EESN_SR_SS_mST_SW_bEUlT_E_NS1_11comp_targetILNS1_3genE2ELNS1_11target_archE906ELNS1_3gpuE6ELNS1_3repE0EEENS1_30default_config_static_selectorELNS0_4arch9wavefront6targetE0EEEvSQ_: ; @_ZN7rocprim17ROCPRIM_400000_NS6detail17trampoline_kernelINS0_14default_configENS1_27upper_bound_config_selectorIjjEEZNS1_14transform_implILb0ES3_S5_N6thrust23THRUST_200600_302600_NS17counting_iteratorIjNS8_11use_defaultESA_SA_EENS8_6detail15normal_iteratorINS8_10device_ptrIjEEEEZNS1_13binary_searchIS3_S5_SG_SB_SG_NS1_21upper_bound_search_opENSC_16wrapped_functionINS0_4lessIvEEbEEEE10hipError_tPvRmT1_T2_T3_mmT4_T5_P12ihipStream_tbEUlRKjE_EESN_SR_SS_mST_SW_bEUlT_E_NS1_11comp_targetILNS1_3genE2ELNS1_11target_archE906ELNS1_3gpuE6ELNS1_3repE0EEENS1_30default_config_static_selectorELNS0_4arch9wavefront6targetE0EEEvSQ_
; %bb.0:
	.section	.rodata,"a",@progbits
	.p2align	6, 0x0
	.amdhsa_kernel _ZN7rocprim17ROCPRIM_400000_NS6detail17trampoline_kernelINS0_14default_configENS1_27upper_bound_config_selectorIjjEEZNS1_14transform_implILb0ES3_S5_N6thrust23THRUST_200600_302600_NS17counting_iteratorIjNS8_11use_defaultESA_SA_EENS8_6detail15normal_iteratorINS8_10device_ptrIjEEEEZNS1_13binary_searchIS3_S5_SG_SB_SG_NS1_21upper_bound_search_opENSC_16wrapped_functionINS0_4lessIvEEbEEEE10hipError_tPvRmT1_T2_T3_mmT4_T5_P12ihipStream_tbEUlRKjE_EESN_SR_SS_mST_SW_bEUlT_E_NS1_11comp_targetILNS1_3genE2ELNS1_11target_archE906ELNS1_3gpuE6ELNS1_3repE0EEENS1_30default_config_static_selectorELNS0_4arch9wavefront6targetE0EEEvSQ_
		.amdhsa_group_segment_fixed_size 0
		.amdhsa_private_segment_fixed_size 0
		.amdhsa_kernarg_size 56
		.amdhsa_user_sgpr_count 2
		.amdhsa_user_sgpr_dispatch_ptr 0
		.amdhsa_user_sgpr_queue_ptr 0
		.amdhsa_user_sgpr_kernarg_segment_ptr 1
		.amdhsa_user_sgpr_dispatch_id 0
		.amdhsa_user_sgpr_private_segment_size 0
		.amdhsa_wavefront_size32 1
		.amdhsa_uses_dynamic_stack 0
		.amdhsa_enable_private_segment 0
		.amdhsa_system_sgpr_workgroup_id_x 1
		.amdhsa_system_sgpr_workgroup_id_y 0
		.amdhsa_system_sgpr_workgroup_id_z 0
		.amdhsa_system_sgpr_workgroup_info 0
		.amdhsa_system_vgpr_workitem_id 0
		.amdhsa_next_free_vgpr 1
		.amdhsa_next_free_sgpr 1
		.amdhsa_reserve_vcc 0
		.amdhsa_float_round_mode_32 0
		.amdhsa_float_round_mode_16_64 0
		.amdhsa_float_denorm_mode_32 3
		.amdhsa_float_denorm_mode_16_64 3
		.amdhsa_fp16_overflow 0
		.amdhsa_workgroup_processor_mode 1
		.amdhsa_memory_ordered 1
		.amdhsa_forward_progress 1
		.amdhsa_inst_pref_size 0
		.amdhsa_round_robin_scheduling 0
		.amdhsa_exception_fp_ieee_invalid_op 0
		.amdhsa_exception_fp_denorm_src 0
		.amdhsa_exception_fp_ieee_div_zero 0
		.amdhsa_exception_fp_ieee_overflow 0
		.amdhsa_exception_fp_ieee_underflow 0
		.amdhsa_exception_fp_ieee_inexact 0
		.amdhsa_exception_int_div_zero 0
	.end_amdhsa_kernel
	.section	.text._ZN7rocprim17ROCPRIM_400000_NS6detail17trampoline_kernelINS0_14default_configENS1_27upper_bound_config_selectorIjjEEZNS1_14transform_implILb0ES3_S5_N6thrust23THRUST_200600_302600_NS17counting_iteratorIjNS8_11use_defaultESA_SA_EENS8_6detail15normal_iteratorINS8_10device_ptrIjEEEEZNS1_13binary_searchIS3_S5_SG_SB_SG_NS1_21upper_bound_search_opENSC_16wrapped_functionINS0_4lessIvEEbEEEE10hipError_tPvRmT1_T2_T3_mmT4_T5_P12ihipStream_tbEUlRKjE_EESN_SR_SS_mST_SW_bEUlT_E_NS1_11comp_targetILNS1_3genE2ELNS1_11target_archE906ELNS1_3gpuE6ELNS1_3repE0EEENS1_30default_config_static_selectorELNS0_4arch9wavefront6targetE0EEEvSQ_,"axG",@progbits,_ZN7rocprim17ROCPRIM_400000_NS6detail17trampoline_kernelINS0_14default_configENS1_27upper_bound_config_selectorIjjEEZNS1_14transform_implILb0ES3_S5_N6thrust23THRUST_200600_302600_NS17counting_iteratorIjNS8_11use_defaultESA_SA_EENS8_6detail15normal_iteratorINS8_10device_ptrIjEEEEZNS1_13binary_searchIS3_S5_SG_SB_SG_NS1_21upper_bound_search_opENSC_16wrapped_functionINS0_4lessIvEEbEEEE10hipError_tPvRmT1_T2_T3_mmT4_T5_P12ihipStream_tbEUlRKjE_EESN_SR_SS_mST_SW_bEUlT_E_NS1_11comp_targetILNS1_3genE2ELNS1_11target_archE906ELNS1_3gpuE6ELNS1_3repE0EEENS1_30default_config_static_selectorELNS0_4arch9wavefront6targetE0EEEvSQ_,comdat
.Lfunc_end243:
	.size	_ZN7rocprim17ROCPRIM_400000_NS6detail17trampoline_kernelINS0_14default_configENS1_27upper_bound_config_selectorIjjEEZNS1_14transform_implILb0ES3_S5_N6thrust23THRUST_200600_302600_NS17counting_iteratorIjNS8_11use_defaultESA_SA_EENS8_6detail15normal_iteratorINS8_10device_ptrIjEEEEZNS1_13binary_searchIS3_S5_SG_SB_SG_NS1_21upper_bound_search_opENSC_16wrapped_functionINS0_4lessIvEEbEEEE10hipError_tPvRmT1_T2_T3_mmT4_T5_P12ihipStream_tbEUlRKjE_EESN_SR_SS_mST_SW_bEUlT_E_NS1_11comp_targetILNS1_3genE2ELNS1_11target_archE906ELNS1_3gpuE6ELNS1_3repE0EEENS1_30default_config_static_selectorELNS0_4arch9wavefront6targetE0EEEvSQ_, .Lfunc_end243-_ZN7rocprim17ROCPRIM_400000_NS6detail17trampoline_kernelINS0_14default_configENS1_27upper_bound_config_selectorIjjEEZNS1_14transform_implILb0ES3_S5_N6thrust23THRUST_200600_302600_NS17counting_iteratorIjNS8_11use_defaultESA_SA_EENS8_6detail15normal_iteratorINS8_10device_ptrIjEEEEZNS1_13binary_searchIS3_S5_SG_SB_SG_NS1_21upper_bound_search_opENSC_16wrapped_functionINS0_4lessIvEEbEEEE10hipError_tPvRmT1_T2_T3_mmT4_T5_P12ihipStream_tbEUlRKjE_EESN_SR_SS_mST_SW_bEUlT_E_NS1_11comp_targetILNS1_3genE2ELNS1_11target_archE906ELNS1_3gpuE6ELNS1_3repE0EEENS1_30default_config_static_selectorELNS0_4arch9wavefront6targetE0EEEvSQ_
                                        ; -- End function
	.set _ZN7rocprim17ROCPRIM_400000_NS6detail17trampoline_kernelINS0_14default_configENS1_27upper_bound_config_selectorIjjEEZNS1_14transform_implILb0ES3_S5_N6thrust23THRUST_200600_302600_NS17counting_iteratorIjNS8_11use_defaultESA_SA_EENS8_6detail15normal_iteratorINS8_10device_ptrIjEEEEZNS1_13binary_searchIS3_S5_SG_SB_SG_NS1_21upper_bound_search_opENSC_16wrapped_functionINS0_4lessIvEEbEEEE10hipError_tPvRmT1_T2_T3_mmT4_T5_P12ihipStream_tbEUlRKjE_EESN_SR_SS_mST_SW_bEUlT_E_NS1_11comp_targetILNS1_3genE2ELNS1_11target_archE906ELNS1_3gpuE6ELNS1_3repE0EEENS1_30default_config_static_selectorELNS0_4arch9wavefront6targetE0EEEvSQ_.num_vgpr, 0
	.set _ZN7rocprim17ROCPRIM_400000_NS6detail17trampoline_kernelINS0_14default_configENS1_27upper_bound_config_selectorIjjEEZNS1_14transform_implILb0ES3_S5_N6thrust23THRUST_200600_302600_NS17counting_iteratorIjNS8_11use_defaultESA_SA_EENS8_6detail15normal_iteratorINS8_10device_ptrIjEEEEZNS1_13binary_searchIS3_S5_SG_SB_SG_NS1_21upper_bound_search_opENSC_16wrapped_functionINS0_4lessIvEEbEEEE10hipError_tPvRmT1_T2_T3_mmT4_T5_P12ihipStream_tbEUlRKjE_EESN_SR_SS_mST_SW_bEUlT_E_NS1_11comp_targetILNS1_3genE2ELNS1_11target_archE906ELNS1_3gpuE6ELNS1_3repE0EEENS1_30default_config_static_selectorELNS0_4arch9wavefront6targetE0EEEvSQ_.num_agpr, 0
	.set _ZN7rocprim17ROCPRIM_400000_NS6detail17trampoline_kernelINS0_14default_configENS1_27upper_bound_config_selectorIjjEEZNS1_14transform_implILb0ES3_S5_N6thrust23THRUST_200600_302600_NS17counting_iteratorIjNS8_11use_defaultESA_SA_EENS8_6detail15normal_iteratorINS8_10device_ptrIjEEEEZNS1_13binary_searchIS3_S5_SG_SB_SG_NS1_21upper_bound_search_opENSC_16wrapped_functionINS0_4lessIvEEbEEEE10hipError_tPvRmT1_T2_T3_mmT4_T5_P12ihipStream_tbEUlRKjE_EESN_SR_SS_mST_SW_bEUlT_E_NS1_11comp_targetILNS1_3genE2ELNS1_11target_archE906ELNS1_3gpuE6ELNS1_3repE0EEENS1_30default_config_static_selectorELNS0_4arch9wavefront6targetE0EEEvSQ_.numbered_sgpr, 0
	.set _ZN7rocprim17ROCPRIM_400000_NS6detail17trampoline_kernelINS0_14default_configENS1_27upper_bound_config_selectorIjjEEZNS1_14transform_implILb0ES3_S5_N6thrust23THRUST_200600_302600_NS17counting_iteratorIjNS8_11use_defaultESA_SA_EENS8_6detail15normal_iteratorINS8_10device_ptrIjEEEEZNS1_13binary_searchIS3_S5_SG_SB_SG_NS1_21upper_bound_search_opENSC_16wrapped_functionINS0_4lessIvEEbEEEE10hipError_tPvRmT1_T2_T3_mmT4_T5_P12ihipStream_tbEUlRKjE_EESN_SR_SS_mST_SW_bEUlT_E_NS1_11comp_targetILNS1_3genE2ELNS1_11target_archE906ELNS1_3gpuE6ELNS1_3repE0EEENS1_30default_config_static_selectorELNS0_4arch9wavefront6targetE0EEEvSQ_.num_named_barrier, 0
	.set _ZN7rocprim17ROCPRIM_400000_NS6detail17trampoline_kernelINS0_14default_configENS1_27upper_bound_config_selectorIjjEEZNS1_14transform_implILb0ES3_S5_N6thrust23THRUST_200600_302600_NS17counting_iteratorIjNS8_11use_defaultESA_SA_EENS8_6detail15normal_iteratorINS8_10device_ptrIjEEEEZNS1_13binary_searchIS3_S5_SG_SB_SG_NS1_21upper_bound_search_opENSC_16wrapped_functionINS0_4lessIvEEbEEEE10hipError_tPvRmT1_T2_T3_mmT4_T5_P12ihipStream_tbEUlRKjE_EESN_SR_SS_mST_SW_bEUlT_E_NS1_11comp_targetILNS1_3genE2ELNS1_11target_archE906ELNS1_3gpuE6ELNS1_3repE0EEENS1_30default_config_static_selectorELNS0_4arch9wavefront6targetE0EEEvSQ_.private_seg_size, 0
	.set _ZN7rocprim17ROCPRIM_400000_NS6detail17trampoline_kernelINS0_14default_configENS1_27upper_bound_config_selectorIjjEEZNS1_14transform_implILb0ES3_S5_N6thrust23THRUST_200600_302600_NS17counting_iteratorIjNS8_11use_defaultESA_SA_EENS8_6detail15normal_iteratorINS8_10device_ptrIjEEEEZNS1_13binary_searchIS3_S5_SG_SB_SG_NS1_21upper_bound_search_opENSC_16wrapped_functionINS0_4lessIvEEbEEEE10hipError_tPvRmT1_T2_T3_mmT4_T5_P12ihipStream_tbEUlRKjE_EESN_SR_SS_mST_SW_bEUlT_E_NS1_11comp_targetILNS1_3genE2ELNS1_11target_archE906ELNS1_3gpuE6ELNS1_3repE0EEENS1_30default_config_static_selectorELNS0_4arch9wavefront6targetE0EEEvSQ_.uses_vcc, 0
	.set _ZN7rocprim17ROCPRIM_400000_NS6detail17trampoline_kernelINS0_14default_configENS1_27upper_bound_config_selectorIjjEEZNS1_14transform_implILb0ES3_S5_N6thrust23THRUST_200600_302600_NS17counting_iteratorIjNS8_11use_defaultESA_SA_EENS8_6detail15normal_iteratorINS8_10device_ptrIjEEEEZNS1_13binary_searchIS3_S5_SG_SB_SG_NS1_21upper_bound_search_opENSC_16wrapped_functionINS0_4lessIvEEbEEEE10hipError_tPvRmT1_T2_T3_mmT4_T5_P12ihipStream_tbEUlRKjE_EESN_SR_SS_mST_SW_bEUlT_E_NS1_11comp_targetILNS1_3genE2ELNS1_11target_archE906ELNS1_3gpuE6ELNS1_3repE0EEENS1_30default_config_static_selectorELNS0_4arch9wavefront6targetE0EEEvSQ_.uses_flat_scratch, 0
	.set _ZN7rocprim17ROCPRIM_400000_NS6detail17trampoline_kernelINS0_14default_configENS1_27upper_bound_config_selectorIjjEEZNS1_14transform_implILb0ES3_S5_N6thrust23THRUST_200600_302600_NS17counting_iteratorIjNS8_11use_defaultESA_SA_EENS8_6detail15normal_iteratorINS8_10device_ptrIjEEEEZNS1_13binary_searchIS3_S5_SG_SB_SG_NS1_21upper_bound_search_opENSC_16wrapped_functionINS0_4lessIvEEbEEEE10hipError_tPvRmT1_T2_T3_mmT4_T5_P12ihipStream_tbEUlRKjE_EESN_SR_SS_mST_SW_bEUlT_E_NS1_11comp_targetILNS1_3genE2ELNS1_11target_archE906ELNS1_3gpuE6ELNS1_3repE0EEENS1_30default_config_static_selectorELNS0_4arch9wavefront6targetE0EEEvSQ_.has_dyn_sized_stack, 0
	.set _ZN7rocprim17ROCPRIM_400000_NS6detail17trampoline_kernelINS0_14default_configENS1_27upper_bound_config_selectorIjjEEZNS1_14transform_implILb0ES3_S5_N6thrust23THRUST_200600_302600_NS17counting_iteratorIjNS8_11use_defaultESA_SA_EENS8_6detail15normal_iteratorINS8_10device_ptrIjEEEEZNS1_13binary_searchIS3_S5_SG_SB_SG_NS1_21upper_bound_search_opENSC_16wrapped_functionINS0_4lessIvEEbEEEE10hipError_tPvRmT1_T2_T3_mmT4_T5_P12ihipStream_tbEUlRKjE_EESN_SR_SS_mST_SW_bEUlT_E_NS1_11comp_targetILNS1_3genE2ELNS1_11target_archE906ELNS1_3gpuE6ELNS1_3repE0EEENS1_30default_config_static_selectorELNS0_4arch9wavefront6targetE0EEEvSQ_.has_recursion, 0
	.set _ZN7rocprim17ROCPRIM_400000_NS6detail17trampoline_kernelINS0_14default_configENS1_27upper_bound_config_selectorIjjEEZNS1_14transform_implILb0ES3_S5_N6thrust23THRUST_200600_302600_NS17counting_iteratorIjNS8_11use_defaultESA_SA_EENS8_6detail15normal_iteratorINS8_10device_ptrIjEEEEZNS1_13binary_searchIS3_S5_SG_SB_SG_NS1_21upper_bound_search_opENSC_16wrapped_functionINS0_4lessIvEEbEEEE10hipError_tPvRmT1_T2_T3_mmT4_T5_P12ihipStream_tbEUlRKjE_EESN_SR_SS_mST_SW_bEUlT_E_NS1_11comp_targetILNS1_3genE2ELNS1_11target_archE906ELNS1_3gpuE6ELNS1_3repE0EEENS1_30default_config_static_selectorELNS0_4arch9wavefront6targetE0EEEvSQ_.has_indirect_call, 0
	.section	.AMDGPU.csdata,"",@progbits
; Kernel info:
; codeLenInByte = 0
; TotalNumSgprs: 0
; NumVgprs: 0
; ScratchSize: 0
; MemoryBound: 0
; FloatMode: 240
; IeeeMode: 1
; LDSByteSize: 0 bytes/workgroup (compile time only)
; SGPRBlocks: 0
; VGPRBlocks: 0
; NumSGPRsForWavesPerEU: 1
; NumVGPRsForWavesPerEU: 1
; Occupancy: 16
; WaveLimiterHint : 0
; COMPUTE_PGM_RSRC2:SCRATCH_EN: 0
; COMPUTE_PGM_RSRC2:USER_SGPR: 2
; COMPUTE_PGM_RSRC2:TRAP_HANDLER: 0
; COMPUTE_PGM_RSRC2:TGID_X_EN: 1
; COMPUTE_PGM_RSRC2:TGID_Y_EN: 0
; COMPUTE_PGM_RSRC2:TGID_Z_EN: 0
; COMPUTE_PGM_RSRC2:TIDIG_COMP_CNT: 0
	.section	.text._ZN7rocprim17ROCPRIM_400000_NS6detail17trampoline_kernelINS0_14default_configENS1_27upper_bound_config_selectorIjjEEZNS1_14transform_implILb0ES3_S5_N6thrust23THRUST_200600_302600_NS17counting_iteratorIjNS8_11use_defaultESA_SA_EENS8_6detail15normal_iteratorINS8_10device_ptrIjEEEEZNS1_13binary_searchIS3_S5_SG_SB_SG_NS1_21upper_bound_search_opENSC_16wrapped_functionINS0_4lessIvEEbEEEE10hipError_tPvRmT1_T2_T3_mmT4_T5_P12ihipStream_tbEUlRKjE_EESN_SR_SS_mST_SW_bEUlT_E_NS1_11comp_targetILNS1_3genE10ELNS1_11target_archE1201ELNS1_3gpuE5ELNS1_3repE0EEENS1_30default_config_static_selectorELNS0_4arch9wavefront6targetE0EEEvSQ_,"axG",@progbits,_ZN7rocprim17ROCPRIM_400000_NS6detail17trampoline_kernelINS0_14default_configENS1_27upper_bound_config_selectorIjjEEZNS1_14transform_implILb0ES3_S5_N6thrust23THRUST_200600_302600_NS17counting_iteratorIjNS8_11use_defaultESA_SA_EENS8_6detail15normal_iteratorINS8_10device_ptrIjEEEEZNS1_13binary_searchIS3_S5_SG_SB_SG_NS1_21upper_bound_search_opENSC_16wrapped_functionINS0_4lessIvEEbEEEE10hipError_tPvRmT1_T2_T3_mmT4_T5_P12ihipStream_tbEUlRKjE_EESN_SR_SS_mST_SW_bEUlT_E_NS1_11comp_targetILNS1_3genE10ELNS1_11target_archE1201ELNS1_3gpuE5ELNS1_3repE0EEENS1_30default_config_static_selectorELNS0_4arch9wavefront6targetE0EEEvSQ_,comdat
	.protected	_ZN7rocprim17ROCPRIM_400000_NS6detail17trampoline_kernelINS0_14default_configENS1_27upper_bound_config_selectorIjjEEZNS1_14transform_implILb0ES3_S5_N6thrust23THRUST_200600_302600_NS17counting_iteratorIjNS8_11use_defaultESA_SA_EENS8_6detail15normal_iteratorINS8_10device_ptrIjEEEEZNS1_13binary_searchIS3_S5_SG_SB_SG_NS1_21upper_bound_search_opENSC_16wrapped_functionINS0_4lessIvEEbEEEE10hipError_tPvRmT1_T2_T3_mmT4_T5_P12ihipStream_tbEUlRKjE_EESN_SR_SS_mST_SW_bEUlT_E_NS1_11comp_targetILNS1_3genE10ELNS1_11target_archE1201ELNS1_3gpuE5ELNS1_3repE0EEENS1_30default_config_static_selectorELNS0_4arch9wavefront6targetE0EEEvSQ_ ; -- Begin function _ZN7rocprim17ROCPRIM_400000_NS6detail17trampoline_kernelINS0_14default_configENS1_27upper_bound_config_selectorIjjEEZNS1_14transform_implILb0ES3_S5_N6thrust23THRUST_200600_302600_NS17counting_iteratorIjNS8_11use_defaultESA_SA_EENS8_6detail15normal_iteratorINS8_10device_ptrIjEEEEZNS1_13binary_searchIS3_S5_SG_SB_SG_NS1_21upper_bound_search_opENSC_16wrapped_functionINS0_4lessIvEEbEEEE10hipError_tPvRmT1_T2_T3_mmT4_T5_P12ihipStream_tbEUlRKjE_EESN_SR_SS_mST_SW_bEUlT_E_NS1_11comp_targetILNS1_3genE10ELNS1_11target_archE1201ELNS1_3gpuE5ELNS1_3repE0EEENS1_30default_config_static_selectorELNS0_4arch9wavefront6targetE0EEEvSQ_
	.globl	_ZN7rocprim17ROCPRIM_400000_NS6detail17trampoline_kernelINS0_14default_configENS1_27upper_bound_config_selectorIjjEEZNS1_14transform_implILb0ES3_S5_N6thrust23THRUST_200600_302600_NS17counting_iteratorIjNS8_11use_defaultESA_SA_EENS8_6detail15normal_iteratorINS8_10device_ptrIjEEEEZNS1_13binary_searchIS3_S5_SG_SB_SG_NS1_21upper_bound_search_opENSC_16wrapped_functionINS0_4lessIvEEbEEEE10hipError_tPvRmT1_T2_T3_mmT4_T5_P12ihipStream_tbEUlRKjE_EESN_SR_SS_mST_SW_bEUlT_E_NS1_11comp_targetILNS1_3genE10ELNS1_11target_archE1201ELNS1_3gpuE5ELNS1_3repE0EEENS1_30default_config_static_selectorELNS0_4arch9wavefront6targetE0EEEvSQ_
	.p2align	8
	.type	_ZN7rocprim17ROCPRIM_400000_NS6detail17trampoline_kernelINS0_14default_configENS1_27upper_bound_config_selectorIjjEEZNS1_14transform_implILb0ES3_S5_N6thrust23THRUST_200600_302600_NS17counting_iteratorIjNS8_11use_defaultESA_SA_EENS8_6detail15normal_iteratorINS8_10device_ptrIjEEEEZNS1_13binary_searchIS3_S5_SG_SB_SG_NS1_21upper_bound_search_opENSC_16wrapped_functionINS0_4lessIvEEbEEEE10hipError_tPvRmT1_T2_T3_mmT4_T5_P12ihipStream_tbEUlRKjE_EESN_SR_SS_mST_SW_bEUlT_E_NS1_11comp_targetILNS1_3genE10ELNS1_11target_archE1201ELNS1_3gpuE5ELNS1_3repE0EEENS1_30default_config_static_selectorELNS0_4arch9wavefront6targetE0EEEvSQ_,@function
_ZN7rocprim17ROCPRIM_400000_NS6detail17trampoline_kernelINS0_14default_configENS1_27upper_bound_config_selectorIjjEEZNS1_14transform_implILb0ES3_S5_N6thrust23THRUST_200600_302600_NS17counting_iteratorIjNS8_11use_defaultESA_SA_EENS8_6detail15normal_iteratorINS8_10device_ptrIjEEEEZNS1_13binary_searchIS3_S5_SG_SB_SG_NS1_21upper_bound_search_opENSC_16wrapped_functionINS0_4lessIvEEbEEEE10hipError_tPvRmT1_T2_T3_mmT4_T5_P12ihipStream_tbEUlRKjE_EESN_SR_SS_mST_SW_bEUlT_E_NS1_11comp_targetILNS1_3genE10ELNS1_11target_archE1201ELNS1_3gpuE5ELNS1_3repE0EEENS1_30default_config_static_selectorELNS0_4arch9wavefront6targetE0EEEvSQ_: ; @_ZN7rocprim17ROCPRIM_400000_NS6detail17trampoline_kernelINS0_14default_configENS1_27upper_bound_config_selectorIjjEEZNS1_14transform_implILb0ES3_S5_N6thrust23THRUST_200600_302600_NS17counting_iteratorIjNS8_11use_defaultESA_SA_EENS8_6detail15normal_iteratorINS8_10device_ptrIjEEEEZNS1_13binary_searchIS3_S5_SG_SB_SG_NS1_21upper_bound_search_opENSC_16wrapped_functionINS0_4lessIvEEbEEEE10hipError_tPvRmT1_T2_T3_mmT4_T5_P12ihipStream_tbEUlRKjE_EESN_SR_SS_mST_SW_bEUlT_E_NS1_11comp_targetILNS1_3genE10ELNS1_11target_archE1201ELNS1_3gpuE5ELNS1_3repE0EEENS1_30default_config_static_selectorELNS0_4arch9wavefront6targetE0EEEvSQ_
; %bb.0:
	s_clause 0x4
	s_load_b32 s13, s[0:1], 0x0
	s_load_b64 s[2:3], s[0:1], 0x8
	s_load_b32 s12, s[0:1], 0x38
	s_load_b128 s[4:7], s[0:1], 0x18
	s_load_b64 s[10:11], s[0:1], 0x28
	s_mov_b32 s9, 0
	s_lshl_b32 s8, ttmp9, 7
	s_mov_b32 s14, -1
                                        ; implicit-def: $vgpr1
	s_wait_kmcnt 0x0
	s_add_co_i32 s13, s13, s2
	s_add_co_i32 s12, s12, -1
	s_delay_alu instid0(SALU_CYCLE_1)
	s_cmp_lg_u32 ttmp9, s12
	s_mov_b32 s12, s9
	s_cbranch_scc1 .LBB244_4
; %bb.1:
	s_and_not1_b32 vcc_lo, exec_lo, s14
	s_cbranch_vccz .LBB244_10
.LBB244_2:
	s_wait_alu 0xfffe
	s_and_saveexec_b32 s0, s12
	s_cbranch_execnz .LBB244_18
.LBB244_3:
	s_endpgm
.LBB244_4:
	s_cmp_eq_u64 s[10:11], 0
	s_cbranch_scc1 .LBB244_8
; %bb.5:
	v_mov_b32_e32 v1, 0
	v_dual_mov_b32 v2, 0 :: v_dual_mov_b32 v3, s10
	v_add3_u32 v5, s13, s8, v0
	v_mov_b32_e32 v4, s11
	s_mov_b32 s12, 0
.LBB244_6:                              ; =>This Inner Loop Header: Depth=1
	s_delay_alu instid0(VALU_DEP_3) | instskip(SKIP_1) | instid1(VALU_DEP_2)
	v_sub_co_u32 v6, vcc_lo, v3, v1
	s_wait_alu 0xfffd
	v_sub_co_ci_u32_e64 v7, null, v4, v2, vcc_lo
	s_delay_alu instid0(VALU_DEP_1) | instskip(SKIP_1) | instid1(VALU_DEP_2)
	v_lshrrev_b64 v[8:9], 1, v[6:7]
	v_lshrrev_b64 v[6:7], 6, v[6:7]
	v_add_co_u32 v8, vcc_lo, v8, v1
	s_wait_alu 0xfffd
	s_delay_alu instid0(VALU_DEP_3) | instskip(NEXT) | instid1(VALU_DEP_2)
	v_add_co_ci_u32_e64 v9, null, v9, v2, vcc_lo
	v_add_co_u32 v6, vcc_lo, v8, v6
	s_wait_alu 0xfffd
	s_delay_alu instid0(VALU_DEP_2) | instskip(NEXT) | instid1(VALU_DEP_1)
	v_add_co_ci_u32_e64 v7, null, v9, v7, vcc_lo
	v_lshlrev_b64_e32 v[8:9], 2, v[6:7]
	s_delay_alu instid0(VALU_DEP_1) | instskip(SKIP_1) | instid1(VALU_DEP_2)
	v_add_co_u32 v8, vcc_lo, s6, v8
	s_wait_alu 0xfffd
	v_add_co_ci_u32_e64 v9, null, s7, v9, vcc_lo
	global_load_b32 v8, v[8:9], off
	v_add_co_u32 v9, vcc_lo, v6, 1
	s_wait_alu 0xfffd
	v_add_co_ci_u32_e64 v10, null, 0, v7, vcc_lo
	s_wait_loadcnt 0x0
	v_cmp_lt_u32_e32 vcc_lo, v5, v8
	s_wait_alu 0xfffd
	v_dual_cndmask_b32 v4, v4, v7 :: v_dual_cndmask_b32 v3, v3, v6
	v_dual_cndmask_b32 v2, v10, v2 :: v_dual_cndmask_b32 v1, v9, v1
	s_delay_alu instid0(VALU_DEP_1)
	v_cmp_ge_u64_e32 vcc_lo, v[1:2], v[3:4]
	s_wait_alu 0xfffe
	s_or_b32 s12, vcc_lo, s12
	s_wait_alu 0xfffe
	s_and_not1_b32 exec_lo, exec_lo, s12
	s_cbranch_execnz .LBB244_6
; %bb.7:
	s_or_b32 exec_lo, exec_lo, s12
	s_branch .LBB244_9
.LBB244_8:
	v_mov_b32_e32 v1, 0
.LBB244_9:
	s_mov_b32 s12, -1
	s_cbranch_execnz .LBB244_2
.LBB244_10:
	s_load_b32 s0, s[0:1], 0x10
                                        ; implicit-def: $vgpr1
	s_wait_kmcnt 0x0
	s_sub_co_i32 s0, s0, s8
	s_delay_alu instid0(SALU_CYCLE_1)
	v_cmp_gt_u32_e32 vcc_lo, s0, v0
	s_and_saveexec_b32 s0, vcc_lo
	s_cbranch_execz .LBB244_17
; %bb.11:
	s_cmp_eq_u64 s[10:11], 0
	s_cbranch_scc1 .LBB244_15
; %bb.12:
	v_mov_b32_e32 v1, 0
	v_dual_mov_b32 v2, 0 :: v_dual_mov_b32 v3, s10
	v_add3_u32 v5, s13, s8, v0
	v_mov_b32_e32 v4, s11
	s_mov_b32 s1, 0
.LBB244_13:                             ; =>This Inner Loop Header: Depth=1
	s_delay_alu instid0(VALU_DEP_3) | instskip(SKIP_1) | instid1(VALU_DEP_2)
	v_sub_co_u32 v6, vcc_lo, v3, v1
	s_wait_alu 0xfffd
	v_sub_co_ci_u32_e64 v7, null, v4, v2, vcc_lo
	s_delay_alu instid0(VALU_DEP_1) | instskip(SKIP_1) | instid1(VALU_DEP_2)
	v_lshrrev_b64 v[8:9], 1, v[6:7]
	v_lshrrev_b64 v[6:7], 6, v[6:7]
	v_add_co_u32 v8, vcc_lo, v8, v1
	s_wait_alu 0xfffd
	s_delay_alu instid0(VALU_DEP_3) | instskip(NEXT) | instid1(VALU_DEP_2)
	v_add_co_ci_u32_e64 v9, null, v9, v2, vcc_lo
	v_add_co_u32 v6, vcc_lo, v8, v6
	s_wait_alu 0xfffd
	s_delay_alu instid0(VALU_DEP_2) | instskip(NEXT) | instid1(VALU_DEP_1)
	v_add_co_ci_u32_e64 v7, null, v9, v7, vcc_lo
	v_lshlrev_b64_e32 v[8:9], 2, v[6:7]
	s_delay_alu instid0(VALU_DEP_1) | instskip(SKIP_1) | instid1(VALU_DEP_2)
	v_add_co_u32 v8, vcc_lo, s6, v8
	s_wait_alu 0xfffd
	v_add_co_ci_u32_e64 v9, null, s7, v9, vcc_lo
	global_load_b32 v8, v[8:9], off
	v_add_co_u32 v9, vcc_lo, v6, 1
	s_wait_alu 0xfffd
	v_add_co_ci_u32_e64 v10, null, 0, v7, vcc_lo
	s_wait_loadcnt 0x0
	v_cmp_lt_u32_e32 vcc_lo, v5, v8
	s_wait_alu 0xfffd
	v_dual_cndmask_b32 v4, v4, v7 :: v_dual_cndmask_b32 v3, v3, v6
	v_dual_cndmask_b32 v2, v10, v2 :: v_dual_cndmask_b32 v1, v9, v1
	s_delay_alu instid0(VALU_DEP_1)
	v_cmp_ge_u64_e32 vcc_lo, v[1:2], v[3:4]
	s_wait_alu 0xfffe
	s_or_b32 s1, vcc_lo, s1
	s_wait_alu 0xfffe
	s_and_not1_b32 exec_lo, exec_lo, s1
	s_cbranch_execnz .LBB244_13
; %bb.14:
	s_or_b32 exec_lo, exec_lo, s1
	s_branch .LBB244_16
.LBB244_15:
	v_mov_b32_e32 v1, 0
.LBB244_16:
	s_or_b32 s12, s12, exec_lo
.LBB244_17:
	s_wait_alu 0xfffe
	s_or_b32 exec_lo, exec_lo, s0
	s_and_saveexec_b32 s0, s12
	s_cbranch_execz .LBB244_3
.LBB244_18:
	s_lshl_b64 s[0:1], s[2:3], 2
	v_lshlrev_b32_e32 v0, 2, v0
	s_lshl_b64 s[2:3], s[8:9], 2
	s_wait_alu 0xfffe
	s_add_nc_u64 s[0:1], s[4:5], s[0:1]
	s_wait_alu 0xfffe
	s_add_nc_u64 s[0:1], s[0:1], s[2:3]
	s_wait_alu 0xfffe
	v_add_co_u32 v2, s0, s0, v0
	s_wait_alu 0xf1ff
	v_add_co_ci_u32_e64 v3, null, s1, 0, s0
	flat_store_b32 v[2:3], v1
	s_endpgm
	.section	.rodata,"a",@progbits
	.p2align	6, 0x0
	.amdhsa_kernel _ZN7rocprim17ROCPRIM_400000_NS6detail17trampoline_kernelINS0_14default_configENS1_27upper_bound_config_selectorIjjEEZNS1_14transform_implILb0ES3_S5_N6thrust23THRUST_200600_302600_NS17counting_iteratorIjNS8_11use_defaultESA_SA_EENS8_6detail15normal_iteratorINS8_10device_ptrIjEEEEZNS1_13binary_searchIS3_S5_SG_SB_SG_NS1_21upper_bound_search_opENSC_16wrapped_functionINS0_4lessIvEEbEEEE10hipError_tPvRmT1_T2_T3_mmT4_T5_P12ihipStream_tbEUlRKjE_EESN_SR_SS_mST_SW_bEUlT_E_NS1_11comp_targetILNS1_3genE10ELNS1_11target_archE1201ELNS1_3gpuE5ELNS1_3repE0EEENS1_30default_config_static_selectorELNS0_4arch9wavefront6targetE0EEEvSQ_
		.amdhsa_group_segment_fixed_size 0
		.amdhsa_private_segment_fixed_size 0
		.amdhsa_kernarg_size 312
		.amdhsa_user_sgpr_count 2
		.amdhsa_user_sgpr_dispatch_ptr 0
		.amdhsa_user_sgpr_queue_ptr 0
		.amdhsa_user_sgpr_kernarg_segment_ptr 1
		.amdhsa_user_sgpr_dispatch_id 0
		.amdhsa_user_sgpr_private_segment_size 0
		.amdhsa_wavefront_size32 1
		.amdhsa_uses_dynamic_stack 0
		.amdhsa_enable_private_segment 0
		.amdhsa_system_sgpr_workgroup_id_x 1
		.amdhsa_system_sgpr_workgroup_id_y 0
		.amdhsa_system_sgpr_workgroup_id_z 0
		.amdhsa_system_sgpr_workgroup_info 0
		.amdhsa_system_vgpr_workitem_id 0
		.amdhsa_next_free_vgpr 11
		.amdhsa_next_free_sgpr 15
		.amdhsa_reserve_vcc 1
		.amdhsa_float_round_mode_32 0
		.amdhsa_float_round_mode_16_64 0
		.amdhsa_float_denorm_mode_32 3
		.amdhsa_float_denorm_mode_16_64 3
		.amdhsa_fp16_overflow 0
		.amdhsa_workgroup_processor_mode 1
		.amdhsa_memory_ordered 1
		.amdhsa_forward_progress 1
		.amdhsa_inst_pref_size 6
		.amdhsa_round_robin_scheduling 0
		.amdhsa_exception_fp_ieee_invalid_op 0
		.amdhsa_exception_fp_denorm_src 0
		.amdhsa_exception_fp_ieee_div_zero 0
		.amdhsa_exception_fp_ieee_overflow 0
		.amdhsa_exception_fp_ieee_underflow 0
		.amdhsa_exception_fp_ieee_inexact 0
		.amdhsa_exception_int_div_zero 0
	.end_amdhsa_kernel
	.section	.text._ZN7rocprim17ROCPRIM_400000_NS6detail17trampoline_kernelINS0_14default_configENS1_27upper_bound_config_selectorIjjEEZNS1_14transform_implILb0ES3_S5_N6thrust23THRUST_200600_302600_NS17counting_iteratorIjNS8_11use_defaultESA_SA_EENS8_6detail15normal_iteratorINS8_10device_ptrIjEEEEZNS1_13binary_searchIS3_S5_SG_SB_SG_NS1_21upper_bound_search_opENSC_16wrapped_functionINS0_4lessIvEEbEEEE10hipError_tPvRmT1_T2_T3_mmT4_T5_P12ihipStream_tbEUlRKjE_EESN_SR_SS_mST_SW_bEUlT_E_NS1_11comp_targetILNS1_3genE10ELNS1_11target_archE1201ELNS1_3gpuE5ELNS1_3repE0EEENS1_30default_config_static_selectorELNS0_4arch9wavefront6targetE0EEEvSQ_,"axG",@progbits,_ZN7rocprim17ROCPRIM_400000_NS6detail17trampoline_kernelINS0_14default_configENS1_27upper_bound_config_selectorIjjEEZNS1_14transform_implILb0ES3_S5_N6thrust23THRUST_200600_302600_NS17counting_iteratorIjNS8_11use_defaultESA_SA_EENS8_6detail15normal_iteratorINS8_10device_ptrIjEEEEZNS1_13binary_searchIS3_S5_SG_SB_SG_NS1_21upper_bound_search_opENSC_16wrapped_functionINS0_4lessIvEEbEEEE10hipError_tPvRmT1_T2_T3_mmT4_T5_P12ihipStream_tbEUlRKjE_EESN_SR_SS_mST_SW_bEUlT_E_NS1_11comp_targetILNS1_3genE10ELNS1_11target_archE1201ELNS1_3gpuE5ELNS1_3repE0EEENS1_30default_config_static_selectorELNS0_4arch9wavefront6targetE0EEEvSQ_,comdat
.Lfunc_end244:
	.size	_ZN7rocprim17ROCPRIM_400000_NS6detail17trampoline_kernelINS0_14default_configENS1_27upper_bound_config_selectorIjjEEZNS1_14transform_implILb0ES3_S5_N6thrust23THRUST_200600_302600_NS17counting_iteratorIjNS8_11use_defaultESA_SA_EENS8_6detail15normal_iteratorINS8_10device_ptrIjEEEEZNS1_13binary_searchIS3_S5_SG_SB_SG_NS1_21upper_bound_search_opENSC_16wrapped_functionINS0_4lessIvEEbEEEE10hipError_tPvRmT1_T2_T3_mmT4_T5_P12ihipStream_tbEUlRKjE_EESN_SR_SS_mST_SW_bEUlT_E_NS1_11comp_targetILNS1_3genE10ELNS1_11target_archE1201ELNS1_3gpuE5ELNS1_3repE0EEENS1_30default_config_static_selectorELNS0_4arch9wavefront6targetE0EEEvSQ_, .Lfunc_end244-_ZN7rocprim17ROCPRIM_400000_NS6detail17trampoline_kernelINS0_14default_configENS1_27upper_bound_config_selectorIjjEEZNS1_14transform_implILb0ES3_S5_N6thrust23THRUST_200600_302600_NS17counting_iteratorIjNS8_11use_defaultESA_SA_EENS8_6detail15normal_iteratorINS8_10device_ptrIjEEEEZNS1_13binary_searchIS3_S5_SG_SB_SG_NS1_21upper_bound_search_opENSC_16wrapped_functionINS0_4lessIvEEbEEEE10hipError_tPvRmT1_T2_T3_mmT4_T5_P12ihipStream_tbEUlRKjE_EESN_SR_SS_mST_SW_bEUlT_E_NS1_11comp_targetILNS1_3genE10ELNS1_11target_archE1201ELNS1_3gpuE5ELNS1_3repE0EEENS1_30default_config_static_selectorELNS0_4arch9wavefront6targetE0EEEvSQ_
                                        ; -- End function
	.set _ZN7rocprim17ROCPRIM_400000_NS6detail17trampoline_kernelINS0_14default_configENS1_27upper_bound_config_selectorIjjEEZNS1_14transform_implILb0ES3_S5_N6thrust23THRUST_200600_302600_NS17counting_iteratorIjNS8_11use_defaultESA_SA_EENS8_6detail15normal_iteratorINS8_10device_ptrIjEEEEZNS1_13binary_searchIS3_S5_SG_SB_SG_NS1_21upper_bound_search_opENSC_16wrapped_functionINS0_4lessIvEEbEEEE10hipError_tPvRmT1_T2_T3_mmT4_T5_P12ihipStream_tbEUlRKjE_EESN_SR_SS_mST_SW_bEUlT_E_NS1_11comp_targetILNS1_3genE10ELNS1_11target_archE1201ELNS1_3gpuE5ELNS1_3repE0EEENS1_30default_config_static_selectorELNS0_4arch9wavefront6targetE0EEEvSQ_.num_vgpr, 11
	.set _ZN7rocprim17ROCPRIM_400000_NS6detail17trampoline_kernelINS0_14default_configENS1_27upper_bound_config_selectorIjjEEZNS1_14transform_implILb0ES3_S5_N6thrust23THRUST_200600_302600_NS17counting_iteratorIjNS8_11use_defaultESA_SA_EENS8_6detail15normal_iteratorINS8_10device_ptrIjEEEEZNS1_13binary_searchIS3_S5_SG_SB_SG_NS1_21upper_bound_search_opENSC_16wrapped_functionINS0_4lessIvEEbEEEE10hipError_tPvRmT1_T2_T3_mmT4_T5_P12ihipStream_tbEUlRKjE_EESN_SR_SS_mST_SW_bEUlT_E_NS1_11comp_targetILNS1_3genE10ELNS1_11target_archE1201ELNS1_3gpuE5ELNS1_3repE0EEENS1_30default_config_static_selectorELNS0_4arch9wavefront6targetE0EEEvSQ_.num_agpr, 0
	.set _ZN7rocprim17ROCPRIM_400000_NS6detail17trampoline_kernelINS0_14default_configENS1_27upper_bound_config_selectorIjjEEZNS1_14transform_implILb0ES3_S5_N6thrust23THRUST_200600_302600_NS17counting_iteratorIjNS8_11use_defaultESA_SA_EENS8_6detail15normal_iteratorINS8_10device_ptrIjEEEEZNS1_13binary_searchIS3_S5_SG_SB_SG_NS1_21upper_bound_search_opENSC_16wrapped_functionINS0_4lessIvEEbEEEE10hipError_tPvRmT1_T2_T3_mmT4_T5_P12ihipStream_tbEUlRKjE_EESN_SR_SS_mST_SW_bEUlT_E_NS1_11comp_targetILNS1_3genE10ELNS1_11target_archE1201ELNS1_3gpuE5ELNS1_3repE0EEENS1_30default_config_static_selectorELNS0_4arch9wavefront6targetE0EEEvSQ_.numbered_sgpr, 15
	.set _ZN7rocprim17ROCPRIM_400000_NS6detail17trampoline_kernelINS0_14default_configENS1_27upper_bound_config_selectorIjjEEZNS1_14transform_implILb0ES3_S5_N6thrust23THRUST_200600_302600_NS17counting_iteratorIjNS8_11use_defaultESA_SA_EENS8_6detail15normal_iteratorINS8_10device_ptrIjEEEEZNS1_13binary_searchIS3_S5_SG_SB_SG_NS1_21upper_bound_search_opENSC_16wrapped_functionINS0_4lessIvEEbEEEE10hipError_tPvRmT1_T2_T3_mmT4_T5_P12ihipStream_tbEUlRKjE_EESN_SR_SS_mST_SW_bEUlT_E_NS1_11comp_targetILNS1_3genE10ELNS1_11target_archE1201ELNS1_3gpuE5ELNS1_3repE0EEENS1_30default_config_static_selectorELNS0_4arch9wavefront6targetE0EEEvSQ_.num_named_barrier, 0
	.set _ZN7rocprim17ROCPRIM_400000_NS6detail17trampoline_kernelINS0_14default_configENS1_27upper_bound_config_selectorIjjEEZNS1_14transform_implILb0ES3_S5_N6thrust23THRUST_200600_302600_NS17counting_iteratorIjNS8_11use_defaultESA_SA_EENS8_6detail15normal_iteratorINS8_10device_ptrIjEEEEZNS1_13binary_searchIS3_S5_SG_SB_SG_NS1_21upper_bound_search_opENSC_16wrapped_functionINS0_4lessIvEEbEEEE10hipError_tPvRmT1_T2_T3_mmT4_T5_P12ihipStream_tbEUlRKjE_EESN_SR_SS_mST_SW_bEUlT_E_NS1_11comp_targetILNS1_3genE10ELNS1_11target_archE1201ELNS1_3gpuE5ELNS1_3repE0EEENS1_30default_config_static_selectorELNS0_4arch9wavefront6targetE0EEEvSQ_.private_seg_size, 0
	.set _ZN7rocprim17ROCPRIM_400000_NS6detail17trampoline_kernelINS0_14default_configENS1_27upper_bound_config_selectorIjjEEZNS1_14transform_implILb0ES3_S5_N6thrust23THRUST_200600_302600_NS17counting_iteratorIjNS8_11use_defaultESA_SA_EENS8_6detail15normal_iteratorINS8_10device_ptrIjEEEEZNS1_13binary_searchIS3_S5_SG_SB_SG_NS1_21upper_bound_search_opENSC_16wrapped_functionINS0_4lessIvEEbEEEE10hipError_tPvRmT1_T2_T3_mmT4_T5_P12ihipStream_tbEUlRKjE_EESN_SR_SS_mST_SW_bEUlT_E_NS1_11comp_targetILNS1_3genE10ELNS1_11target_archE1201ELNS1_3gpuE5ELNS1_3repE0EEENS1_30default_config_static_selectorELNS0_4arch9wavefront6targetE0EEEvSQ_.uses_vcc, 1
	.set _ZN7rocprim17ROCPRIM_400000_NS6detail17trampoline_kernelINS0_14default_configENS1_27upper_bound_config_selectorIjjEEZNS1_14transform_implILb0ES3_S5_N6thrust23THRUST_200600_302600_NS17counting_iteratorIjNS8_11use_defaultESA_SA_EENS8_6detail15normal_iteratorINS8_10device_ptrIjEEEEZNS1_13binary_searchIS3_S5_SG_SB_SG_NS1_21upper_bound_search_opENSC_16wrapped_functionINS0_4lessIvEEbEEEE10hipError_tPvRmT1_T2_T3_mmT4_T5_P12ihipStream_tbEUlRKjE_EESN_SR_SS_mST_SW_bEUlT_E_NS1_11comp_targetILNS1_3genE10ELNS1_11target_archE1201ELNS1_3gpuE5ELNS1_3repE0EEENS1_30default_config_static_selectorELNS0_4arch9wavefront6targetE0EEEvSQ_.uses_flat_scratch, 0
	.set _ZN7rocprim17ROCPRIM_400000_NS6detail17trampoline_kernelINS0_14default_configENS1_27upper_bound_config_selectorIjjEEZNS1_14transform_implILb0ES3_S5_N6thrust23THRUST_200600_302600_NS17counting_iteratorIjNS8_11use_defaultESA_SA_EENS8_6detail15normal_iteratorINS8_10device_ptrIjEEEEZNS1_13binary_searchIS3_S5_SG_SB_SG_NS1_21upper_bound_search_opENSC_16wrapped_functionINS0_4lessIvEEbEEEE10hipError_tPvRmT1_T2_T3_mmT4_T5_P12ihipStream_tbEUlRKjE_EESN_SR_SS_mST_SW_bEUlT_E_NS1_11comp_targetILNS1_3genE10ELNS1_11target_archE1201ELNS1_3gpuE5ELNS1_3repE0EEENS1_30default_config_static_selectorELNS0_4arch9wavefront6targetE0EEEvSQ_.has_dyn_sized_stack, 0
	.set _ZN7rocprim17ROCPRIM_400000_NS6detail17trampoline_kernelINS0_14default_configENS1_27upper_bound_config_selectorIjjEEZNS1_14transform_implILb0ES3_S5_N6thrust23THRUST_200600_302600_NS17counting_iteratorIjNS8_11use_defaultESA_SA_EENS8_6detail15normal_iteratorINS8_10device_ptrIjEEEEZNS1_13binary_searchIS3_S5_SG_SB_SG_NS1_21upper_bound_search_opENSC_16wrapped_functionINS0_4lessIvEEbEEEE10hipError_tPvRmT1_T2_T3_mmT4_T5_P12ihipStream_tbEUlRKjE_EESN_SR_SS_mST_SW_bEUlT_E_NS1_11comp_targetILNS1_3genE10ELNS1_11target_archE1201ELNS1_3gpuE5ELNS1_3repE0EEENS1_30default_config_static_selectorELNS0_4arch9wavefront6targetE0EEEvSQ_.has_recursion, 0
	.set _ZN7rocprim17ROCPRIM_400000_NS6detail17trampoline_kernelINS0_14default_configENS1_27upper_bound_config_selectorIjjEEZNS1_14transform_implILb0ES3_S5_N6thrust23THRUST_200600_302600_NS17counting_iteratorIjNS8_11use_defaultESA_SA_EENS8_6detail15normal_iteratorINS8_10device_ptrIjEEEEZNS1_13binary_searchIS3_S5_SG_SB_SG_NS1_21upper_bound_search_opENSC_16wrapped_functionINS0_4lessIvEEbEEEE10hipError_tPvRmT1_T2_T3_mmT4_T5_P12ihipStream_tbEUlRKjE_EESN_SR_SS_mST_SW_bEUlT_E_NS1_11comp_targetILNS1_3genE10ELNS1_11target_archE1201ELNS1_3gpuE5ELNS1_3repE0EEENS1_30default_config_static_selectorELNS0_4arch9wavefront6targetE0EEEvSQ_.has_indirect_call, 0
	.section	.AMDGPU.csdata,"",@progbits
; Kernel info:
; codeLenInByte = 748
; TotalNumSgprs: 17
; NumVgprs: 11
; ScratchSize: 0
; MemoryBound: 0
; FloatMode: 240
; IeeeMode: 1
; LDSByteSize: 0 bytes/workgroup (compile time only)
; SGPRBlocks: 0
; VGPRBlocks: 1
; NumSGPRsForWavesPerEU: 17
; NumVGPRsForWavesPerEU: 11
; Occupancy: 16
; WaveLimiterHint : 0
; COMPUTE_PGM_RSRC2:SCRATCH_EN: 0
; COMPUTE_PGM_RSRC2:USER_SGPR: 2
; COMPUTE_PGM_RSRC2:TRAP_HANDLER: 0
; COMPUTE_PGM_RSRC2:TGID_X_EN: 1
; COMPUTE_PGM_RSRC2:TGID_Y_EN: 0
; COMPUTE_PGM_RSRC2:TGID_Z_EN: 0
; COMPUTE_PGM_RSRC2:TIDIG_COMP_CNT: 0
	.section	.text._ZN7rocprim17ROCPRIM_400000_NS6detail17trampoline_kernelINS0_14default_configENS1_27upper_bound_config_selectorIjjEEZNS1_14transform_implILb0ES3_S5_N6thrust23THRUST_200600_302600_NS17counting_iteratorIjNS8_11use_defaultESA_SA_EENS8_6detail15normal_iteratorINS8_10device_ptrIjEEEEZNS1_13binary_searchIS3_S5_SG_SB_SG_NS1_21upper_bound_search_opENSC_16wrapped_functionINS0_4lessIvEEbEEEE10hipError_tPvRmT1_T2_T3_mmT4_T5_P12ihipStream_tbEUlRKjE_EESN_SR_SS_mST_SW_bEUlT_E_NS1_11comp_targetILNS1_3genE10ELNS1_11target_archE1200ELNS1_3gpuE4ELNS1_3repE0EEENS1_30default_config_static_selectorELNS0_4arch9wavefront6targetE0EEEvSQ_,"axG",@progbits,_ZN7rocprim17ROCPRIM_400000_NS6detail17trampoline_kernelINS0_14default_configENS1_27upper_bound_config_selectorIjjEEZNS1_14transform_implILb0ES3_S5_N6thrust23THRUST_200600_302600_NS17counting_iteratorIjNS8_11use_defaultESA_SA_EENS8_6detail15normal_iteratorINS8_10device_ptrIjEEEEZNS1_13binary_searchIS3_S5_SG_SB_SG_NS1_21upper_bound_search_opENSC_16wrapped_functionINS0_4lessIvEEbEEEE10hipError_tPvRmT1_T2_T3_mmT4_T5_P12ihipStream_tbEUlRKjE_EESN_SR_SS_mST_SW_bEUlT_E_NS1_11comp_targetILNS1_3genE10ELNS1_11target_archE1200ELNS1_3gpuE4ELNS1_3repE0EEENS1_30default_config_static_selectorELNS0_4arch9wavefront6targetE0EEEvSQ_,comdat
	.protected	_ZN7rocprim17ROCPRIM_400000_NS6detail17trampoline_kernelINS0_14default_configENS1_27upper_bound_config_selectorIjjEEZNS1_14transform_implILb0ES3_S5_N6thrust23THRUST_200600_302600_NS17counting_iteratorIjNS8_11use_defaultESA_SA_EENS8_6detail15normal_iteratorINS8_10device_ptrIjEEEEZNS1_13binary_searchIS3_S5_SG_SB_SG_NS1_21upper_bound_search_opENSC_16wrapped_functionINS0_4lessIvEEbEEEE10hipError_tPvRmT1_T2_T3_mmT4_T5_P12ihipStream_tbEUlRKjE_EESN_SR_SS_mST_SW_bEUlT_E_NS1_11comp_targetILNS1_3genE10ELNS1_11target_archE1200ELNS1_3gpuE4ELNS1_3repE0EEENS1_30default_config_static_selectorELNS0_4arch9wavefront6targetE0EEEvSQ_ ; -- Begin function _ZN7rocprim17ROCPRIM_400000_NS6detail17trampoline_kernelINS0_14default_configENS1_27upper_bound_config_selectorIjjEEZNS1_14transform_implILb0ES3_S5_N6thrust23THRUST_200600_302600_NS17counting_iteratorIjNS8_11use_defaultESA_SA_EENS8_6detail15normal_iteratorINS8_10device_ptrIjEEEEZNS1_13binary_searchIS3_S5_SG_SB_SG_NS1_21upper_bound_search_opENSC_16wrapped_functionINS0_4lessIvEEbEEEE10hipError_tPvRmT1_T2_T3_mmT4_T5_P12ihipStream_tbEUlRKjE_EESN_SR_SS_mST_SW_bEUlT_E_NS1_11comp_targetILNS1_3genE10ELNS1_11target_archE1200ELNS1_3gpuE4ELNS1_3repE0EEENS1_30default_config_static_selectorELNS0_4arch9wavefront6targetE0EEEvSQ_
	.globl	_ZN7rocprim17ROCPRIM_400000_NS6detail17trampoline_kernelINS0_14default_configENS1_27upper_bound_config_selectorIjjEEZNS1_14transform_implILb0ES3_S5_N6thrust23THRUST_200600_302600_NS17counting_iteratorIjNS8_11use_defaultESA_SA_EENS8_6detail15normal_iteratorINS8_10device_ptrIjEEEEZNS1_13binary_searchIS3_S5_SG_SB_SG_NS1_21upper_bound_search_opENSC_16wrapped_functionINS0_4lessIvEEbEEEE10hipError_tPvRmT1_T2_T3_mmT4_T5_P12ihipStream_tbEUlRKjE_EESN_SR_SS_mST_SW_bEUlT_E_NS1_11comp_targetILNS1_3genE10ELNS1_11target_archE1200ELNS1_3gpuE4ELNS1_3repE0EEENS1_30default_config_static_selectorELNS0_4arch9wavefront6targetE0EEEvSQ_
	.p2align	8
	.type	_ZN7rocprim17ROCPRIM_400000_NS6detail17trampoline_kernelINS0_14default_configENS1_27upper_bound_config_selectorIjjEEZNS1_14transform_implILb0ES3_S5_N6thrust23THRUST_200600_302600_NS17counting_iteratorIjNS8_11use_defaultESA_SA_EENS8_6detail15normal_iteratorINS8_10device_ptrIjEEEEZNS1_13binary_searchIS3_S5_SG_SB_SG_NS1_21upper_bound_search_opENSC_16wrapped_functionINS0_4lessIvEEbEEEE10hipError_tPvRmT1_T2_T3_mmT4_T5_P12ihipStream_tbEUlRKjE_EESN_SR_SS_mST_SW_bEUlT_E_NS1_11comp_targetILNS1_3genE10ELNS1_11target_archE1200ELNS1_3gpuE4ELNS1_3repE0EEENS1_30default_config_static_selectorELNS0_4arch9wavefront6targetE0EEEvSQ_,@function
_ZN7rocprim17ROCPRIM_400000_NS6detail17trampoline_kernelINS0_14default_configENS1_27upper_bound_config_selectorIjjEEZNS1_14transform_implILb0ES3_S5_N6thrust23THRUST_200600_302600_NS17counting_iteratorIjNS8_11use_defaultESA_SA_EENS8_6detail15normal_iteratorINS8_10device_ptrIjEEEEZNS1_13binary_searchIS3_S5_SG_SB_SG_NS1_21upper_bound_search_opENSC_16wrapped_functionINS0_4lessIvEEbEEEE10hipError_tPvRmT1_T2_T3_mmT4_T5_P12ihipStream_tbEUlRKjE_EESN_SR_SS_mST_SW_bEUlT_E_NS1_11comp_targetILNS1_3genE10ELNS1_11target_archE1200ELNS1_3gpuE4ELNS1_3repE0EEENS1_30default_config_static_selectorELNS0_4arch9wavefront6targetE0EEEvSQ_: ; @_ZN7rocprim17ROCPRIM_400000_NS6detail17trampoline_kernelINS0_14default_configENS1_27upper_bound_config_selectorIjjEEZNS1_14transform_implILb0ES3_S5_N6thrust23THRUST_200600_302600_NS17counting_iteratorIjNS8_11use_defaultESA_SA_EENS8_6detail15normal_iteratorINS8_10device_ptrIjEEEEZNS1_13binary_searchIS3_S5_SG_SB_SG_NS1_21upper_bound_search_opENSC_16wrapped_functionINS0_4lessIvEEbEEEE10hipError_tPvRmT1_T2_T3_mmT4_T5_P12ihipStream_tbEUlRKjE_EESN_SR_SS_mST_SW_bEUlT_E_NS1_11comp_targetILNS1_3genE10ELNS1_11target_archE1200ELNS1_3gpuE4ELNS1_3repE0EEENS1_30default_config_static_selectorELNS0_4arch9wavefront6targetE0EEEvSQ_
; %bb.0:
	.section	.rodata,"a",@progbits
	.p2align	6, 0x0
	.amdhsa_kernel _ZN7rocprim17ROCPRIM_400000_NS6detail17trampoline_kernelINS0_14default_configENS1_27upper_bound_config_selectorIjjEEZNS1_14transform_implILb0ES3_S5_N6thrust23THRUST_200600_302600_NS17counting_iteratorIjNS8_11use_defaultESA_SA_EENS8_6detail15normal_iteratorINS8_10device_ptrIjEEEEZNS1_13binary_searchIS3_S5_SG_SB_SG_NS1_21upper_bound_search_opENSC_16wrapped_functionINS0_4lessIvEEbEEEE10hipError_tPvRmT1_T2_T3_mmT4_T5_P12ihipStream_tbEUlRKjE_EESN_SR_SS_mST_SW_bEUlT_E_NS1_11comp_targetILNS1_3genE10ELNS1_11target_archE1200ELNS1_3gpuE4ELNS1_3repE0EEENS1_30default_config_static_selectorELNS0_4arch9wavefront6targetE0EEEvSQ_
		.amdhsa_group_segment_fixed_size 0
		.amdhsa_private_segment_fixed_size 0
		.amdhsa_kernarg_size 56
		.amdhsa_user_sgpr_count 2
		.amdhsa_user_sgpr_dispatch_ptr 0
		.amdhsa_user_sgpr_queue_ptr 0
		.amdhsa_user_sgpr_kernarg_segment_ptr 1
		.amdhsa_user_sgpr_dispatch_id 0
		.amdhsa_user_sgpr_private_segment_size 0
		.amdhsa_wavefront_size32 1
		.amdhsa_uses_dynamic_stack 0
		.amdhsa_enable_private_segment 0
		.amdhsa_system_sgpr_workgroup_id_x 1
		.amdhsa_system_sgpr_workgroup_id_y 0
		.amdhsa_system_sgpr_workgroup_id_z 0
		.amdhsa_system_sgpr_workgroup_info 0
		.amdhsa_system_vgpr_workitem_id 0
		.amdhsa_next_free_vgpr 1
		.amdhsa_next_free_sgpr 1
		.amdhsa_reserve_vcc 0
		.amdhsa_float_round_mode_32 0
		.amdhsa_float_round_mode_16_64 0
		.amdhsa_float_denorm_mode_32 3
		.amdhsa_float_denorm_mode_16_64 3
		.amdhsa_fp16_overflow 0
		.amdhsa_workgroup_processor_mode 1
		.amdhsa_memory_ordered 1
		.amdhsa_forward_progress 1
		.amdhsa_inst_pref_size 0
		.amdhsa_round_robin_scheduling 0
		.amdhsa_exception_fp_ieee_invalid_op 0
		.amdhsa_exception_fp_denorm_src 0
		.amdhsa_exception_fp_ieee_div_zero 0
		.amdhsa_exception_fp_ieee_overflow 0
		.amdhsa_exception_fp_ieee_underflow 0
		.amdhsa_exception_fp_ieee_inexact 0
		.amdhsa_exception_int_div_zero 0
	.end_amdhsa_kernel
	.section	.text._ZN7rocprim17ROCPRIM_400000_NS6detail17trampoline_kernelINS0_14default_configENS1_27upper_bound_config_selectorIjjEEZNS1_14transform_implILb0ES3_S5_N6thrust23THRUST_200600_302600_NS17counting_iteratorIjNS8_11use_defaultESA_SA_EENS8_6detail15normal_iteratorINS8_10device_ptrIjEEEEZNS1_13binary_searchIS3_S5_SG_SB_SG_NS1_21upper_bound_search_opENSC_16wrapped_functionINS0_4lessIvEEbEEEE10hipError_tPvRmT1_T2_T3_mmT4_T5_P12ihipStream_tbEUlRKjE_EESN_SR_SS_mST_SW_bEUlT_E_NS1_11comp_targetILNS1_3genE10ELNS1_11target_archE1200ELNS1_3gpuE4ELNS1_3repE0EEENS1_30default_config_static_selectorELNS0_4arch9wavefront6targetE0EEEvSQ_,"axG",@progbits,_ZN7rocprim17ROCPRIM_400000_NS6detail17trampoline_kernelINS0_14default_configENS1_27upper_bound_config_selectorIjjEEZNS1_14transform_implILb0ES3_S5_N6thrust23THRUST_200600_302600_NS17counting_iteratorIjNS8_11use_defaultESA_SA_EENS8_6detail15normal_iteratorINS8_10device_ptrIjEEEEZNS1_13binary_searchIS3_S5_SG_SB_SG_NS1_21upper_bound_search_opENSC_16wrapped_functionINS0_4lessIvEEbEEEE10hipError_tPvRmT1_T2_T3_mmT4_T5_P12ihipStream_tbEUlRKjE_EESN_SR_SS_mST_SW_bEUlT_E_NS1_11comp_targetILNS1_3genE10ELNS1_11target_archE1200ELNS1_3gpuE4ELNS1_3repE0EEENS1_30default_config_static_selectorELNS0_4arch9wavefront6targetE0EEEvSQ_,comdat
.Lfunc_end245:
	.size	_ZN7rocprim17ROCPRIM_400000_NS6detail17trampoline_kernelINS0_14default_configENS1_27upper_bound_config_selectorIjjEEZNS1_14transform_implILb0ES3_S5_N6thrust23THRUST_200600_302600_NS17counting_iteratorIjNS8_11use_defaultESA_SA_EENS8_6detail15normal_iteratorINS8_10device_ptrIjEEEEZNS1_13binary_searchIS3_S5_SG_SB_SG_NS1_21upper_bound_search_opENSC_16wrapped_functionINS0_4lessIvEEbEEEE10hipError_tPvRmT1_T2_T3_mmT4_T5_P12ihipStream_tbEUlRKjE_EESN_SR_SS_mST_SW_bEUlT_E_NS1_11comp_targetILNS1_3genE10ELNS1_11target_archE1200ELNS1_3gpuE4ELNS1_3repE0EEENS1_30default_config_static_selectorELNS0_4arch9wavefront6targetE0EEEvSQ_, .Lfunc_end245-_ZN7rocprim17ROCPRIM_400000_NS6detail17trampoline_kernelINS0_14default_configENS1_27upper_bound_config_selectorIjjEEZNS1_14transform_implILb0ES3_S5_N6thrust23THRUST_200600_302600_NS17counting_iteratorIjNS8_11use_defaultESA_SA_EENS8_6detail15normal_iteratorINS8_10device_ptrIjEEEEZNS1_13binary_searchIS3_S5_SG_SB_SG_NS1_21upper_bound_search_opENSC_16wrapped_functionINS0_4lessIvEEbEEEE10hipError_tPvRmT1_T2_T3_mmT4_T5_P12ihipStream_tbEUlRKjE_EESN_SR_SS_mST_SW_bEUlT_E_NS1_11comp_targetILNS1_3genE10ELNS1_11target_archE1200ELNS1_3gpuE4ELNS1_3repE0EEENS1_30default_config_static_selectorELNS0_4arch9wavefront6targetE0EEEvSQ_
                                        ; -- End function
	.set _ZN7rocprim17ROCPRIM_400000_NS6detail17trampoline_kernelINS0_14default_configENS1_27upper_bound_config_selectorIjjEEZNS1_14transform_implILb0ES3_S5_N6thrust23THRUST_200600_302600_NS17counting_iteratorIjNS8_11use_defaultESA_SA_EENS8_6detail15normal_iteratorINS8_10device_ptrIjEEEEZNS1_13binary_searchIS3_S5_SG_SB_SG_NS1_21upper_bound_search_opENSC_16wrapped_functionINS0_4lessIvEEbEEEE10hipError_tPvRmT1_T2_T3_mmT4_T5_P12ihipStream_tbEUlRKjE_EESN_SR_SS_mST_SW_bEUlT_E_NS1_11comp_targetILNS1_3genE10ELNS1_11target_archE1200ELNS1_3gpuE4ELNS1_3repE0EEENS1_30default_config_static_selectorELNS0_4arch9wavefront6targetE0EEEvSQ_.num_vgpr, 0
	.set _ZN7rocprim17ROCPRIM_400000_NS6detail17trampoline_kernelINS0_14default_configENS1_27upper_bound_config_selectorIjjEEZNS1_14transform_implILb0ES3_S5_N6thrust23THRUST_200600_302600_NS17counting_iteratorIjNS8_11use_defaultESA_SA_EENS8_6detail15normal_iteratorINS8_10device_ptrIjEEEEZNS1_13binary_searchIS3_S5_SG_SB_SG_NS1_21upper_bound_search_opENSC_16wrapped_functionINS0_4lessIvEEbEEEE10hipError_tPvRmT1_T2_T3_mmT4_T5_P12ihipStream_tbEUlRKjE_EESN_SR_SS_mST_SW_bEUlT_E_NS1_11comp_targetILNS1_3genE10ELNS1_11target_archE1200ELNS1_3gpuE4ELNS1_3repE0EEENS1_30default_config_static_selectorELNS0_4arch9wavefront6targetE0EEEvSQ_.num_agpr, 0
	.set _ZN7rocprim17ROCPRIM_400000_NS6detail17trampoline_kernelINS0_14default_configENS1_27upper_bound_config_selectorIjjEEZNS1_14transform_implILb0ES3_S5_N6thrust23THRUST_200600_302600_NS17counting_iteratorIjNS8_11use_defaultESA_SA_EENS8_6detail15normal_iteratorINS8_10device_ptrIjEEEEZNS1_13binary_searchIS3_S5_SG_SB_SG_NS1_21upper_bound_search_opENSC_16wrapped_functionINS0_4lessIvEEbEEEE10hipError_tPvRmT1_T2_T3_mmT4_T5_P12ihipStream_tbEUlRKjE_EESN_SR_SS_mST_SW_bEUlT_E_NS1_11comp_targetILNS1_3genE10ELNS1_11target_archE1200ELNS1_3gpuE4ELNS1_3repE0EEENS1_30default_config_static_selectorELNS0_4arch9wavefront6targetE0EEEvSQ_.numbered_sgpr, 0
	.set _ZN7rocprim17ROCPRIM_400000_NS6detail17trampoline_kernelINS0_14default_configENS1_27upper_bound_config_selectorIjjEEZNS1_14transform_implILb0ES3_S5_N6thrust23THRUST_200600_302600_NS17counting_iteratorIjNS8_11use_defaultESA_SA_EENS8_6detail15normal_iteratorINS8_10device_ptrIjEEEEZNS1_13binary_searchIS3_S5_SG_SB_SG_NS1_21upper_bound_search_opENSC_16wrapped_functionINS0_4lessIvEEbEEEE10hipError_tPvRmT1_T2_T3_mmT4_T5_P12ihipStream_tbEUlRKjE_EESN_SR_SS_mST_SW_bEUlT_E_NS1_11comp_targetILNS1_3genE10ELNS1_11target_archE1200ELNS1_3gpuE4ELNS1_3repE0EEENS1_30default_config_static_selectorELNS0_4arch9wavefront6targetE0EEEvSQ_.num_named_barrier, 0
	.set _ZN7rocprim17ROCPRIM_400000_NS6detail17trampoline_kernelINS0_14default_configENS1_27upper_bound_config_selectorIjjEEZNS1_14transform_implILb0ES3_S5_N6thrust23THRUST_200600_302600_NS17counting_iteratorIjNS8_11use_defaultESA_SA_EENS8_6detail15normal_iteratorINS8_10device_ptrIjEEEEZNS1_13binary_searchIS3_S5_SG_SB_SG_NS1_21upper_bound_search_opENSC_16wrapped_functionINS0_4lessIvEEbEEEE10hipError_tPvRmT1_T2_T3_mmT4_T5_P12ihipStream_tbEUlRKjE_EESN_SR_SS_mST_SW_bEUlT_E_NS1_11comp_targetILNS1_3genE10ELNS1_11target_archE1200ELNS1_3gpuE4ELNS1_3repE0EEENS1_30default_config_static_selectorELNS0_4arch9wavefront6targetE0EEEvSQ_.private_seg_size, 0
	.set _ZN7rocprim17ROCPRIM_400000_NS6detail17trampoline_kernelINS0_14default_configENS1_27upper_bound_config_selectorIjjEEZNS1_14transform_implILb0ES3_S5_N6thrust23THRUST_200600_302600_NS17counting_iteratorIjNS8_11use_defaultESA_SA_EENS8_6detail15normal_iteratorINS8_10device_ptrIjEEEEZNS1_13binary_searchIS3_S5_SG_SB_SG_NS1_21upper_bound_search_opENSC_16wrapped_functionINS0_4lessIvEEbEEEE10hipError_tPvRmT1_T2_T3_mmT4_T5_P12ihipStream_tbEUlRKjE_EESN_SR_SS_mST_SW_bEUlT_E_NS1_11comp_targetILNS1_3genE10ELNS1_11target_archE1200ELNS1_3gpuE4ELNS1_3repE0EEENS1_30default_config_static_selectorELNS0_4arch9wavefront6targetE0EEEvSQ_.uses_vcc, 0
	.set _ZN7rocprim17ROCPRIM_400000_NS6detail17trampoline_kernelINS0_14default_configENS1_27upper_bound_config_selectorIjjEEZNS1_14transform_implILb0ES3_S5_N6thrust23THRUST_200600_302600_NS17counting_iteratorIjNS8_11use_defaultESA_SA_EENS8_6detail15normal_iteratorINS8_10device_ptrIjEEEEZNS1_13binary_searchIS3_S5_SG_SB_SG_NS1_21upper_bound_search_opENSC_16wrapped_functionINS0_4lessIvEEbEEEE10hipError_tPvRmT1_T2_T3_mmT4_T5_P12ihipStream_tbEUlRKjE_EESN_SR_SS_mST_SW_bEUlT_E_NS1_11comp_targetILNS1_3genE10ELNS1_11target_archE1200ELNS1_3gpuE4ELNS1_3repE0EEENS1_30default_config_static_selectorELNS0_4arch9wavefront6targetE0EEEvSQ_.uses_flat_scratch, 0
	.set _ZN7rocprim17ROCPRIM_400000_NS6detail17trampoline_kernelINS0_14default_configENS1_27upper_bound_config_selectorIjjEEZNS1_14transform_implILb0ES3_S5_N6thrust23THRUST_200600_302600_NS17counting_iteratorIjNS8_11use_defaultESA_SA_EENS8_6detail15normal_iteratorINS8_10device_ptrIjEEEEZNS1_13binary_searchIS3_S5_SG_SB_SG_NS1_21upper_bound_search_opENSC_16wrapped_functionINS0_4lessIvEEbEEEE10hipError_tPvRmT1_T2_T3_mmT4_T5_P12ihipStream_tbEUlRKjE_EESN_SR_SS_mST_SW_bEUlT_E_NS1_11comp_targetILNS1_3genE10ELNS1_11target_archE1200ELNS1_3gpuE4ELNS1_3repE0EEENS1_30default_config_static_selectorELNS0_4arch9wavefront6targetE0EEEvSQ_.has_dyn_sized_stack, 0
	.set _ZN7rocprim17ROCPRIM_400000_NS6detail17trampoline_kernelINS0_14default_configENS1_27upper_bound_config_selectorIjjEEZNS1_14transform_implILb0ES3_S5_N6thrust23THRUST_200600_302600_NS17counting_iteratorIjNS8_11use_defaultESA_SA_EENS8_6detail15normal_iteratorINS8_10device_ptrIjEEEEZNS1_13binary_searchIS3_S5_SG_SB_SG_NS1_21upper_bound_search_opENSC_16wrapped_functionINS0_4lessIvEEbEEEE10hipError_tPvRmT1_T2_T3_mmT4_T5_P12ihipStream_tbEUlRKjE_EESN_SR_SS_mST_SW_bEUlT_E_NS1_11comp_targetILNS1_3genE10ELNS1_11target_archE1200ELNS1_3gpuE4ELNS1_3repE0EEENS1_30default_config_static_selectorELNS0_4arch9wavefront6targetE0EEEvSQ_.has_recursion, 0
	.set _ZN7rocprim17ROCPRIM_400000_NS6detail17trampoline_kernelINS0_14default_configENS1_27upper_bound_config_selectorIjjEEZNS1_14transform_implILb0ES3_S5_N6thrust23THRUST_200600_302600_NS17counting_iteratorIjNS8_11use_defaultESA_SA_EENS8_6detail15normal_iteratorINS8_10device_ptrIjEEEEZNS1_13binary_searchIS3_S5_SG_SB_SG_NS1_21upper_bound_search_opENSC_16wrapped_functionINS0_4lessIvEEbEEEE10hipError_tPvRmT1_T2_T3_mmT4_T5_P12ihipStream_tbEUlRKjE_EESN_SR_SS_mST_SW_bEUlT_E_NS1_11comp_targetILNS1_3genE10ELNS1_11target_archE1200ELNS1_3gpuE4ELNS1_3repE0EEENS1_30default_config_static_selectorELNS0_4arch9wavefront6targetE0EEEvSQ_.has_indirect_call, 0
	.section	.AMDGPU.csdata,"",@progbits
; Kernel info:
; codeLenInByte = 0
; TotalNumSgprs: 0
; NumVgprs: 0
; ScratchSize: 0
; MemoryBound: 0
; FloatMode: 240
; IeeeMode: 1
; LDSByteSize: 0 bytes/workgroup (compile time only)
; SGPRBlocks: 0
; VGPRBlocks: 0
; NumSGPRsForWavesPerEU: 1
; NumVGPRsForWavesPerEU: 1
; Occupancy: 16
; WaveLimiterHint : 0
; COMPUTE_PGM_RSRC2:SCRATCH_EN: 0
; COMPUTE_PGM_RSRC2:USER_SGPR: 2
; COMPUTE_PGM_RSRC2:TRAP_HANDLER: 0
; COMPUTE_PGM_RSRC2:TGID_X_EN: 1
; COMPUTE_PGM_RSRC2:TGID_Y_EN: 0
; COMPUTE_PGM_RSRC2:TGID_Z_EN: 0
; COMPUTE_PGM_RSRC2:TIDIG_COMP_CNT: 0
	.section	.text._ZN7rocprim17ROCPRIM_400000_NS6detail17trampoline_kernelINS0_14default_configENS1_27upper_bound_config_selectorIjjEEZNS1_14transform_implILb0ES3_S5_N6thrust23THRUST_200600_302600_NS17counting_iteratorIjNS8_11use_defaultESA_SA_EENS8_6detail15normal_iteratorINS8_10device_ptrIjEEEEZNS1_13binary_searchIS3_S5_SG_SB_SG_NS1_21upper_bound_search_opENSC_16wrapped_functionINS0_4lessIvEEbEEEE10hipError_tPvRmT1_T2_T3_mmT4_T5_P12ihipStream_tbEUlRKjE_EESN_SR_SS_mST_SW_bEUlT_E_NS1_11comp_targetILNS1_3genE9ELNS1_11target_archE1100ELNS1_3gpuE3ELNS1_3repE0EEENS1_30default_config_static_selectorELNS0_4arch9wavefront6targetE0EEEvSQ_,"axG",@progbits,_ZN7rocprim17ROCPRIM_400000_NS6detail17trampoline_kernelINS0_14default_configENS1_27upper_bound_config_selectorIjjEEZNS1_14transform_implILb0ES3_S5_N6thrust23THRUST_200600_302600_NS17counting_iteratorIjNS8_11use_defaultESA_SA_EENS8_6detail15normal_iteratorINS8_10device_ptrIjEEEEZNS1_13binary_searchIS3_S5_SG_SB_SG_NS1_21upper_bound_search_opENSC_16wrapped_functionINS0_4lessIvEEbEEEE10hipError_tPvRmT1_T2_T3_mmT4_T5_P12ihipStream_tbEUlRKjE_EESN_SR_SS_mST_SW_bEUlT_E_NS1_11comp_targetILNS1_3genE9ELNS1_11target_archE1100ELNS1_3gpuE3ELNS1_3repE0EEENS1_30default_config_static_selectorELNS0_4arch9wavefront6targetE0EEEvSQ_,comdat
	.protected	_ZN7rocprim17ROCPRIM_400000_NS6detail17trampoline_kernelINS0_14default_configENS1_27upper_bound_config_selectorIjjEEZNS1_14transform_implILb0ES3_S5_N6thrust23THRUST_200600_302600_NS17counting_iteratorIjNS8_11use_defaultESA_SA_EENS8_6detail15normal_iteratorINS8_10device_ptrIjEEEEZNS1_13binary_searchIS3_S5_SG_SB_SG_NS1_21upper_bound_search_opENSC_16wrapped_functionINS0_4lessIvEEbEEEE10hipError_tPvRmT1_T2_T3_mmT4_T5_P12ihipStream_tbEUlRKjE_EESN_SR_SS_mST_SW_bEUlT_E_NS1_11comp_targetILNS1_3genE9ELNS1_11target_archE1100ELNS1_3gpuE3ELNS1_3repE0EEENS1_30default_config_static_selectorELNS0_4arch9wavefront6targetE0EEEvSQ_ ; -- Begin function _ZN7rocprim17ROCPRIM_400000_NS6detail17trampoline_kernelINS0_14default_configENS1_27upper_bound_config_selectorIjjEEZNS1_14transform_implILb0ES3_S5_N6thrust23THRUST_200600_302600_NS17counting_iteratorIjNS8_11use_defaultESA_SA_EENS8_6detail15normal_iteratorINS8_10device_ptrIjEEEEZNS1_13binary_searchIS3_S5_SG_SB_SG_NS1_21upper_bound_search_opENSC_16wrapped_functionINS0_4lessIvEEbEEEE10hipError_tPvRmT1_T2_T3_mmT4_T5_P12ihipStream_tbEUlRKjE_EESN_SR_SS_mST_SW_bEUlT_E_NS1_11comp_targetILNS1_3genE9ELNS1_11target_archE1100ELNS1_3gpuE3ELNS1_3repE0EEENS1_30default_config_static_selectorELNS0_4arch9wavefront6targetE0EEEvSQ_
	.globl	_ZN7rocprim17ROCPRIM_400000_NS6detail17trampoline_kernelINS0_14default_configENS1_27upper_bound_config_selectorIjjEEZNS1_14transform_implILb0ES3_S5_N6thrust23THRUST_200600_302600_NS17counting_iteratorIjNS8_11use_defaultESA_SA_EENS8_6detail15normal_iteratorINS8_10device_ptrIjEEEEZNS1_13binary_searchIS3_S5_SG_SB_SG_NS1_21upper_bound_search_opENSC_16wrapped_functionINS0_4lessIvEEbEEEE10hipError_tPvRmT1_T2_T3_mmT4_T5_P12ihipStream_tbEUlRKjE_EESN_SR_SS_mST_SW_bEUlT_E_NS1_11comp_targetILNS1_3genE9ELNS1_11target_archE1100ELNS1_3gpuE3ELNS1_3repE0EEENS1_30default_config_static_selectorELNS0_4arch9wavefront6targetE0EEEvSQ_
	.p2align	8
	.type	_ZN7rocprim17ROCPRIM_400000_NS6detail17trampoline_kernelINS0_14default_configENS1_27upper_bound_config_selectorIjjEEZNS1_14transform_implILb0ES3_S5_N6thrust23THRUST_200600_302600_NS17counting_iteratorIjNS8_11use_defaultESA_SA_EENS8_6detail15normal_iteratorINS8_10device_ptrIjEEEEZNS1_13binary_searchIS3_S5_SG_SB_SG_NS1_21upper_bound_search_opENSC_16wrapped_functionINS0_4lessIvEEbEEEE10hipError_tPvRmT1_T2_T3_mmT4_T5_P12ihipStream_tbEUlRKjE_EESN_SR_SS_mST_SW_bEUlT_E_NS1_11comp_targetILNS1_3genE9ELNS1_11target_archE1100ELNS1_3gpuE3ELNS1_3repE0EEENS1_30default_config_static_selectorELNS0_4arch9wavefront6targetE0EEEvSQ_,@function
_ZN7rocprim17ROCPRIM_400000_NS6detail17trampoline_kernelINS0_14default_configENS1_27upper_bound_config_selectorIjjEEZNS1_14transform_implILb0ES3_S5_N6thrust23THRUST_200600_302600_NS17counting_iteratorIjNS8_11use_defaultESA_SA_EENS8_6detail15normal_iteratorINS8_10device_ptrIjEEEEZNS1_13binary_searchIS3_S5_SG_SB_SG_NS1_21upper_bound_search_opENSC_16wrapped_functionINS0_4lessIvEEbEEEE10hipError_tPvRmT1_T2_T3_mmT4_T5_P12ihipStream_tbEUlRKjE_EESN_SR_SS_mST_SW_bEUlT_E_NS1_11comp_targetILNS1_3genE9ELNS1_11target_archE1100ELNS1_3gpuE3ELNS1_3repE0EEENS1_30default_config_static_selectorELNS0_4arch9wavefront6targetE0EEEvSQ_: ; @_ZN7rocprim17ROCPRIM_400000_NS6detail17trampoline_kernelINS0_14default_configENS1_27upper_bound_config_selectorIjjEEZNS1_14transform_implILb0ES3_S5_N6thrust23THRUST_200600_302600_NS17counting_iteratorIjNS8_11use_defaultESA_SA_EENS8_6detail15normal_iteratorINS8_10device_ptrIjEEEEZNS1_13binary_searchIS3_S5_SG_SB_SG_NS1_21upper_bound_search_opENSC_16wrapped_functionINS0_4lessIvEEbEEEE10hipError_tPvRmT1_T2_T3_mmT4_T5_P12ihipStream_tbEUlRKjE_EESN_SR_SS_mST_SW_bEUlT_E_NS1_11comp_targetILNS1_3genE9ELNS1_11target_archE1100ELNS1_3gpuE3ELNS1_3repE0EEENS1_30default_config_static_selectorELNS0_4arch9wavefront6targetE0EEEvSQ_
; %bb.0:
	.section	.rodata,"a",@progbits
	.p2align	6, 0x0
	.amdhsa_kernel _ZN7rocprim17ROCPRIM_400000_NS6detail17trampoline_kernelINS0_14default_configENS1_27upper_bound_config_selectorIjjEEZNS1_14transform_implILb0ES3_S5_N6thrust23THRUST_200600_302600_NS17counting_iteratorIjNS8_11use_defaultESA_SA_EENS8_6detail15normal_iteratorINS8_10device_ptrIjEEEEZNS1_13binary_searchIS3_S5_SG_SB_SG_NS1_21upper_bound_search_opENSC_16wrapped_functionINS0_4lessIvEEbEEEE10hipError_tPvRmT1_T2_T3_mmT4_T5_P12ihipStream_tbEUlRKjE_EESN_SR_SS_mST_SW_bEUlT_E_NS1_11comp_targetILNS1_3genE9ELNS1_11target_archE1100ELNS1_3gpuE3ELNS1_3repE0EEENS1_30default_config_static_selectorELNS0_4arch9wavefront6targetE0EEEvSQ_
		.amdhsa_group_segment_fixed_size 0
		.amdhsa_private_segment_fixed_size 0
		.amdhsa_kernarg_size 56
		.amdhsa_user_sgpr_count 2
		.amdhsa_user_sgpr_dispatch_ptr 0
		.amdhsa_user_sgpr_queue_ptr 0
		.amdhsa_user_sgpr_kernarg_segment_ptr 1
		.amdhsa_user_sgpr_dispatch_id 0
		.amdhsa_user_sgpr_private_segment_size 0
		.amdhsa_wavefront_size32 1
		.amdhsa_uses_dynamic_stack 0
		.amdhsa_enable_private_segment 0
		.amdhsa_system_sgpr_workgroup_id_x 1
		.amdhsa_system_sgpr_workgroup_id_y 0
		.amdhsa_system_sgpr_workgroup_id_z 0
		.amdhsa_system_sgpr_workgroup_info 0
		.amdhsa_system_vgpr_workitem_id 0
		.amdhsa_next_free_vgpr 1
		.amdhsa_next_free_sgpr 1
		.amdhsa_reserve_vcc 0
		.amdhsa_float_round_mode_32 0
		.amdhsa_float_round_mode_16_64 0
		.amdhsa_float_denorm_mode_32 3
		.amdhsa_float_denorm_mode_16_64 3
		.amdhsa_fp16_overflow 0
		.amdhsa_workgroup_processor_mode 1
		.amdhsa_memory_ordered 1
		.amdhsa_forward_progress 1
		.amdhsa_inst_pref_size 0
		.amdhsa_round_robin_scheduling 0
		.amdhsa_exception_fp_ieee_invalid_op 0
		.amdhsa_exception_fp_denorm_src 0
		.amdhsa_exception_fp_ieee_div_zero 0
		.amdhsa_exception_fp_ieee_overflow 0
		.amdhsa_exception_fp_ieee_underflow 0
		.amdhsa_exception_fp_ieee_inexact 0
		.amdhsa_exception_int_div_zero 0
	.end_amdhsa_kernel
	.section	.text._ZN7rocprim17ROCPRIM_400000_NS6detail17trampoline_kernelINS0_14default_configENS1_27upper_bound_config_selectorIjjEEZNS1_14transform_implILb0ES3_S5_N6thrust23THRUST_200600_302600_NS17counting_iteratorIjNS8_11use_defaultESA_SA_EENS8_6detail15normal_iteratorINS8_10device_ptrIjEEEEZNS1_13binary_searchIS3_S5_SG_SB_SG_NS1_21upper_bound_search_opENSC_16wrapped_functionINS0_4lessIvEEbEEEE10hipError_tPvRmT1_T2_T3_mmT4_T5_P12ihipStream_tbEUlRKjE_EESN_SR_SS_mST_SW_bEUlT_E_NS1_11comp_targetILNS1_3genE9ELNS1_11target_archE1100ELNS1_3gpuE3ELNS1_3repE0EEENS1_30default_config_static_selectorELNS0_4arch9wavefront6targetE0EEEvSQ_,"axG",@progbits,_ZN7rocprim17ROCPRIM_400000_NS6detail17trampoline_kernelINS0_14default_configENS1_27upper_bound_config_selectorIjjEEZNS1_14transform_implILb0ES3_S5_N6thrust23THRUST_200600_302600_NS17counting_iteratorIjNS8_11use_defaultESA_SA_EENS8_6detail15normal_iteratorINS8_10device_ptrIjEEEEZNS1_13binary_searchIS3_S5_SG_SB_SG_NS1_21upper_bound_search_opENSC_16wrapped_functionINS0_4lessIvEEbEEEE10hipError_tPvRmT1_T2_T3_mmT4_T5_P12ihipStream_tbEUlRKjE_EESN_SR_SS_mST_SW_bEUlT_E_NS1_11comp_targetILNS1_3genE9ELNS1_11target_archE1100ELNS1_3gpuE3ELNS1_3repE0EEENS1_30default_config_static_selectorELNS0_4arch9wavefront6targetE0EEEvSQ_,comdat
.Lfunc_end246:
	.size	_ZN7rocprim17ROCPRIM_400000_NS6detail17trampoline_kernelINS0_14default_configENS1_27upper_bound_config_selectorIjjEEZNS1_14transform_implILb0ES3_S5_N6thrust23THRUST_200600_302600_NS17counting_iteratorIjNS8_11use_defaultESA_SA_EENS8_6detail15normal_iteratorINS8_10device_ptrIjEEEEZNS1_13binary_searchIS3_S5_SG_SB_SG_NS1_21upper_bound_search_opENSC_16wrapped_functionINS0_4lessIvEEbEEEE10hipError_tPvRmT1_T2_T3_mmT4_T5_P12ihipStream_tbEUlRKjE_EESN_SR_SS_mST_SW_bEUlT_E_NS1_11comp_targetILNS1_3genE9ELNS1_11target_archE1100ELNS1_3gpuE3ELNS1_3repE0EEENS1_30default_config_static_selectorELNS0_4arch9wavefront6targetE0EEEvSQ_, .Lfunc_end246-_ZN7rocprim17ROCPRIM_400000_NS6detail17trampoline_kernelINS0_14default_configENS1_27upper_bound_config_selectorIjjEEZNS1_14transform_implILb0ES3_S5_N6thrust23THRUST_200600_302600_NS17counting_iteratorIjNS8_11use_defaultESA_SA_EENS8_6detail15normal_iteratorINS8_10device_ptrIjEEEEZNS1_13binary_searchIS3_S5_SG_SB_SG_NS1_21upper_bound_search_opENSC_16wrapped_functionINS0_4lessIvEEbEEEE10hipError_tPvRmT1_T2_T3_mmT4_T5_P12ihipStream_tbEUlRKjE_EESN_SR_SS_mST_SW_bEUlT_E_NS1_11comp_targetILNS1_3genE9ELNS1_11target_archE1100ELNS1_3gpuE3ELNS1_3repE0EEENS1_30default_config_static_selectorELNS0_4arch9wavefront6targetE0EEEvSQ_
                                        ; -- End function
	.set _ZN7rocprim17ROCPRIM_400000_NS6detail17trampoline_kernelINS0_14default_configENS1_27upper_bound_config_selectorIjjEEZNS1_14transform_implILb0ES3_S5_N6thrust23THRUST_200600_302600_NS17counting_iteratorIjNS8_11use_defaultESA_SA_EENS8_6detail15normal_iteratorINS8_10device_ptrIjEEEEZNS1_13binary_searchIS3_S5_SG_SB_SG_NS1_21upper_bound_search_opENSC_16wrapped_functionINS0_4lessIvEEbEEEE10hipError_tPvRmT1_T2_T3_mmT4_T5_P12ihipStream_tbEUlRKjE_EESN_SR_SS_mST_SW_bEUlT_E_NS1_11comp_targetILNS1_3genE9ELNS1_11target_archE1100ELNS1_3gpuE3ELNS1_3repE0EEENS1_30default_config_static_selectorELNS0_4arch9wavefront6targetE0EEEvSQ_.num_vgpr, 0
	.set _ZN7rocprim17ROCPRIM_400000_NS6detail17trampoline_kernelINS0_14default_configENS1_27upper_bound_config_selectorIjjEEZNS1_14transform_implILb0ES3_S5_N6thrust23THRUST_200600_302600_NS17counting_iteratorIjNS8_11use_defaultESA_SA_EENS8_6detail15normal_iteratorINS8_10device_ptrIjEEEEZNS1_13binary_searchIS3_S5_SG_SB_SG_NS1_21upper_bound_search_opENSC_16wrapped_functionINS0_4lessIvEEbEEEE10hipError_tPvRmT1_T2_T3_mmT4_T5_P12ihipStream_tbEUlRKjE_EESN_SR_SS_mST_SW_bEUlT_E_NS1_11comp_targetILNS1_3genE9ELNS1_11target_archE1100ELNS1_3gpuE3ELNS1_3repE0EEENS1_30default_config_static_selectorELNS0_4arch9wavefront6targetE0EEEvSQ_.num_agpr, 0
	.set _ZN7rocprim17ROCPRIM_400000_NS6detail17trampoline_kernelINS0_14default_configENS1_27upper_bound_config_selectorIjjEEZNS1_14transform_implILb0ES3_S5_N6thrust23THRUST_200600_302600_NS17counting_iteratorIjNS8_11use_defaultESA_SA_EENS8_6detail15normal_iteratorINS8_10device_ptrIjEEEEZNS1_13binary_searchIS3_S5_SG_SB_SG_NS1_21upper_bound_search_opENSC_16wrapped_functionINS0_4lessIvEEbEEEE10hipError_tPvRmT1_T2_T3_mmT4_T5_P12ihipStream_tbEUlRKjE_EESN_SR_SS_mST_SW_bEUlT_E_NS1_11comp_targetILNS1_3genE9ELNS1_11target_archE1100ELNS1_3gpuE3ELNS1_3repE0EEENS1_30default_config_static_selectorELNS0_4arch9wavefront6targetE0EEEvSQ_.numbered_sgpr, 0
	.set _ZN7rocprim17ROCPRIM_400000_NS6detail17trampoline_kernelINS0_14default_configENS1_27upper_bound_config_selectorIjjEEZNS1_14transform_implILb0ES3_S5_N6thrust23THRUST_200600_302600_NS17counting_iteratorIjNS8_11use_defaultESA_SA_EENS8_6detail15normal_iteratorINS8_10device_ptrIjEEEEZNS1_13binary_searchIS3_S5_SG_SB_SG_NS1_21upper_bound_search_opENSC_16wrapped_functionINS0_4lessIvEEbEEEE10hipError_tPvRmT1_T2_T3_mmT4_T5_P12ihipStream_tbEUlRKjE_EESN_SR_SS_mST_SW_bEUlT_E_NS1_11comp_targetILNS1_3genE9ELNS1_11target_archE1100ELNS1_3gpuE3ELNS1_3repE0EEENS1_30default_config_static_selectorELNS0_4arch9wavefront6targetE0EEEvSQ_.num_named_barrier, 0
	.set _ZN7rocprim17ROCPRIM_400000_NS6detail17trampoline_kernelINS0_14default_configENS1_27upper_bound_config_selectorIjjEEZNS1_14transform_implILb0ES3_S5_N6thrust23THRUST_200600_302600_NS17counting_iteratorIjNS8_11use_defaultESA_SA_EENS8_6detail15normal_iteratorINS8_10device_ptrIjEEEEZNS1_13binary_searchIS3_S5_SG_SB_SG_NS1_21upper_bound_search_opENSC_16wrapped_functionINS0_4lessIvEEbEEEE10hipError_tPvRmT1_T2_T3_mmT4_T5_P12ihipStream_tbEUlRKjE_EESN_SR_SS_mST_SW_bEUlT_E_NS1_11comp_targetILNS1_3genE9ELNS1_11target_archE1100ELNS1_3gpuE3ELNS1_3repE0EEENS1_30default_config_static_selectorELNS0_4arch9wavefront6targetE0EEEvSQ_.private_seg_size, 0
	.set _ZN7rocprim17ROCPRIM_400000_NS6detail17trampoline_kernelINS0_14default_configENS1_27upper_bound_config_selectorIjjEEZNS1_14transform_implILb0ES3_S5_N6thrust23THRUST_200600_302600_NS17counting_iteratorIjNS8_11use_defaultESA_SA_EENS8_6detail15normal_iteratorINS8_10device_ptrIjEEEEZNS1_13binary_searchIS3_S5_SG_SB_SG_NS1_21upper_bound_search_opENSC_16wrapped_functionINS0_4lessIvEEbEEEE10hipError_tPvRmT1_T2_T3_mmT4_T5_P12ihipStream_tbEUlRKjE_EESN_SR_SS_mST_SW_bEUlT_E_NS1_11comp_targetILNS1_3genE9ELNS1_11target_archE1100ELNS1_3gpuE3ELNS1_3repE0EEENS1_30default_config_static_selectorELNS0_4arch9wavefront6targetE0EEEvSQ_.uses_vcc, 0
	.set _ZN7rocprim17ROCPRIM_400000_NS6detail17trampoline_kernelINS0_14default_configENS1_27upper_bound_config_selectorIjjEEZNS1_14transform_implILb0ES3_S5_N6thrust23THRUST_200600_302600_NS17counting_iteratorIjNS8_11use_defaultESA_SA_EENS8_6detail15normal_iteratorINS8_10device_ptrIjEEEEZNS1_13binary_searchIS3_S5_SG_SB_SG_NS1_21upper_bound_search_opENSC_16wrapped_functionINS0_4lessIvEEbEEEE10hipError_tPvRmT1_T2_T3_mmT4_T5_P12ihipStream_tbEUlRKjE_EESN_SR_SS_mST_SW_bEUlT_E_NS1_11comp_targetILNS1_3genE9ELNS1_11target_archE1100ELNS1_3gpuE3ELNS1_3repE0EEENS1_30default_config_static_selectorELNS0_4arch9wavefront6targetE0EEEvSQ_.uses_flat_scratch, 0
	.set _ZN7rocprim17ROCPRIM_400000_NS6detail17trampoline_kernelINS0_14default_configENS1_27upper_bound_config_selectorIjjEEZNS1_14transform_implILb0ES3_S5_N6thrust23THRUST_200600_302600_NS17counting_iteratorIjNS8_11use_defaultESA_SA_EENS8_6detail15normal_iteratorINS8_10device_ptrIjEEEEZNS1_13binary_searchIS3_S5_SG_SB_SG_NS1_21upper_bound_search_opENSC_16wrapped_functionINS0_4lessIvEEbEEEE10hipError_tPvRmT1_T2_T3_mmT4_T5_P12ihipStream_tbEUlRKjE_EESN_SR_SS_mST_SW_bEUlT_E_NS1_11comp_targetILNS1_3genE9ELNS1_11target_archE1100ELNS1_3gpuE3ELNS1_3repE0EEENS1_30default_config_static_selectorELNS0_4arch9wavefront6targetE0EEEvSQ_.has_dyn_sized_stack, 0
	.set _ZN7rocprim17ROCPRIM_400000_NS6detail17trampoline_kernelINS0_14default_configENS1_27upper_bound_config_selectorIjjEEZNS1_14transform_implILb0ES3_S5_N6thrust23THRUST_200600_302600_NS17counting_iteratorIjNS8_11use_defaultESA_SA_EENS8_6detail15normal_iteratorINS8_10device_ptrIjEEEEZNS1_13binary_searchIS3_S5_SG_SB_SG_NS1_21upper_bound_search_opENSC_16wrapped_functionINS0_4lessIvEEbEEEE10hipError_tPvRmT1_T2_T3_mmT4_T5_P12ihipStream_tbEUlRKjE_EESN_SR_SS_mST_SW_bEUlT_E_NS1_11comp_targetILNS1_3genE9ELNS1_11target_archE1100ELNS1_3gpuE3ELNS1_3repE0EEENS1_30default_config_static_selectorELNS0_4arch9wavefront6targetE0EEEvSQ_.has_recursion, 0
	.set _ZN7rocprim17ROCPRIM_400000_NS6detail17trampoline_kernelINS0_14default_configENS1_27upper_bound_config_selectorIjjEEZNS1_14transform_implILb0ES3_S5_N6thrust23THRUST_200600_302600_NS17counting_iteratorIjNS8_11use_defaultESA_SA_EENS8_6detail15normal_iteratorINS8_10device_ptrIjEEEEZNS1_13binary_searchIS3_S5_SG_SB_SG_NS1_21upper_bound_search_opENSC_16wrapped_functionINS0_4lessIvEEbEEEE10hipError_tPvRmT1_T2_T3_mmT4_T5_P12ihipStream_tbEUlRKjE_EESN_SR_SS_mST_SW_bEUlT_E_NS1_11comp_targetILNS1_3genE9ELNS1_11target_archE1100ELNS1_3gpuE3ELNS1_3repE0EEENS1_30default_config_static_selectorELNS0_4arch9wavefront6targetE0EEEvSQ_.has_indirect_call, 0
	.section	.AMDGPU.csdata,"",@progbits
; Kernel info:
; codeLenInByte = 0
; TotalNumSgprs: 0
; NumVgprs: 0
; ScratchSize: 0
; MemoryBound: 0
; FloatMode: 240
; IeeeMode: 1
; LDSByteSize: 0 bytes/workgroup (compile time only)
; SGPRBlocks: 0
; VGPRBlocks: 0
; NumSGPRsForWavesPerEU: 1
; NumVGPRsForWavesPerEU: 1
; Occupancy: 16
; WaveLimiterHint : 0
; COMPUTE_PGM_RSRC2:SCRATCH_EN: 0
; COMPUTE_PGM_RSRC2:USER_SGPR: 2
; COMPUTE_PGM_RSRC2:TRAP_HANDLER: 0
; COMPUTE_PGM_RSRC2:TGID_X_EN: 1
; COMPUTE_PGM_RSRC2:TGID_Y_EN: 0
; COMPUTE_PGM_RSRC2:TGID_Z_EN: 0
; COMPUTE_PGM_RSRC2:TIDIG_COMP_CNT: 0
	.section	.text._ZN7rocprim17ROCPRIM_400000_NS6detail17trampoline_kernelINS0_14default_configENS1_27upper_bound_config_selectorIjjEEZNS1_14transform_implILb0ES3_S5_N6thrust23THRUST_200600_302600_NS17counting_iteratorIjNS8_11use_defaultESA_SA_EENS8_6detail15normal_iteratorINS8_10device_ptrIjEEEEZNS1_13binary_searchIS3_S5_SG_SB_SG_NS1_21upper_bound_search_opENSC_16wrapped_functionINS0_4lessIvEEbEEEE10hipError_tPvRmT1_T2_T3_mmT4_T5_P12ihipStream_tbEUlRKjE_EESN_SR_SS_mST_SW_bEUlT_E_NS1_11comp_targetILNS1_3genE8ELNS1_11target_archE1030ELNS1_3gpuE2ELNS1_3repE0EEENS1_30default_config_static_selectorELNS0_4arch9wavefront6targetE0EEEvSQ_,"axG",@progbits,_ZN7rocprim17ROCPRIM_400000_NS6detail17trampoline_kernelINS0_14default_configENS1_27upper_bound_config_selectorIjjEEZNS1_14transform_implILb0ES3_S5_N6thrust23THRUST_200600_302600_NS17counting_iteratorIjNS8_11use_defaultESA_SA_EENS8_6detail15normal_iteratorINS8_10device_ptrIjEEEEZNS1_13binary_searchIS3_S5_SG_SB_SG_NS1_21upper_bound_search_opENSC_16wrapped_functionINS0_4lessIvEEbEEEE10hipError_tPvRmT1_T2_T3_mmT4_T5_P12ihipStream_tbEUlRKjE_EESN_SR_SS_mST_SW_bEUlT_E_NS1_11comp_targetILNS1_3genE8ELNS1_11target_archE1030ELNS1_3gpuE2ELNS1_3repE0EEENS1_30default_config_static_selectorELNS0_4arch9wavefront6targetE0EEEvSQ_,comdat
	.protected	_ZN7rocprim17ROCPRIM_400000_NS6detail17trampoline_kernelINS0_14default_configENS1_27upper_bound_config_selectorIjjEEZNS1_14transform_implILb0ES3_S5_N6thrust23THRUST_200600_302600_NS17counting_iteratorIjNS8_11use_defaultESA_SA_EENS8_6detail15normal_iteratorINS8_10device_ptrIjEEEEZNS1_13binary_searchIS3_S5_SG_SB_SG_NS1_21upper_bound_search_opENSC_16wrapped_functionINS0_4lessIvEEbEEEE10hipError_tPvRmT1_T2_T3_mmT4_T5_P12ihipStream_tbEUlRKjE_EESN_SR_SS_mST_SW_bEUlT_E_NS1_11comp_targetILNS1_3genE8ELNS1_11target_archE1030ELNS1_3gpuE2ELNS1_3repE0EEENS1_30default_config_static_selectorELNS0_4arch9wavefront6targetE0EEEvSQ_ ; -- Begin function _ZN7rocprim17ROCPRIM_400000_NS6detail17trampoline_kernelINS0_14default_configENS1_27upper_bound_config_selectorIjjEEZNS1_14transform_implILb0ES3_S5_N6thrust23THRUST_200600_302600_NS17counting_iteratorIjNS8_11use_defaultESA_SA_EENS8_6detail15normal_iteratorINS8_10device_ptrIjEEEEZNS1_13binary_searchIS3_S5_SG_SB_SG_NS1_21upper_bound_search_opENSC_16wrapped_functionINS0_4lessIvEEbEEEE10hipError_tPvRmT1_T2_T3_mmT4_T5_P12ihipStream_tbEUlRKjE_EESN_SR_SS_mST_SW_bEUlT_E_NS1_11comp_targetILNS1_3genE8ELNS1_11target_archE1030ELNS1_3gpuE2ELNS1_3repE0EEENS1_30default_config_static_selectorELNS0_4arch9wavefront6targetE0EEEvSQ_
	.globl	_ZN7rocprim17ROCPRIM_400000_NS6detail17trampoline_kernelINS0_14default_configENS1_27upper_bound_config_selectorIjjEEZNS1_14transform_implILb0ES3_S5_N6thrust23THRUST_200600_302600_NS17counting_iteratorIjNS8_11use_defaultESA_SA_EENS8_6detail15normal_iteratorINS8_10device_ptrIjEEEEZNS1_13binary_searchIS3_S5_SG_SB_SG_NS1_21upper_bound_search_opENSC_16wrapped_functionINS0_4lessIvEEbEEEE10hipError_tPvRmT1_T2_T3_mmT4_T5_P12ihipStream_tbEUlRKjE_EESN_SR_SS_mST_SW_bEUlT_E_NS1_11comp_targetILNS1_3genE8ELNS1_11target_archE1030ELNS1_3gpuE2ELNS1_3repE0EEENS1_30default_config_static_selectorELNS0_4arch9wavefront6targetE0EEEvSQ_
	.p2align	8
	.type	_ZN7rocprim17ROCPRIM_400000_NS6detail17trampoline_kernelINS0_14default_configENS1_27upper_bound_config_selectorIjjEEZNS1_14transform_implILb0ES3_S5_N6thrust23THRUST_200600_302600_NS17counting_iteratorIjNS8_11use_defaultESA_SA_EENS8_6detail15normal_iteratorINS8_10device_ptrIjEEEEZNS1_13binary_searchIS3_S5_SG_SB_SG_NS1_21upper_bound_search_opENSC_16wrapped_functionINS0_4lessIvEEbEEEE10hipError_tPvRmT1_T2_T3_mmT4_T5_P12ihipStream_tbEUlRKjE_EESN_SR_SS_mST_SW_bEUlT_E_NS1_11comp_targetILNS1_3genE8ELNS1_11target_archE1030ELNS1_3gpuE2ELNS1_3repE0EEENS1_30default_config_static_selectorELNS0_4arch9wavefront6targetE0EEEvSQ_,@function
_ZN7rocprim17ROCPRIM_400000_NS6detail17trampoline_kernelINS0_14default_configENS1_27upper_bound_config_selectorIjjEEZNS1_14transform_implILb0ES3_S5_N6thrust23THRUST_200600_302600_NS17counting_iteratorIjNS8_11use_defaultESA_SA_EENS8_6detail15normal_iteratorINS8_10device_ptrIjEEEEZNS1_13binary_searchIS3_S5_SG_SB_SG_NS1_21upper_bound_search_opENSC_16wrapped_functionINS0_4lessIvEEbEEEE10hipError_tPvRmT1_T2_T3_mmT4_T5_P12ihipStream_tbEUlRKjE_EESN_SR_SS_mST_SW_bEUlT_E_NS1_11comp_targetILNS1_3genE8ELNS1_11target_archE1030ELNS1_3gpuE2ELNS1_3repE0EEENS1_30default_config_static_selectorELNS0_4arch9wavefront6targetE0EEEvSQ_: ; @_ZN7rocprim17ROCPRIM_400000_NS6detail17trampoline_kernelINS0_14default_configENS1_27upper_bound_config_selectorIjjEEZNS1_14transform_implILb0ES3_S5_N6thrust23THRUST_200600_302600_NS17counting_iteratorIjNS8_11use_defaultESA_SA_EENS8_6detail15normal_iteratorINS8_10device_ptrIjEEEEZNS1_13binary_searchIS3_S5_SG_SB_SG_NS1_21upper_bound_search_opENSC_16wrapped_functionINS0_4lessIvEEbEEEE10hipError_tPvRmT1_T2_T3_mmT4_T5_P12ihipStream_tbEUlRKjE_EESN_SR_SS_mST_SW_bEUlT_E_NS1_11comp_targetILNS1_3genE8ELNS1_11target_archE1030ELNS1_3gpuE2ELNS1_3repE0EEENS1_30default_config_static_selectorELNS0_4arch9wavefront6targetE0EEEvSQ_
; %bb.0:
	.section	.rodata,"a",@progbits
	.p2align	6, 0x0
	.amdhsa_kernel _ZN7rocprim17ROCPRIM_400000_NS6detail17trampoline_kernelINS0_14default_configENS1_27upper_bound_config_selectorIjjEEZNS1_14transform_implILb0ES3_S5_N6thrust23THRUST_200600_302600_NS17counting_iteratorIjNS8_11use_defaultESA_SA_EENS8_6detail15normal_iteratorINS8_10device_ptrIjEEEEZNS1_13binary_searchIS3_S5_SG_SB_SG_NS1_21upper_bound_search_opENSC_16wrapped_functionINS0_4lessIvEEbEEEE10hipError_tPvRmT1_T2_T3_mmT4_T5_P12ihipStream_tbEUlRKjE_EESN_SR_SS_mST_SW_bEUlT_E_NS1_11comp_targetILNS1_3genE8ELNS1_11target_archE1030ELNS1_3gpuE2ELNS1_3repE0EEENS1_30default_config_static_selectorELNS0_4arch9wavefront6targetE0EEEvSQ_
		.amdhsa_group_segment_fixed_size 0
		.amdhsa_private_segment_fixed_size 0
		.amdhsa_kernarg_size 56
		.amdhsa_user_sgpr_count 2
		.amdhsa_user_sgpr_dispatch_ptr 0
		.amdhsa_user_sgpr_queue_ptr 0
		.amdhsa_user_sgpr_kernarg_segment_ptr 1
		.amdhsa_user_sgpr_dispatch_id 0
		.amdhsa_user_sgpr_private_segment_size 0
		.amdhsa_wavefront_size32 1
		.amdhsa_uses_dynamic_stack 0
		.amdhsa_enable_private_segment 0
		.amdhsa_system_sgpr_workgroup_id_x 1
		.amdhsa_system_sgpr_workgroup_id_y 0
		.amdhsa_system_sgpr_workgroup_id_z 0
		.amdhsa_system_sgpr_workgroup_info 0
		.amdhsa_system_vgpr_workitem_id 0
		.amdhsa_next_free_vgpr 1
		.amdhsa_next_free_sgpr 1
		.amdhsa_reserve_vcc 0
		.amdhsa_float_round_mode_32 0
		.amdhsa_float_round_mode_16_64 0
		.amdhsa_float_denorm_mode_32 3
		.amdhsa_float_denorm_mode_16_64 3
		.amdhsa_fp16_overflow 0
		.amdhsa_workgroup_processor_mode 1
		.amdhsa_memory_ordered 1
		.amdhsa_forward_progress 1
		.amdhsa_inst_pref_size 0
		.amdhsa_round_robin_scheduling 0
		.amdhsa_exception_fp_ieee_invalid_op 0
		.amdhsa_exception_fp_denorm_src 0
		.amdhsa_exception_fp_ieee_div_zero 0
		.amdhsa_exception_fp_ieee_overflow 0
		.amdhsa_exception_fp_ieee_underflow 0
		.amdhsa_exception_fp_ieee_inexact 0
		.amdhsa_exception_int_div_zero 0
	.end_amdhsa_kernel
	.section	.text._ZN7rocprim17ROCPRIM_400000_NS6detail17trampoline_kernelINS0_14default_configENS1_27upper_bound_config_selectorIjjEEZNS1_14transform_implILb0ES3_S5_N6thrust23THRUST_200600_302600_NS17counting_iteratorIjNS8_11use_defaultESA_SA_EENS8_6detail15normal_iteratorINS8_10device_ptrIjEEEEZNS1_13binary_searchIS3_S5_SG_SB_SG_NS1_21upper_bound_search_opENSC_16wrapped_functionINS0_4lessIvEEbEEEE10hipError_tPvRmT1_T2_T3_mmT4_T5_P12ihipStream_tbEUlRKjE_EESN_SR_SS_mST_SW_bEUlT_E_NS1_11comp_targetILNS1_3genE8ELNS1_11target_archE1030ELNS1_3gpuE2ELNS1_3repE0EEENS1_30default_config_static_selectorELNS0_4arch9wavefront6targetE0EEEvSQ_,"axG",@progbits,_ZN7rocprim17ROCPRIM_400000_NS6detail17trampoline_kernelINS0_14default_configENS1_27upper_bound_config_selectorIjjEEZNS1_14transform_implILb0ES3_S5_N6thrust23THRUST_200600_302600_NS17counting_iteratorIjNS8_11use_defaultESA_SA_EENS8_6detail15normal_iteratorINS8_10device_ptrIjEEEEZNS1_13binary_searchIS3_S5_SG_SB_SG_NS1_21upper_bound_search_opENSC_16wrapped_functionINS0_4lessIvEEbEEEE10hipError_tPvRmT1_T2_T3_mmT4_T5_P12ihipStream_tbEUlRKjE_EESN_SR_SS_mST_SW_bEUlT_E_NS1_11comp_targetILNS1_3genE8ELNS1_11target_archE1030ELNS1_3gpuE2ELNS1_3repE0EEENS1_30default_config_static_selectorELNS0_4arch9wavefront6targetE0EEEvSQ_,comdat
.Lfunc_end247:
	.size	_ZN7rocprim17ROCPRIM_400000_NS6detail17trampoline_kernelINS0_14default_configENS1_27upper_bound_config_selectorIjjEEZNS1_14transform_implILb0ES3_S5_N6thrust23THRUST_200600_302600_NS17counting_iteratorIjNS8_11use_defaultESA_SA_EENS8_6detail15normal_iteratorINS8_10device_ptrIjEEEEZNS1_13binary_searchIS3_S5_SG_SB_SG_NS1_21upper_bound_search_opENSC_16wrapped_functionINS0_4lessIvEEbEEEE10hipError_tPvRmT1_T2_T3_mmT4_T5_P12ihipStream_tbEUlRKjE_EESN_SR_SS_mST_SW_bEUlT_E_NS1_11comp_targetILNS1_3genE8ELNS1_11target_archE1030ELNS1_3gpuE2ELNS1_3repE0EEENS1_30default_config_static_selectorELNS0_4arch9wavefront6targetE0EEEvSQ_, .Lfunc_end247-_ZN7rocprim17ROCPRIM_400000_NS6detail17trampoline_kernelINS0_14default_configENS1_27upper_bound_config_selectorIjjEEZNS1_14transform_implILb0ES3_S5_N6thrust23THRUST_200600_302600_NS17counting_iteratorIjNS8_11use_defaultESA_SA_EENS8_6detail15normal_iteratorINS8_10device_ptrIjEEEEZNS1_13binary_searchIS3_S5_SG_SB_SG_NS1_21upper_bound_search_opENSC_16wrapped_functionINS0_4lessIvEEbEEEE10hipError_tPvRmT1_T2_T3_mmT4_T5_P12ihipStream_tbEUlRKjE_EESN_SR_SS_mST_SW_bEUlT_E_NS1_11comp_targetILNS1_3genE8ELNS1_11target_archE1030ELNS1_3gpuE2ELNS1_3repE0EEENS1_30default_config_static_selectorELNS0_4arch9wavefront6targetE0EEEvSQ_
                                        ; -- End function
	.set _ZN7rocprim17ROCPRIM_400000_NS6detail17trampoline_kernelINS0_14default_configENS1_27upper_bound_config_selectorIjjEEZNS1_14transform_implILb0ES3_S5_N6thrust23THRUST_200600_302600_NS17counting_iteratorIjNS8_11use_defaultESA_SA_EENS8_6detail15normal_iteratorINS8_10device_ptrIjEEEEZNS1_13binary_searchIS3_S5_SG_SB_SG_NS1_21upper_bound_search_opENSC_16wrapped_functionINS0_4lessIvEEbEEEE10hipError_tPvRmT1_T2_T3_mmT4_T5_P12ihipStream_tbEUlRKjE_EESN_SR_SS_mST_SW_bEUlT_E_NS1_11comp_targetILNS1_3genE8ELNS1_11target_archE1030ELNS1_3gpuE2ELNS1_3repE0EEENS1_30default_config_static_selectorELNS0_4arch9wavefront6targetE0EEEvSQ_.num_vgpr, 0
	.set _ZN7rocprim17ROCPRIM_400000_NS6detail17trampoline_kernelINS0_14default_configENS1_27upper_bound_config_selectorIjjEEZNS1_14transform_implILb0ES3_S5_N6thrust23THRUST_200600_302600_NS17counting_iteratorIjNS8_11use_defaultESA_SA_EENS8_6detail15normal_iteratorINS8_10device_ptrIjEEEEZNS1_13binary_searchIS3_S5_SG_SB_SG_NS1_21upper_bound_search_opENSC_16wrapped_functionINS0_4lessIvEEbEEEE10hipError_tPvRmT1_T2_T3_mmT4_T5_P12ihipStream_tbEUlRKjE_EESN_SR_SS_mST_SW_bEUlT_E_NS1_11comp_targetILNS1_3genE8ELNS1_11target_archE1030ELNS1_3gpuE2ELNS1_3repE0EEENS1_30default_config_static_selectorELNS0_4arch9wavefront6targetE0EEEvSQ_.num_agpr, 0
	.set _ZN7rocprim17ROCPRIM_400000_NS6detail17trampoline_kernelINS0_14default_configENS1_27upper_bound_config_selectorIjjEEZNS1_14transform_implILb0ES3_S5_N6thrust23THRUST_200600_302600_NS17counting_iteratorIjNS8_11use_defaultESA_SA_EENS8_6detail15normal_iteratorINS8_10device_ptrIjEEEEZNS1_13binary_searchIS3_S5_SG_SB_SG_NS1_21upper_bound_search_opENSC_16wrapped_functionINS0_4lessIvEEbEEEE10hipError_tPvRmT1_T2_T3_mmT4_T5_P12ihipStream_tbEUlRKjE_EESN_SR_SS_mST_SW_bEUlT_E_NS1_11comp_targetILNS1_3genE8ELNS1_11target_archE1030ELNS1_3gpuE2ELNS1_3repE0EEENS1_30default_config_static_selectorELNS0_4arch9wavefront6targetE0EEEvSQ_.numbered_sgpr, 0
	.set _ZN7rocprim17ROCPRIM_400000_NS6detail17trampoline_kernelINS0_14default_configENS1_27upper_bound_config_selectorIjjEEZNS1_14transform_implILb0ES3_S5_N6thrust23THRUST_200600_302600_NS17counting_iteratorIjNS8_11use_defaultESA_SA_EENS8_6detail15normal_iteratorINS8_10device_ptrIjEEEEZNS1_13binary_searchIS3_S5_SG_SB_SG_NS1_21upper_bound_search_opENSC_16wrapped_functionINS0_4lessIvEEbEEEE10hipError_tPvRmT1_T2_T3_mmT4_T5_P12ihipStream_tbEUlRKjE_EESN_SR_SS_mST_SW_bEUlT_E_NS1_11comp_targetILNS1_3genE8ELNS1_11target_archE1030ELNS1_3gpuE2ELNS1_3repE0EEENS1_30default_config_static_selectorELNS0_4arch9wavefront6targetE0EEEvSQ_.num_named_barrier, 0
	.set _ZN7rocprim17ROCPRIM_400000_NS6detail17trampoline_kernelINS0_14default_configENS1_27upper_bound_config_selectorIjjEEZNS1_14transform_implILb0ES3_S5_N6thrust23THRUST_200600_302600_NS17counting_iteratorIjNS8_11use_defaultESA_SA_EENS8_6detail15normal_iteratorINS8_10device_ptrIjEEEEZNS1_13binary_searchIS3_S5_SG_SB_SG_NS1_21upper_bound_search_opENSC_16wrapped_functionINS0_4lessIvEEbEEEE10hipError_tPvRmT1_T2_T3_mmT4_T5_P12ihipStream_tbEUlRKjE_EESN_SR_SS_mST_SW_bEUlT_E_NS1_11comp_targetILNS1_3genE8ELNS1_11target_archE1030ELNS1_3gpuE2ELNS1_3repE0EEENS1_30default_config_static_selectorELNS0_4arch9wavefront6targetE0EEEvSQ_.private_seg_size, 0
	.set _ZN7rocprim17ROCPRIM_400000_NS6detail17trampoline_kernelINS0_14default_configENS1_27upper_bound_config_selectorIjjEEZNS1_14transform_implILb0ES3_S5_N6thrust23THRUST_200600_302600_NS17counting_iteratorIjNS8_11use_defaultESA_SA_EENS8_6detail15normal_iteratorINS8_10device_ptrIjEEEEZNS1_13binary_searchIS3_S5_SG_SB_SG_NS1_21upper_bound_search_opENSC_16wrapped_functionINS0_4lessIvEEbEEEE10hipError_tPvRmT1_T2_T3_mmT4_T5_P12ihipStream_tbEUlRKjE_EESN_SR_SS_mST_SW_bEUlT_E_NS1_11comp_targetILNS1_3genE8ELNS1_11target_archE1030ELNS1_3gpuE2ELNS1_3repE0EEENS1_30default_config_static_selectorELNS0_4arch9wavefront6targetE0EEEvSQ_.uses_vcc, 0
	.set _ZN7rocprim17ROCPRIM_400000_NS6detail17trampoline_kernelINS0_14default_configENS1_27upper_bound_config_selectorIjjEEZNS1_14transform_implILb0ES3_S5_N6thrust23THRUST_200600_302600_NS17counting_iteratorIjNS8_11use_defaultESA_SA_EENS8_6detail15normal_iteratorINS8_10device_ptrIjEEEEZNS1_13binary_searchIS3_S5_SG_SB_SG_NS1_21upper_bound_search_opENSC_16wrapped_functionINS0_4lessIvEEbEEEE10hipError_tPvRmT1_T2_T3_mmT4_T5_P12ihipStream_tbEUlRKjE_EESN_SR_SS_mST_SW_bEUlT_E_NS1_11comp_targetILNS1_3genE8ELNS1_11target_archE1030ELNS1_3gpuE2ELNS1_3repE0EEENS1_30default_config_static_selectorELNS0_4arch9wavefront6targetE0EEEvSQ_.uses_flat_scratch, 0
	.set _ZN7rocprim17ROCPRIM_400000_NS6detail17trampoline_kernelINS0_14default_configENS1_27upper_bound_config_selectorIjjEEZNS1_14transform_implILb0ES3_S5_N6thrust23THRUST_200600_302600_NS17counting_iteratorIjNS8_11use_defaultESA_SA_EENS8_6detail15normal_iteratorINS8_10device_ptrIjEEEEZNS1_13binary_searchIS3_S5_SG_SB_SG_NS1_21upper_bound_search_opENSC_16wrapped_functionINS0_4lessIvEEbEEEE10hipError_tPvRmT1_T2_T3_mmT4_T5_P12ihipStream_tbEUlRKjE_EESN_SR_SS_mST_SW_bEUlT_E_NS1_11comp_targetILNS1_3genE8ELNS1_11target_archE1030ELNS1_3gpuE2ELNS1_3repE0EEENS1_30default_config_static_selectorELNS0_4arch9wavefront6targetE0EEEvSQ_.has_dyn_sized_stack, 0
	.set _ZN7rocprim17ROCPRIM_400000_NS6detail17trampoline_kernelINS0_14default_configENS1_27upper_bound_config_selectorIjjEEZNS1_14transform_implILb0ES3_S5_N6thrust23THRUST_200600_302600_NS17counting_iteratorIjNS8_11use_defaultESA_SA_EENS8_6detail15normal_iteratorINS8_10device_ptrIjEEEEZNS1_13binary_searchIS3_S5_SG_SB_SG_NS1_21upper_bound_search_opENSC_16wrapped_functionINS0_4lessIvEEbEEEE10hipError_tPvRmT1_T2_T3_mmT4_T5_P12ihipStream_tbEUlRKjE_EESN_SR_SS_mST_SW_bEUlT_E_NS1_11comp_targetILNS1_3genE8ELNS1_11target_archE1030ELNS1_3gpuE2ELNS1_3repE0EEENS1_30default_config_static_selectorELNS0_4arch9wavefront6targetE0EEEvSQ_.has_recursion, 0
	.set _ZN7rocprim17ROCPRIM_400000_NS6detail17trampoline_kernelINS0_14default_configENS1_27upper_bound_config_selectorIjjEEZNS1_14transform_implILb0ES3_S5_N6thrust23THRUST_200600_302600_NS17counting_iteratorIjNS8_11use_defaultESA_SA_EENS8_6detail15normal_iteratorINS8_10device_ptrIjEEEEZNS1_13binary_searchIS3_S5_SG_SB_SG_NS1_21upper_bound_search_opENSC_16wrapped_functionINS0_4lessIvEEbEEEE10hipError_tPvRmT1_T2_T3_mmT4_T5_P12ihipStream_tbEUlRKjE_EESN_SR_SS_mST_SW_bEUlT_E_NS1_11comp_targetILNS1_3genE8ELNS1_11target_archE1030ELNS1_3gpuE2ELNS1_3repE0EEENS1_30default_config_static_selectorELNS0_4arch9wavefront6targetE0EEEvSQ_.has_indirect_call, 0
	.section	.AMDGPU.csdata,"",@progbits
; Kernel info:
; codeLenInByte = 0
; TotalNumSgprs: 0
; NumVgprs: 0
; ScratchSize: 0
; MemoryBound: 0
; FloatMode: 240
; IeeeMode: 1
; LDSByteSize: 0 bytes/workgroup (compile time only)
; SGPRBlocks: 0
; VGPRBlocks: 0
; NumSGPRsForWavesPerEU: 1
; NumVGPRsForWavesPerEU: 1
; Occupancy: 16
; WaveLimiterHint : 0
; COMPUTE_PGM_RSRC2:SCRATCH_EN: 0
; COMPUTE_PGM_RSRC2:USER_SGPR: 2
; COMPUTE_PGM_RSRC2:TRAP_HANDLER: 0
; COMPUTE_PGM_RSRC2:TGID_X_EN: 1
; COMPUTE_PGM_RSRC2:TGID_Y_EN: 0
; COMPUTE_PGM_RSRC2:TGID_Z_EN: 0
; COMPUTE_PGM_RSRC2:TIDIG_COMP_CNT: 0
	.section	.text._ZN6thrust23THRUST_200600_302600_NS11hip_rocprim14__parallel_for6kernelILj256ENS1_20__uninitialized_copy7functorINS0_10device_ptrINS0_5tupleIffNS0_9null_typeES8_S8_S8_S8_S8_S8_S8_EEEENS0_7pointerIS9_NS1_3tagENS0_11use_defaultESD_EEEEmLj1EEEvT0_T1_SH_,"axG",@progbits,_ZN6thrust23THRUST_200600_302600_NS11hip_rocprim14__parallel_for6kernelILj256ENS1_20__uninitialized_copy7functorINS0_10device_ptrINS0_5tupleIffNS0_9null_typeES8_S8_S8_S8_S8_S8_S8_EEEENS0_7pointerIS9_NS1_3tagENS0_11use_defaultESD_EEEEmLj1EEEvT0_T1_SH_,comdat
	.protected	_ZN6thrust23THRUST_200600_302600_NS11hip_rocprim14__parallel_for6kernelILj256ENS1_20__uninitialized_copy7functorINS0_10device_ptrINS0_5tupleIffNS0_9null_typeES8_S8_S8_S8_S8_S8_S8_EEEENS0_7pointerIS9_NS1_3tagENS0_11use_defaultESD_EEEEmLj1EEEvT0_T1_SH_ ; -- Begin function _ZN6thrust23THRUST_200600_302600_NS11hip_rocprim14__parallel_for6kernelILj256ENS1_20__uninitialized_copy7functorINS0_10device_ptrINS0_5tupleIffNS0_9null_typeES8_S8_S8_S8_S8_S8_S8_EEEENS0_7pointerIS9_NS1_3tagENS0_11use_defaultESD_EEEEmLj1EEEvT0_T1_SH_
	.globl	_ZN6thrust23THRUST_200600_302600_NS11hip_rocprim14__parallel_for6kernelILj256ENS1_20__uninitialized_copy7functorINS0_10device_ptrINS0_5tupleIffNS0_9null_typeES8_S8_S8_S8_S8_S8_S8_EEEENS0_7pointerIS9_NS1_3tagENS0_11use_defaultESD_EEEEmLj1EEEvT0_T1_SH_
	.p2align	8
	.type	_ZN6thrust23THRUST_200600_302600_NS11hip_rocprim14__parallel_for6kernelILj256ENS1_20__uninitialized_copy7functorINS0_10device_ptrINS0_5tupleIffNS0_9null_typeES8_S8_S8_S8_S8_S8_S8_EEEENS0_7pointerIS9_NS1_3tagENS0_11use_defaultESD_EEEEmLj1EEEvT0_T1_SH_,@function
_ZN6thrust23THRUST_200600_302600_NS11hip_rocprim14__parallel_for6kernelILj256ENS1_20__uninitialized_copy7functorINS0_10device_ptrINS0_5tupleIffNS0_9null_typeES8_S8_S8_S8_S8_S8_S8_EEEENS0_7pointerIS9_NS1_3tagENS0_11use_defaultESD_EEEEmLj1EEEvT0_T1_SH_: ; @_ZN6thrust23THRUST_200600_302600_NS11hip_rocprim14__parallel_for6kernelILj256ENS1_20__uninitialized_copy7functorINS0_10device_ptrINS0_5tupleIffNS0_9null_typeES8_S8_S8_S8_S8_S8_S8_EEEENS0_7pointerIS9_NS1_3tagENS0_11use_defaultESD_EEEEmLj1EEEvT0_T1_SH_
; %bb.0:
	s_load_b256 s[0:7], s[0:1], 0x0
	s_lshl_b32 s8, ttmp9, 8
	s_mov_b32 s9, 0
	s_wait_kmcnt 0x0
	s_add_nc_u64 s[6:7], s[6:7], s[8:9]
	s_delay_alu instid0(SALU_CYCLE_1) | instskip(NEXT) | instid1(SALU_CYCLE_1)
	s_sub_nc_u64 s[4:5], s[4:5], s[6:7]
	v_cmp_lt_u64_e64 s5, 0xff, s[4:5]
	s_and_b32 vcc_lo, exec_lo, s5
	s_mov_b32 s5, -1
	s_cbranch_vccz .LBB248_3
; %bb.1:
	s_wait_alu 0xfffe
	s_and_not1_b32 vcc_lo, exec_lo, s5
	s_cbranch_vccz .LBB248_6
.LBB248_2:
	s_endpgm
.LBB248_3:
	v_cmp_gt_u32_e32 vcc_lo, s4, v0
	s_and_saveexec_b32 s4, vcc_lo
	s_cbranch_execz .LBB248_5
; %bb.4:
	v_add_co_u32 v1, s5, s6, v0
	s_wait_alu 0xf1fe
	v_add_co_ci_u32_e64 v2, null, s7, 0, s5
	s_delay_alu instid0(VALU_DEP_1) | instskip(NEXT) | instid1(VALU_DEP_1)
	v_lshlrev_b64_e32 v[1:2], 3, v[1:2]
	v_add_co_u32 v3, vcc_lo, s0, v1
	s_delay_alu instid0(VALU_DEP_1)
	v_add_co_ci_u32_e64 v4, null, s1, v2, vcc_lo
	v_add_co_u32 v1, vcc_lo, s2, v1
	s_wait_alu 0xfffd
	v_add_co_ci_u32_e64 v2, null, s3, v2, vcc_lo
	flat_load_b64 v[3:4], v[3:4]
	s_wait_loadcnt_dscnt 0x0
	flat_store_b64 v[1:2], v[3:4]
.LBB248_5:
	s_wait_alu 0xfffe
	s_or_b32 exec_lo, exec_lo, s4
	s_cbranch_execnz .LBB248_2
.LBB248_6:
	v_add_co_u32 v0, s4, s6, v0
	s_wait_alu 0xf1ff
	v_add_co_ci_u32_e64 v1, null, s7, 0, s4
	s_delay_alu instid0(VALU_DEP_1) | instskip(NEXT) | instid1(VALU_DEP_1)
	v_lshlrev_b64_e32 v[0:1], 3, v[0:1]
	v_add_co_u32 v2, vcc_lo, s0, v0
	s_wait_alu 0xfffd
	s_delay_alu instid0(VALU_DEP_2)
	v_add_co_ci_u32_e64 v3, null, s1, v1, vcc_lo
	v_add_co_u32 v0, vcc_lo, s2, v0
	s_wait_alu 0xfffd
	v_add_co_ci_u32_e64 v1, null, s3, v1, vcc_lo
	flat_load_b64 v[2:3], v[2:3]
	s_wait_loadcnt_dscnt 0x0
	flat_store_b64 v[0:1], v[2:3]
	s_endpgm
	.section	.rodata,"a",@progbits
	.p2align	6, 0x0
	.amdhsa_kernel _ZN6thrust23THRUST_200600_302600_NS11hip_rocprim14__parallel_for6kernelILj256ENS1_20__uninitialized_copy7functorINS0_10device_ptrINS0_5tupleIffNS0_9null_typeES8_S8_S8_S8_S8_S8_S8_EEEENS0_7pointerIS9_NS1_3tagENS0_11use_defaultESD_EEEEmLj1EEEvT0_T1_SH_
		.amdhsa_group_segment_fixed_size 0
		.amdhsa_private_segment_fixed_size 0
		.amdhsa_kernarg_size 32
		.amdhsa_user_sgpr_count 2
		.amdhsa_user_sgpr_dispatch_ptr 0
		.amdhsa_user_sgpr_queue_ptr 0
		.amdhsa_user_sgpr_kernarg_segment_ptr 1
		.amdhsa_user_sgpr_dispatch_id 0
		.amdhsa_user_sgpr_private_segment_size 0
		.amdhsa_wavefront_size32 1
		.amdhsa_uses_dynamic_stack 0
		.amdhsa_enable_private_segment 0
		.amdhsa_system_sgpr_workgroup_id_x 1
		.amdhsa_system_sgpr_workgroup_id_y 0
		.amdhsa_system_sgpr_workgroup_id_z 0
		.amdhsa_system_sgpr_workgroup_info 0
		.amdhsa_system_vgpr_workitem_id 0
		.amdhsa_next_free_vgpr 5
		.amdhsa_next_free_sgpr 10
		.amdhsa_reserve_vcc 1
		.amdhsa_float_round_mode_32 0
		.amdhsa_float_round_mode_16_64 0
		.amdhsa_float_denorm_mode_32 3
		.amdhsa_float_denorm_mode_16_64 3
		.amdhsa_fp16_overflow 0
		.amdhsa_workgroup_processor_mode 1
		.amdhsa_memory_ordered 1
		.amdhsa_forward_progress 1
		.amdhsa_inst_pref_size 3
		.amdhsa_round_robin_scheduling 0
		.amdhsa_exception_fp_ieee_invalid_op 0
		.amdhsa_exception_fp_denorm_src 0
		.amdhsa_exception_fp_ieee_div_zero 0
		.amdhsa_exception_fp_ieee_overflow 0
		.amdhsa_exception_fp_ieee_underflow 0
		.amdhsa_exception_fp_ieee_inexact 0
		.amdhsa_exception_int_div_zero 0
	.end_amdhsa_kernel
	.section	.text._ZN6thrust23THRUST_200600_302600_NS11hip_rocprim14__parallel_for6kernelILj256ENS1_20__uninitialized_copy7functorINS0_10device_ptrINS0_5tupleIffNS0_9null_typeES8_S8_S8_S8_S8_S8_S8_EEEENS0_7pointerIS9_NS1_3tagENS0_11use_defaultESD_EEEEmLj1EEEvT0_T1_SH_,"axG",@progbits,_ZN6thrust23THRUST_200600_302600_NS11hip_rocprim14__parallel_for6kernelILj256ENS1_20__uninitialized_copy7functorINS0_10device_ptrINS0_5tupleIffNS0_9null_typeES8_S8_S8_S8_S8_S8_S8_EEEENS0_7pointerIS9_NS1_3tagENS0_11use_defaultESD_EEEEmLj1EEEvT0_T1_SH_,comdat
.Lfunc_end248:
	.size	_ZN6thrust23THRUST_200600_302600_NS11hip_rocprim14__parallel_for6kernelILj256ENS1_20__uninitialized_copy7functorINS0_10device_ptrINS0_5tupleIffNS0_9null_typeES8_S8_S8_S8_S8_S8_S8_EEEENS0_7pointerIS9_NS1_3tagENS0_11use_defaultESD_EEEEmLj1EEEvT0_T1_SH_, .Lfunc_end248-_ZN6thrust23THRUST_200600_302600_NS11hip_rocprim14__parallel_for6kernelILj256ENS1_20__uninitialized_copy7functorINS0_10device_ptrINS0_5tupleIffNS0_9null_typeES8_S8_S8_S8_S8_S8_S8_EEEENS0_7pointerIS9_NS1_3tagENS0_11use_defaultESD_EEEEmLj1EEEvT0_T1_SH_
                                        ; -- End function
	.set _ZN6thrust23THRUST_200600_302600_NS11hip_rocprim14__parallel_for6kernelILj256ENS1_20__uninitialized_copy7functorINS0_10device_ptrINS0_5tupleIffNS0_9null_typeES8_S8_S8_S8_S8_S8_S8_EEEENS0_7pointerIS9_NS1_3tagENS0_11use_defaultESD_EEEEmLj1EEEvT0_T1_SH_.num_vgpr, 5
	.set _ZN6thrust23THRUST_200600_302600_NS11hip_rocprim14__parallel_for6kernelILj256ENS1_20__uninitialized_copy7functorINS0_10device_ptrINS0_5tupleIffNS0_9null_typeES8_S8_S8_S8_S8_S8_S8_EEEENS0_7pointerIS9_NS1_3tagENS0_11use_defaultESD_EEEEmLj1EEEvT0_T1_SH_.num_agpr, 0
	.set _ZN6thrust23THRUST_200600_302600_NS11hip_rocprim14__parallel_for6kernelILj256ENS1_20__uninitialized_copy7functorINS0_10device_ptrINS0_5tupleIffNS0_9null_typeES8_S8_S8_S8_S8_S8_S8_EEEENS0_7pointerIS9_NS1_3tagENS0_11use_defaultESD_EEEEmLj1EEEvT0_T1_SH_.numbered_sgpr, 10
	.set _ZN6thrust23THRUST_200600_302600_NS11hip_rocprim14__parallel_for6kernelILj256ENS1_20__uninitialized_copy7functorINS0_10device_ptrINS0_5tupleIffNS0_9null_typeES8_S8_S8_S8_S8_S8_S8_EEEENS0_7pointerIS9_NS1_3tagENS0_11use_defaultESD_EEEEmLj1EEEvT0_T1_SH_.num_named_barrier, 0
	.set _ZN6thrust23THRUST_200600_302600_NS11hip_rocprim14__parallel_for6kernelILj256ENS1_20__uninitialized_copy7functorINS0_10device_ptrINS0_5tupleIffNS0_9null_typeES8_S8_S8_S8_S8_S8_S8_EEEENS0_7pointerIS9_NS1_3tagENS0_11use_defaultESD_EEEEmLj1EEEvT0_T1_SH_.private_seg_size, 0
	.set _ZN6thrust23THRUST_200600_302600_NS11hip_rocprim14__parallel_for6kernelILj256ENS1_20__uninitialized_copy7functorINS0_10device_ptrINS0_5tupleIffNS0_9null_typeES8_S8_S8_S8_S8_S8_S8_EEEENS0_7pointerIS9_NS1_3tagENS0_11use_defaultESD_EEEEmLj1EEEvT0_T1_SH_.uses_vcc, 1
	.set _ZN6thrust23THRUST_200600_302600_NS11hip_rocprim14__parallel_for6kernelILj256ENS1_20__uninitialized_copy7functorINS0_10device_ptrINS0_5tupleIffNS0_9null_typeES8_S8_S8_S8_S8_S8_S8_EEEENS0_7pointerIS9_NS1_3tagENS0_11use_defaultESD_EEEEmLj1EEEvT0_T1_SH_.uses_flat_scratch, 0
	.set _ZN6thrust23THRUST_200600_302600_NS11hip_rocprim14__parallel_for6kernelILj256ENS1_20__uninitialized_copy7functorINS0_10device_ptrINS0_5tupleIffNS0_9null_typeES8_S8_S8_S8_S8_S8_S8_EEEENS0_7pointerIS9_NS1_3tagENS0_11use_defaultESD_EEEEmLj1EEEvT0_T1_SH_.has_dyn_sized_stack, 0
	.set _ZN6thrust23THRUST_200600_302600_NS11hip_rocprim14__parallel_for6kernelILj256ENS1_20__uninitialized_copy7functorINS0_10device_ptrINS0_5tupleIffNS0_9null_typeES8_S8_S8_S8_S8_S8_S8_EEEENS0_7pointerIS9_NS1_3tagENS0_11use_defaultESD_EEEEmLj1EEEvT0_T1_SH_.has_recursion, 0
	.set _ZN6thrust23THRUST_200600_302600_NS11hip_rocprim14__parallel_for6kernelILj256ENS1_20__uninitialized_copy7functorINS0_10device_ptrINS0_5tupleIffNS0_9null_typeES8_S8_S8_S8_S8_S8_S8_EEEENS0_7pointerIS9_NS1_3tagENS0_11use_defaultESD_EEEEmLj1EEEvT0_T1_SH_.has_indirect_call, 0
	.section	.AMDGPU.csdata,"",@progbits
; Kernel info:
; codeLenInByte = 296
; TotalNumSgprs: 12
; NumVgprs: 5
; ScratchSize: 0
; MemoryBound: 0
; FloatMode: 240
; IeeeMode: 1
; LDSByteSize: 0 bytes/workgroup (compile time only)
; SGPRBlocks: 0
; VGPRBlocks: 0
; NumSGPRsForWavesPerEU: 12
; NumVGPRsForWavesPerEU: 5
; Occupancy: 16
; WaveLimiterHint : 0
; COMPUTE_PGM_RSRC2:SCRATCH_EN: 0
; COMPUTE_PGM_RSRC2:USER_SGPR: 2
; COMPUTE_PGM_RSRC2:TRAP_HANDLER: 0
; COMPUTE_PGM_RSRC2:TGID_X_EN: 1
; COMPUTE_PGM_RSRC2:TGID_Y_EN: 0
; COMPUTE_PGM_RSRC2:TGID_Z_EN: 0
; COMPUTE_PGM_RSRC2:TIDIG_COMP_CNT: 0
	.section	.AMDGPU.gpr_maximums,"",@progbits
	.set amdgpu.max_num_vgpr, 0
	.set amdgpu.max_num_agpr, 0
	.set amdgpu.max_num_sgpr, 0
	.section	.AMDGPU.csdata,"",@progbits
	.protected	_ZN7rocprim17ROCPRIM_400000_NS16block_radix_sortIjLj256ELj4EN6thrust23THRUST_200600_302600_NS5tupleIffNS3_9null_typeES5_S5_S5_S5_S5_S5_S5_EELj1ELj1ELj0ELNS0_26block_radix_rank_algorithmE1ELNS0_18block_padding_hintE2ELNS0_4arch9wavefront6targetE0EE19radix_bits_per_passE ; @_ZN7rocprim17ROCPRIM_400000_NS16block_radix_sortIjLj256ELj4EN6thrust23THRUST_200600_302600_NS5tupleIffNS3_9null_typeES5_S5_S5_S5_S5_S5_S5_EELj1ELj1ELj0ELNS0_26block_radix_rank_algorithmE1ELNS0_18block_padding_hintE2ELNS0_4arch9wavefront6targetE0EE19radix_bits_per_passE
	.type	_ZN7rocprim17ROCPRIM_400000_NS16block_radix_sortIjLj256ELj4EN6thrust23THRUST_200600_302600_NS5tupleIffNS3_9null_typeES5_S5_S5_S5_S5_S5_S5_EELj1ELj1ELj0ELNS0_26block_radix_rank_algorithmE1ELNS0_18block_padding_hintE2ELNS0_4arch9wavefront6targetE0EE19radix_bits_per_passE,@object
	.section	.rodata._ZN7rocprim17ROCPRIM_400000_NS16block_radix_sortIjLj256ELj4EN6thrust23THRUST_200600_302600_NS5tupleIffNS3_9null_typeES5_S5_S5_S5_S5_S5_S5_EELj1ELj1ELj0ELNS0_26block_radix_rank_algorithmE1ELNS0_18block_padding_hintE2ELNS0_4arch9wavefront6targetE0EE19radix_bits_per_passE,"aG",@progbits,_ZN7rocprim17ROCPRIM_400000_NS16block_radix_sortIjLj256ELj4EN6thrust23THRUST_200600_302600_NS5tupleIffNS3_9null_typeES5_S5_S5_S5_S5_S5_S5_EELj1ELj1ELj0ELNS0_26block_radix_rank_algorithmE1ELNS0_18block_padding_hintE2ELNS0_4arch9wavefront6targetE0EE19radix_bits_per_passE,comdat
	.weak	_ZN7rocprim17ROCPRIM_400000_NS16block_radix_sortIjLj256ELj4EN6thrust23THRUST_200600_302600_NS5tupleIffNS3_9null_typeES5_S5_S5_S5_S5_S5_S5_EELj1ELj1ELj0ELNS0_26block_radix_rank_algorithmE1ELNS0_18block_padding_hintE2ELNS0_4arch9wavefront6targetE0EE19radix_bits_per_passE
	.p2align	2, 0x0
_ZN7rocprim17ROCPRIM_400000_NS16block_radix_sortIjLj256ELj4EN6thrust23THRUST_200600_302600_NS5tupleIffNS3_9null_typeES5_S5_S5_S5_S5_S5_S5_EELj1ELj1ELj0ELNS0_26block_radix_rank_algorithmE1ELNS0_18block_padding_hintE2ELNS0_4arch9wavefront6targetE0EE19radix_bits_per_passE:
	.long	8                               ; 0x8
	.size	_ZN7rocprim17ROCPRIM_400000_NS16block_radix_sortIjLj256ELj4EN6thrust23THRUST_200600_302600_NS5tupleIffNS3_9null_typeES5_S5_S5_S5_S5_S5_S5_EELj1ELj1ELj0ELNS0_26block_radix_rank_algorithmE1ELNS0_18block_padding_hintE2ELNS0_4arch9wavefront6targetE0EE19radix_bits_per_passE, 4

	.type	__hip_cuid_acc5c048cc33bf7a,@object ; @__hip_cuid_acc5c048cc33bf7a
	.section	.bss,"aw",@nobits
	.globl	__hip_cuid_acc5c048cc33bf7a
__hip_cuid_acc5c048cc33bf7a:
	.byte	0                               ; 0x0
	.size	__hip_cuid_acc5c048cc33bf7a, 1

	.ident	"AMD clang version 22.0.0git (https://github.com/RadeonOpenCompute/llvm-project roc-7.2.4 26084 f58b06dce1f9c15707c5f808fd002e18c2accf7e)"
	.section	".note.GNU-stack","",@progbits
	.addrsig
	.addrsig_sym __hip_cuid_acc5c048cc33bf7a
	.amdgpu_metadata
---
amdhsa.kernels:
  - .args:
      - .offset:         0
        .size:           16
        .value_kind:     by_value
      - .offset:         16
        .size:           8
        .value_kind:     by_value
      - .offset:         24
        .size:           8
        .value_kind:     by_value
    .group_segment_fixed_size: 0
    .kernarg_segment_align: 8
    .kernarg_segment_size: 32
    .language:       OpenCL C
    .language_version:
      - 2
      - 0
    .max_flat_workgroup_size: 256
    .name:           _ZN6thrust23THRUST_200600_302600_NS11hip_rocprim14__parallel_for6kernelILj256ENS1_10for_each_fINS0_7pointerINS0_5tupleIffNS0_9null_typeES7_S7_S7_S7_S7_S7_S7_EENS1_3tagENS0_11use_defaultESA_EENS0_6detail16wrapped_functionINSC_23allocator_traits_detail24construct1_via_allocatorINSC_18no_throw_allocatorINSC_19temporary_allocatorIS8_S9_EEEEEEvEEEEmLj1EEEvT0_T1_SO_
    .private_segment_fixed_size: 0
    .sgpr_count:     10
    .sgpr_spill_count: 0
    .symbol:         _ZN6thrust23THRUST_200600_302600_NS11hip_rocprim14__parallel_for6kernelILj256ENS1_10for_each_fINS0_7pointerINS0_5tupleIffNS0_9null_typeES7_S7_S7_S7_S7_S7_S7_EENS1_3tagENS0_11use_defaultESA_EENS0_6detail16wrapped_functionINSC_23allocator_traits_detail24construct1_via_allocatorINSC_18no_throw_allocatorINSC_19temporary_allocatorIS8_S9_EEEEEEvEEEEmLj1EEEvT0_T1_SO_.kd
    .uniform_work_group_size: 1
    .uses_dynamic_stack: false
    .vgpr_count:     5
    .vgpr_spill_count: 0
    .wavefront_size: 32
    .workgroup_processor_mode: 1
  - .args:
      - .offset:         0
        .size:           16
        .value_kind:     by_value
      - .offset:         16
        .size:           8
        .value_kind:     by_value
      - .offset:         24
        .size:           8
        .value_kind:     by_value
    .group_segment_fixed_size: 0
    .kernarg_segment_align: 8
    .kernarg_segment_size: 32
    .language:       OpenCL C
    .language_version:
      - 2
      - 0
    .max_flat_workgroup_size: 256
    .name:           _ZN6thrust23THRUST_200600_302600_NS11hip_rocprim14__parallel_for6kernelILj256ENS1_10for_each_fINS0_7pointerINS0_5tupleIffNS0_9null_typeES7_S7_S7_S7_S7_S7_S7_EENS1_3tagENS0_11use_defaultESA_EENS0_6detail16wrapped_functionINSC_23allocator_traits_detail5gozerEvEEEElLj1EEEvT0_T1_SJ_
    .private_segment_fixed_size: 0
    .sgpr_count:     0
    .sgpr_spill_count: 0
    .symbol:         _ZN6thrust23THRUST_200600_302600_NS11hip_rocprim14__parallel_for6kernelILj256ENS1_10for_each_fINS0_7pointerINS0_5tupleIffNS0_9null_typeES7_S7_S7_S7_S7_S7_S7_EENS1_3tagENS0_11use_defaultESA_EENS0_6detail16wrapped_functionINSC_23allocator_traits_detail5gozerEvEEEElLj1EEEvT0_T1_SJ_.kd
    .uniform_work_group_size: 1
    .uses_dynamic_stack: false
    .vgpr_count:     0
    .vgpr_spill_count: 0
    .wavefront_size: 32
    .workgroup_processor_mode: 1
  - .args:
      - .offset:         0
        .size:           24
        .value_kind:     by_value
      - .offset:         24
        .size:           8
        .value_kind:     by_value
      - .offset:         32
        .size:           8
        .value_kind:     by_value
    .group_segment_fixed_size: 0
    .kernarg_segment_align: 8
    .kernarg_segment_size: 40
    .language:       OpenCL C
    .language_version:
      - 2
      - 0
    .max_flat_workgroup_size: 256
    .name:           _ZN6thrust23THRUST_200600_302600_NS11hip_rocprim14__parallel_for6kernelILj256ENS1_11__transform17unary_transform_fINS0_7pointerINS0_5tupleIffNS0_9null_typeES8_S8_S8_S8_S8_S8_S8_EENS1_3tagENS0_11use_defaultESB_EENS0_10device_ptrIS9_EENS4_14no_stencil_tagENS0_8identityIS9_EENS4_21always_true_predicateEEElLj1EEEvT0_T1_SL_
    .private_segment_fixed_size: 0
    .sgpr_count:     14
    .sgpr_spill_count: 0
    .symbol:         _ZN6thrust23THRUST_200600_302600_NS11hip_rocprim14__parallel_for6kernelILj256ENS1_11__transform17unary_transform_fINS0_7pointerINS0_5tupleIffNS0_9null_typeES8_S8_S8_S8_S8_S8_S8_EENS1_3tagENS0_11use_defaultESB_EENS0_10device_ptrIS9_EENS4_14no_stencil_tagENS0_8identityIS9_EENS4_21always_true_predicateEEElLj1EEEvT0_T1_SL_.kd
    .uniform_work_group_size: 1
    .uses_dynamic_stack: false
    .vgpr_count:     5
    .vgpr_spill_count: 0
    .wavefront_size: 32
    .workgroup_processor_mode: 1
  - .args:
      - .offset:         0
        .size:           16
        .value_kind:     by_value
      - .offset:         16
        .size:           8
        .value_kind:     by_value
      - .offset:         24
        .size:           8
        .value_kind:     by_value
    .group_segment_fixed_size: 0
    .kernarg_segment_align: 8
    .kernarg_segment_size: 32
    .language:       OpenCL C
    .language_version:
      - 2
      - 0
    .max_flat_workgroup_size: 256
    .name:           _ZN6thrust23THRUST_200600_302600_NS11hip_rocprim14__parallel_for6kernelILj256ENS1_20__uninitialized_copy7functorINS0_7pointerINS0_5tupleIffNS0_9null_typeES8_S8_S8_S8_S8_S8_S8_EENS1_3tagENS0_11use_defaultESB_EESC_EEmLj1EEEvT0_T1_SF_
    .private_segment_fixed_size: 0
    .sgpr_count:     12
    .sgpr_spill_count: 0
    .symbol:         _ZN6thrust23THRUST_200600_302600_NS11hip_rocprim14__parallel_for6kernelILj256ENS1_20__uninitialized_copy7functorINS0_7pointerINS0_5tupleIffNS0_9null_typeES8_S8_S8_S8_S8_S8_S8_EENS1_3tagENS0_11use_defaultESB_EESC_EEmLj1EEEvT0_T1_SF_.kd
    .uniform_work_group_size: 1
    .uses_dynamic_stack: false
    .vgpr_count:     5
    .vgpr_spill_count: 0
    .wavefront_size: 32
    .workgroup_processor_mode: 1
  - .args:
      - .offset:         0
        .size:           16
        .value_kind:     by_value
      - .offset:         16
        .size:           8
        .value_kind:     by_value
      - .offset:         24
        .size:           8
        .value_kind:     by_value
    .group_segment_fixed_size: 0
    .kernarg_segment_align: 8
    .kernarg_segment_size: 32
    .language:       OpenCL C
    .language_version:
      - 2
      - 0
    .max_flat_workgroup_size: 256
    .name:           _ZN6thrust23THRUST_200600_302600_NS11hip_rocprim14__parallel_for6kernelILj256ENS1_10for_each_fINS0_10device_ptrINS0_5tupleIffNS0_9null_typeES7_S7_S7_S7_S7_S7_S7_EEEENS0_6detail16wrapped_functionINSA_23allocator_traits_detail5gozerEvEEEElLj1EEEvT0_T1_SH_
    .private_segment_fixed_size: 0
    .sgpr_count:     0
    .sgpr_spill_count: 0
    .symbol:         _ZN6thrust23THRUST_200600_302600_NS11hip_rocprim14__parallel_for6kernelILj256ENS1_10for_each_fINS0_10device_ptrINS0_5tupleIffNS0_9null_typeES7_S7_S7_S7_S7_S7_S7_EEEENS0_6detail16wrapped_functionINSA_23allocator_traits_detail5gozerEvEEEElLj1EEEvT0_T1_SH_.kd
    .uniform_work_group_size: 1
    .uses_dynamic_stack: false
    .vgpr_count:     0
    .vgpr_spill_count: 0
    .wavefront_size: 32
    .workgroup_processor_mode: 1
  - .args:
      - .offset:         0
        .size:           16
        .value_kind:     by_value
      - .offset:         16
        .size:           8
        .value_kind:     by_value
      - .offset:         24
        .size:           8
        .value_kind:     by_value
    .group_segment_fixed_size: 0
    .kernarg_segment_align: 8
    .kernarg_segment_size: 32
    .language:       OpenCL C
    .language_version:
      - 2
      - 0
    .max_flat_workgroup_size: 256
    .name:           _ZN6thrust23THRUST_200600_302600_NS11hip_rocprim14__parallel_for6kernelILj256ENS1_20__uninitialized_fill7functorINS0_10device_ptrIjEEjEEmLj1EEEvT0_T1_SA_
    .private_segment_fixed_size: 0
    .sgpr_count:     14
    .sgpr_spill_count: 0
    .symbol:         _ZN6thrust23THRUST_200600_302600_NS11hip_rocprim14__parallel_for6kernelILj256ENS1_20__uninitialized_fill7functorINS0_10device_ptrIjEEjEEmLj1EEEvT0_T1_SA_.kd
    .uniform_work_group_size: 1
    .uses_dynamic_stack: false
    .vgpr_count:     4
    .vgpr_spill_count: 0
    .wavefront_size: 32
    .workgroup_processor_mode: 1
  - .args:
      - .offset:         0
        .size:           32
        .value_kind:     by_value
      - .offset:         32
        .size:           8
        .value_kind:     by_value
      - .offset:         40
        .size:           8
        .value_kind:     by_value
    .group_segment_fixed_size: 0
    .kernarg_segment_align: 8
    .kernarg_segment_size: 48
    .language:       OpenCL C
    .language_version:
      - 2
      - 0
    .max_flat_workgroup_size: 256
    .name:           _ZN6thrust23THRUST_200600_302600_NS11hip_rocprim14__parallel_for6kernelILj256ENS1_11__transform17unary_transform_fINS0_6detail15normal_iteratorINS0_10device_ptrINS0_5tupleIffNS0_9null_typeESA_SA_SA_SA_SA_SA_SA_EEEEEENS7_INS8_IjEEEENS4_14no_stencil_tagE21point_to_bucket_indexNS4_21always_true_predicateEEElLj1EEEvT0_T1_SL_
    .private_segment_fixed_size: 0
    .sgpr_count:     14
    .sgpr_spill_count: 0
    .symbol:         _ZN6thrust23THRUST_200600_302600_NS11hip_rocprim14__parallel_for6kernelILj256ENS1_11__transform17unary_transform_fINS0_6detail15normal_iteratorINS0_10device_ptrINS0_5tupleIffNS0_9null_typeESA_SA_SA_SA_SA_SA_SA_EEEEEENS7_INS8_IjEEEENS4_14no_stencil_tagE21point_to_bucket_indexNS4_21always_true_predicateEEElLj1EEEvT0_T1_SL_.kd
    .uniform_work_group_size: 1
    .uses_dynamic_stack: false
    .vgpr_count:     5
    .vgpr_spill_count: 0
    .wavefront_size: 32
    .workgroup_processor_mode: 1
  - .args:
      - .offset:         0
        .size:           48
        .value_kind:     by_value
    .group_segment_fixed_size: 0
    .kernarg_segment_align: 8
    .kernarg_segment_size: 48
    .language:       OpenCL C
    .language_version:
      - 2
      - 0
    .max_flat_workgroup_size: 256
    .name:           _ZN7rocprim17ROCPRIM_400000_NS6detail17trampoline_kernelINS0_13kernel_configILj256ELj4ELj4294967295EEENS1_37radix_sort_block_sort_config_selectorIjN6thrust23THRUST_200600_302600_NS5tupleIffNS7_9null_typeES9_S9_S9_S9_S9_S9_S9_EEEEZNS1_21radix_sort_block_sortIS4_Lb0ENS7_6detail15normal_iteratorINS7_10device_ptrIjEEEESH_NSE_INSF_ISA_EEEESJ_NS0_19identity_decomposerEEE10hipError_tT1_T2_T3_T4_jRjT5_jjP12ihipStream_tbEUlT_E_NS1_11comp_targetILNS1_3genE0ELNS1_11target_archE4294967295ELNS1_3gpuE0ELNS1_3repE0EEENS1_44radix_sort_block_sort_config_static_selectorELNS0_4arch9wavefront6targetE0EEEvSM_
    .private_segment_fixed_size: 0
    .sgpr_count:     0
    .sgpr_spill_count: 0
    .symbol:         _ZN7rocprim17ROCPRIM_400000_NS6detail17trampoline_kernelINS0_13kernel_configILj256ELj4ELj4294967295EEENS1_37radix_sort_block_sort_config_selectorIjN6thrust23THRUST_200600_302600_NS5tupleIffNS7_9null_typeES9_S9_S9_S9_S9_S9_S9_EEEEZNS1_21radix_sort_block_sortIS4_Lb0ENS7_6detail15normal_iteratorINS7_10device_ptrIjEEEESH_NSE_INSF_ISA_EEEESJ_NS0_19identity_decomposerEEE10hipError_tT1_T2_T3_T4_jRjT5_jjP12ihipStream_tbEUlT_E_NS1_11comp_targetILNS1_3genE0ELNS1_11target_archE4294967295ELNS1_3gpuE0ELNS1_3repE0EEENS1_44radix_sort_block_sort_config_static_selectorELNS0_4arch9wavefront6targetE0EEEvSM_.kd
    .uniform_work_group_size: 1
    .uses_dynamic_stack: false
    .vgpr_count:     0
    .vgpr_spill_count: 0
    .wavefront_size: 32
    .workgroup_processor_mode: 1
  - .args:
      - .offset:         0
        .size:           48
        .value_kind:     by_value
    .group_segment_fixed_size: 0
    .kernarg_segment_align: 8
    .kernarg_segment_size: 48
    .language:       OpenCL C
    .language_version:
      - 2
      - 0
    .max_flat_workgroup_size: 256
    .name:           _ZN7rocprim17ROCPRIM_400000_NS6detail17trampoline_kernelINS0_13kernel_configILj256ELj4ELj4294967295EEENS1_37radix_sort_block_sort_config_selectorIjN6thrust23THRUST_200600_302600_NS5tupleIffNS7_9null_typeES9_S9_S9_S9_S9_S9_S9_EEEEZNS1_21radix_sort_block_sortIS4_Lb0ENS7_6detail15normal_iteratorINS7_10device_ptrIjEEEESH_NSE_INSF_ISA_EEEESJ_NS0_19identity_decomposerEEE10hipError_tT1_T2_T3_T4_jRjT5_jjP12ihipStream_tbEUlT_E_NS1_11comp_targetILNS1_3genE5ELNS1_11target_archE942ELNS1_3gpuE9ELNS1_3repE0EEENS1_44radix_sort_block_sort_config_static_selectorELNS0_4arch9wavefront6targetE0EEEvSM_
    .private_segment_fixed_size: 0
    .sgpr_count:     0
    .sgpr_spill_count: 0
    .symbol:         _ZN7rocprim17ROCPRIM_400000_NS6detail17trampoline_kernelINS0_13kernel_configILj256ELj4ELj4294967295EEENS1_37radix_sort_block_sort_config_selectorIjN6thrust23THRUST_200600_302600_NS5tupleIffNS7_9null_typeES9_S9_S9_S9_S9_S9_S9_EEEEZNS1_21radix_sort_block_sortIS4_Lb0ENS7_6detail15normal_iteratorINS7_10device_ptrIjEEEESH_NSE_INSF_ISA_EEEESJ_NS0_19identity_decomposerEEE10hipError_tT1_T2_T3_T4_jRjT5_jjP12ihipStream_tbEUlT_E_NS1_11comp_targetILNS1_3genE5ELNS1_11target_archE942ELNS1_3gpuE9ELNS1_3repE0EEENS1_44radix_sort_block_sort_config_static_selectorELNS0_4arch9wavefront6targetE0EEEvSM_.kd
    .uniform_work_group_size: 1
    .uses_dynamic_stack: false
    .vgpr_count:     0
    .vgpr_spill_count: 0
    .wavefront_size: 32
    .workgroup_processor_mode: 1
  - .args:
      - .offset:         0
        .size:           48
        .value_kind:     by_value
    .group_segment_fixed_size: 0
    .kernarg_segment_align: 8
    .kernarg_segment_size: 48
    .language:       OpenCL C
    .language_version:
      - 2
      - 0
    .max_flat_workgroup_size: 256
    .name:           _ZN7rocprim17ROCPRIM_400000_NS6detail17trampoline_kernelINS0_13kernel_configILj256ELj4ELj4294967295EEENS1_37radix_sort_block_sort_config_selectorIjN6thrust23THRUST_200600_302600_NS5tupleIffNS7_9null_typeES9_S9_S9_S9_S9_S9_S9_EEEEZNS1_21radix_sort_block_sortIS4_Lb0ENS7_6detail15normal_iteratorINS7_10device_ptrIjEEEESH_NSE_INSF_ISA_EEEESJ_NS0_19identity_decomposerEEE10hipError_tT1_T2_T3_T4_jRjT5_jjP12ihipStream_tbEUlT_E_NS1_11comp_targetILNS1_3genE4ELNS1_11target_archE910ELNS1_3gpuE8ELNS1_3repE0EEENS1_44radix_sort_block_sort_config_static_selectorELNS0_4arch9wavefront6targetE0EEEvSM_
    .private_segment_fixed_size: 0
    .sgpr_count:     0
    .sgpr_spill_count: 0
    .symbol:         _ZN7rocprim17ROCPRIM_400000_NS6detail17trampoline_kernelINS0_13kernel_configILj256ELj4ELj4294967295EEENS1_37radix_sort_block_sort_config_selectorIjN6thrust23THRUST_200600_302600_NS5tupleIffNS7_9null_typeES9_S9_S9_S9_S9_S9_S9_EEEEZNS1_21radix_sort_block_sortIS4_Lb0ENS7_6detail15normal_iteratorINS7_10device_ptrIjEEEESH_NSE_INSF_ISA_EEEESJ_NS0_19identity_decomposerEEE10hipError_tT1_T2_T3_T4_jRjT5_jjP12ihipStream_tbEUlT_E_NS1_11comp_targetILNS1_3genE4ELNS1_11target_archE910ELNS1_3gpuE8ELNS1_3repE0EEENS1_44radix_sort_block_sort_config_static_selectorELNS0_4arch9wavefront6targetE0EEEvSM_.kd
    .uniform_work_group_size: 1
    .uses_dynamic_stack: false
    .vgpr_count:     0
    .vgpr_spill_count: 0
    .wavefront_size: 32
    .workgroup_processor_mode: 1
  - .args:
      - .offset:         0
        .size:           48
        .value_kind:     by_value
    .group_segment_fixed_size: 0
    .kernarg_segment_align: 8
    .kernarg_segment_size: 48
    .language:       OpenCL C
    .language_version:
      - 2
      - 0
    .max_flat_workgroup_size: 256
    .name:           _ZN7rocprim17ROCPRIM_400000_NS6detail17trampoline_kernelINS0_13kernel_configILj256ELj4ELj4294967295EEENS1_37radix_sort_block_sort_config_selectorIjN6thrust23THRUST_200600_302600_NS5tupleIffNS7_9null_typeES9_S9_S9_S9_S9_S9_S9_EEEEZNS1_21radix_sort_block_sortIS4_Lb0ENS7_6detail15normal_iteratorINS7_10device_ptrIjEEEESH_NSE_INSF_ISA_EEEESJ_NS0_19identity_decomposerEEE10hipError_tT1_T2_T3_T4_jRjT5_jjP12ihipStream_tbEUlT_E_NS1_11comp_targetILNS1_3genE3ELNS1_11target_archE908ELNS1_3gpuE7ELNS1_3repE0EEENS1_44radix_sort_block_sort_config_static_selectorELNS0_4arch9wavefront6targetE0EEEvSM_
    .private_segment_fixed_size: 0
    .sgpr_count:     0
    .sgpr_spill_count: 0
    .symbol:         _ZN7rocprim17ROCPRIM_400000_NS6detail17trampoline_kernelINS0_13kernel_configILj256ELj4ELj4294967295EEENS1_37radix_sort_block_sort_config_selectorIjN6thrust23THRUST_200600_302600_NS5tupleIffNS7_9null_typeES9_S9_S9_S9_S9_S9_S9_EEEEZNS1_21radix_sort_block_sortIS4_Lb0ENS7_6detail15normal_iteratorINS7_10device_ptrIjEEEESH_NSE_INSF_ISA_EEEESJ_NS0_19identity_decomposerEEE10hipError_tT1_T2_T3_T4_jRjT5_jjP12ihipStream_tbEUlT_E_NS1_11comp_targetILNS1_3genE3ELNS1_11target_archE908ELNS1_3gpuE7ELNS1_3repE0EEENS1_44radix_sort_block_sort_config_static_selectorELNS0_4arch9wavefront6targetE0EEEvSM_.kd
    .uniform_work_group_size: 1
    .uses_dynamic_stack: false
    .vgpr_count:     0
    .vgpr_spill_count: 0
    .wavefront_size: 32
    .workgroup_processor_mode: 1
  - .args:
      - .offset:         0
        .size:           48
        .value_kind:     by_value
    .group_segment_fixed_size: 0
    .kernarg_segment_align: 8
    .kernarg_segment_size: 48
    .language:       OpenCL C
    .language_version:
      - 2
      - 0
    .max_flat_workgroup_size: 256
    .name:           _ZN7rocprim17ROCPRIM_400000_NS6detail17trampoline_kernelINS0_13kernel_configILj256ELj4ELj4294967295EEENS1_37radix_sort_block_sort_config_selectorIjN6thrust23THRUST_200600_302600_NS5tupleIffNS7_9null_typeES9_S9_S9_S9_S9_S9_S9_EEEEZNS1_21radix_sort_block_sortIS4_Lb0ENS7_6detail15normal_iteratorINS7_10device_ptrIjEEEESH_NSE_INSF_ISA_EEEESJ_NS0_19identity_decomposerEEE10hipError_tT1_T2_T3_T4_jRjT5_jjP12ihipStream_tbEUlT_E_NS1_11comp_targetILNS1_3genE2ELNS1_11target_archE906ELNS1_3gpuE6ELNS1_3repE0EEENS1_44radix_sort_block_sort_config_static_selectorELNS0_4arch9wavefront6targetE0EEEvSM_
    .private_segment_fixed_size: 0
    .sgpr_count:     0
    .sgpr_spill_count: 0
    .symbol:         _ZN7rocprim17ROCPRIM_400000_NS6detail17trampoline_kernelINS0_13kernel_configILj256ELj4ELj4294967295EEENS1_37radix_sort_block_sort_config_selectorIjN6thrust23THRUST_200600_302600_NS5tupleIffNS7_9null_typeES9_S9_S9_S9_S9_S9_S9_EEEEZNS1_21radix_sort_block_sortIS4_Lb0ENS7_6detail15normal_iteratorINS7_10device_ptrIjEEEESH_NSE_INSF_ISA_EEEESJ_NS0_19identity_decomposerEEE10hipError_tT1_T2_T3_T4_jRjT5_jjP12ihipStream_tbEUlT_E_NS1_11comp_targetILNS1_3genE2ELNS1_11target_archE906ELNS1_3gpuE6ELNS1_3repE0EEENS1_44radix_sort_block_sort_config_static_selectorELNS0_4arch9wavefront6targetE0EEEvSM_.kd
    .uniform_work_group_size: 1
    .uses_dynamic_stack: false
    .vgpr_count:     0
    .vgpr_spill_count: 0
    .wavefront_size: 32
    .workgroup_processor_mode: 1
  - .args:
      - .offset:         0
        .size:           48
        .value_kind:     by_value
      - .offset:         48
        .size:           4
        .value_kind:     hidden_block_count_x
      - .offset:         52
        .size:           4
        .value_kind:     hidden_block_count_y
      - .offset:         56
        .size:           4
        .value_kind:     hidden_block_count_z
      - .offset:         60
        .size:           2
        .value_kind:     hidden_group_size_x
      - .offset:         62
        .size:           2
        .value_kind:     hidden_group_size_y
      - .offset:         64
        .size:           2
        .value_kind:     hidden_group_size_z
      - .offset:         66
        .size:           2
        .value_kind:     hidden_remainder_x
      - .offset:         68
        .size:           2
        .value_kind:     hidden_remainder_y
      - .offset:         70
        .size:           2
        .value_kind:     hidden_remainder_z
      - .offset:         88
        .size:           8
        .value_kind:     hidden_global_offset_x
      - .offset:         96
        .size:           8
        .value_kind:     hidden_global_offset_y
      - .offset:         104
        .size:           8
        .value_kind:     hidden_global_offset_z
      - .offset:         112
        .size:           2
        .value_kind:     hidden_grid_dims
    .group_segment_fixed_size: 8224
    .kernarg_segment_align: 8
    .kernarg_segment_size: 304
    .language:       OpenCL C
    .language_version:
      - 2
      - 0
    .max_flat_workgroup_size: 256
    .name:           _ZN7rocprim17ROCPRIM_400000_NS6detail17trampoline_kernelINS0_13kernel_configILj256ELj4ELj4294967295EEENS1_37radix_sort_block_sort_config_selectorIjN6thrust23THRUST_200600_302600_NS5tupleIffNS7_9null_typeES9_S9_S9_S9_S9_S9_S9_EEEEZNS1_21radix_sort_block_sortIS4_Lb0ENS7_6detail15normal_iteratorINS7_10device_ptrIjEEEESH_NSE_INSF_ISA_EEEESJ_NS0_19identity_decomposerEEE10hipError_tT1_T2_T3_T4_jRjT5_jjP12ihipStream_tbEUlT_E_NS1_11comp_targetILNS1_3genE10ELNS1_11target_archE1201ELNS1_3gpuE5ELNS1_3repE0EEENS1_44radix_sort_block_sort_config_static_selectorELNS0_4arch9wavefront6targetE0EEEvSM_
    .private_segment_fixed_size: 0
    .sgpr_count:     34
    .sgpr_spill_count: 0
    .symbol:         _ZN7rocprim17ROCPRIM_400000_NS6detail17trampoline_kernelINS0_13kernel_configILj256ELj4ELj4294967295EEENS1_37radix_sort_block_sort_config_selectorIjN6thrust23THRUST_200600_302600_NS5tupleIffNS7_9null_typeES9_S9_S9_S9_S9_S9_S9_EEEEZNS1_21radix_sort_block_sortIS4_Lb0ENS7_6detail15normal_iteratorINS7_10device_ptrIjEEEESH_NSE_INSF_ISA_EEEESJ_NS0_19identity_decomposerEEE10hipError_tT1_T2_T3_T4_jRjT5_jjP12ihipStream_tbEUlT_E_NS1_11comp_targetILNS1_3genE10ELNS1_11target_archE1201ELNS1_3gpuE5ELNS1_3repE0EEENS1_44radix_sort_block_sort_config_static_selectorELNS0_4arch9wavefront6targetE0EEEvSM_.kd
    .uniform_work_group_size: 1
    .uses_dynamic_stack: false
    .vgpr_count:     48
    .vgpr_spill_count: 0
    .wavefront_size: 32
    .workgroup_processor_mode: 1
  - .args:
      - .offset:         0
        .size:           48
        .value_kind:     by_value
    .group_segment_fixed_size: 0
    .kernarg_segment_align: 8
    .kernarg_segment_size: 48
    .language:       OpenCL C
    .language_version:
      - 2
      - 0
    .max_flat_workgroup_size: 256
    .name:           _ZN7rocprim17ROCPRIM_400000_NS6detail17trampoline_kernelINS0_13kernel_configILj256ELj4ELj4294967295EEENS1_37radix_sort_block_sort_config_selectorIjN6thrust23THRUST_200600_302600_NS5tupleIffNS7_9null_typeES9_S9_S9_S9_S9_S9_S9_EEEEZNS1_21radix_sort_block_sortIS4_Lb0ENS7_6detail15normal_iteratorINS7_10device_ptrIjEEEESH_NSE_INSF_ISA_EEEESJ_NS0_19identity_decomposerEEE10hipError_tT1_T2_T3_T4_jRjT5_jjP12ihipStream_tbEUlT_E_NS1_11comp_targetILNS1_3genE10ELNS1_11target_archE1200ELNS1_3gpuE4ELNS1_3repE0EEENS1_44radix_sort_block_sort_config_static_selectorELNS0_4arch9wavefront6targetE0EEEvSM_
    .private_segment_fixed_size: 0
    .sgpr_count:     0
    .sgpr_spill_count: 0
    .symbol:         _ZN7rocprim17ROCPRIM_400000_NS6detail17trampoline_kernelINS0_13kernel_configILj256ELj4ELj4294967295EEENS1_37radix_sort_block_sort_config_selectorIjN6thrust23THRUST_200600_302600_NS5tupleIffNS7_9null_typeES9_S9_S9_S9_S9_S9_S9_EEEEZNS1_21radix_sort_block_sortIS4_Lb0ENS7_6detail15normal_iteratorINS7_10device_ptrIjEEEESH_NSE_INSF_ISA_EEEESJ_NS0_19identity_decomposerEEE10hipError_tT1_T2_T3_T4_jRjT5_jjP12ihipStream_tbEUlT_E_NS1_11comp_targetILNS1_3genE10ELNS1_11target_archE1200ELNS1_3gpuE4ELNS1_3repE0EEENS1_44radix_sort_block_sort_config_static_selectorELNS0_4arch9wavefront6targetE0EEEvSM_.kd
    .uniform_work_group_size: 1
    .uses_dynamic_stack: false
    .vgpr_count:     0
    .vgpr_spill_count: 0
    .wavefront_size: 32
    .workgroup_processor_mode: 1
  - .args:
      - .offset:         0
        .size:           48
        .value_kind:     by_value
    .group_segment_fixed_size: 0
    .kernarg_segment_align: 8
    .kernarg_segment_size: 48
    .language:       OpenCL C
    .language_version:
      - 2
      - 0
    .max_flat_workgroup_size: 256
    .name:           _ZN7rocprim17ROCPRIM_400000_NS6detail17trampoline_kernelINS0_13kernel_configILj256ELj4ELj4294967295EEENS1_37radix_sort_block_sort_config_selectorIjN6thrust23THRUST_200600_302600_NS5tupleIffNS7_9null_typeES9_S9_S9_S9_S9_S9_S9_EEEEZNS1_21radix_sort_block_sortIS4_Lb0ENS7_6detail15normal_iteratorINS7_10device_ptrIjEEEESH_NSE_INSF_ISA_EEEESJ_NS0_19identity_decomposerEEE10hipError_tT1_T2_T3_T4_jRjT5_jjP12ihipStream_tbEUlT_E_NS1_11comp_targetILNS1_3genE9ELNS1_11target_archE1100ELNS1_3gpuE3ELNS1_3repE0EEENS1_44radix_sort_block_sort_config_static_selectorELNS0_4arch9wavefront6targetE0EEEvSM_
    .private_segment_fixed_size: 0
    .sgpr_count:     0
    .sgpr_spill_count: 0
    .symbol:         _ZN7rocprim17ROCPRIM_400000_NS6detail17trampoline_kernelINS0_13kernel_configILj256ELj4ELj4294967295EEENS1_37radix_sort_block_sort_config_selectorIjN6thrust23THRUST_200600_302600_NS5tupleIffNS7_9null_typeES9_S9_S9_S9_S9_S9_S9_EEEEZNS1_21radix_sort_block_sortIS4_Lb0ENS7_6detail15normal_iteratorINS7_10device_ptrIjEEEESH_NSE_INSF_ISA_EEEESJ_NS0_19identity_decomposerEEE10hipError_tT1_T2_T3_T4_jRjT5_jjP12ihipStream_tbEUlT_E_NS1_11comp_targetILNS1_3genE9ELNS1_11target_archE1100ELNS1_3gpuE3ELNS1_3repE0EEENS1_44radix_sort_block_sort_config_static_selectorELNS0_4arch9wavefront6targetE0EEEvSM_.kd
    .uniform_work_group_size: 1
    .uses_dynamic_stack: false
    .vgpr_count:     0
    .vgpr_spill_count: 0
    .wavefront_size: 32
    .workgroup_processor_mode: 1
  - .args:
      - .offset:         0
        .size:           48
        .value_kind:     by_value
    .group_segment_fixed_size: 0
    .kernarg_segment_align: 8
    .kernarg_segment_size: 48
    .language:       OpenCL C
    .language_version:
      - 2
      - 0
    .max_flat_workgroup_size: 256
    .name:           _ZN7rocprim17ROCPRIM_400000_NS6detail17trampoline_kernelINS0_13kernel_configILj256ELj4ELj4294967295EEENS1_37radix_sort_block_sort_config_selectorIjN6thrust23THRUST_200600_302600_NS5tupleIffNS7_9null_typeES9_S9_S9_S9_S9_S9_S9_EEEEZNS1_21radix_sort_block_sortIS4_Lb0ENS7_6detail15normal_iteratorINS7_10device_ptrIjEEEESH_NSE_INSF_ISA_EEEESJ_NS0_19identity_decomposerEEE10hipError_tT1_T2_T3_T4_jRjT5_jjP12ihipStream_tbEUlT_E_NS1_11comp_targetILNS1_3genE8ELNS1_11target_archE1030ELNS1_3gpuE2ELNS1_3repE0EEENS1_44radix_sort_block_sort_config_static_selectorELNS0_4arch9wavefront6targetE0EEEvSM_
    .private_segment_fixed_size: 0
    .sgpr_count:     0
    .sgpr_spill_count: 0
    .symbol:         _ZN7rocprim17ROCPRIM_400000_NS6detail17trampoline_kernelINS0_13kernel_configILj256ELj4ELj4294967295EEENS1_37radix_sort_block_sort_config_selectorIjN6thrust23THRUST_200600_302600_NS5tupleIffNS7_9null_typeES9_S9_S9_S9_S9_S9_S9_EEEEZNS1_21radix_sort_block_sortIS4_Lb0ENS7_6detail15normal_iteratorINS7_10device_ptrIjEEEESH_NSE_INSF_ISA_EEEESJ_NS0_19identity_decomposerEEE10hipError_tT1_T2_T3_T4_jRjT5_jjP12ihipStream_tbEUlT_E_NS1_11comp_targetILNS1_3genE8ELNS1_11target_archE1030ELNS1_3gpuE2ELNS1_3repE0EEENS1_44radix_sort_block_sort_config_static_selectorELNS0_4arch9wavefront6targetE0EEEvSM_.kd
    .uniform_work_group_size: 1
    .uses_dynamic_stack: false
    .vgpr_count:     0
    .vgpr_spill_count: 0
    .wavefront_size: 32
    .workgroup_processor_mode: 1
  - .args:           []
    .group_segment_fixed_size: 0
    .kernarg_segment_align: 4
    .kernarg_segment_size: 0
    .language:       OpenCL C
    .language_version:
      - 2
      - 0
    .max_flat_workgroup_size: 1024
    .name:           _ZN7rocprim17ROCPRIM_400000_NS6detail44device_merge_sort_compile_time_verifier_archINS1_11comp_targetILNS1_3genE0ELNS1_11target_archE4294967295ELNS1_3gpuE0ELNS1_3repE0EEES8_NS1_28merge_sort_block_sort_configILj256ELj4ELNS0_20block_sort_algorithmE0EEENS0_14default_configENS1_37merge_sort_block_sort_config_selectorIjN6thrust23THRUST_200600_302600_NS5tupleIffNSF_9null_typeESH_SH_SH_SH_SH_SH_SH_EEEENS1_38merge_sort_block_merge_config_selectorIjSI_EEEEvv
    .private_segment_fixed_size: 0
    .sgpr_count:     0
    .sgpr_spill_count: 0
    .symbol:         _ZN7rocprim17ROCPRIM_400000_NS6detail44device_merge_sort_compile_time_verifier_archINS1_11comp_targetILNS1_3genE0ELNS1_11target_archE4294967295ELNS1_3gpuE0ELNS1_3repE0EEES8_NS1_28merge_sort_block_sort_configILj256ELj4ELNS0_20block_sort_algorithmE0EEENS0_14default_configENS1_37merge_sort_block_sort_config_selectorIjN6thrust23THRUST_200600_302600_NS5tupleIffNSF_9null_typeESH_SH_SH_SH_SH_SH_SH_EEEENS1_38merge_sort_block_merge_config_selectorIjSI_EEEEvv.kd
    .uniform_work_group_size: 1
    .uses_dynamic_stack: false
    .vgpr_count:     0
    .vgpr_spill_count: 0
    .wavefront_size: 32
    .workgroup_processor_mode: 1
  - .args:           []
    .group_segment_fixed_size: 0
    .kernarg_segment_align: 4
    .kernarg_segment_size: 0
    .language:       OpenCL C
    .language_version:
      - 2
      - 0
    .max_flat_workgroup_size: 1024
    .name:           _ZN7rocprim17ROCPRIM_400000_NS6detail44device_merge_sort_compile_time_verifier_archINS1_11comp_targetILNS1_3genE5ELNS1_11target_archE942ELNS1_3gpuE9ELNS1_3repE0EEES8_NS1_28merge_sort_block_sort_configILj256ELj4ELNS0_20block_sort_algorithmE0EEENS0_14default_configENS1_37merge_sort_block_sort_config_selectorIjN6thrust23THRUST_200600_302600_NS5tupleIffNSF_9null_typeESH_SH_SH_SH_SH_SH_SH_EEEENS1_38merge_sort_block_merge_config_selectorIjSI_EEEEvv
    .private_segment_fixed_size: 0
    .sgpr_count:     0
    .sgpr_spill_count: 0
    .symbol:         _ZN7rocprim17ROCPRIM_400000_NS6detail44device_merge_sort_compile_time_verifier_archINS1_11comp_targetILNS1_3genE5ELNS1_11target_archE942ELNS1_3gpuE9ELNS1_3repE0EEES8_NS1_28merge_sort_block_sort_configILj256ELj4ELNS0_20block_sort_algorithmE0EEENS0_14default_configENS1_37merge_sort_block_sort_config_selectorIjN6thrust23THRUST_200600_302600_NS5tupleIffNSF_9null_typeESH_SH_SH_SH_SH_SH_SH_EEEENS1_38merge_sort_block_merge_config_selectorIjSI_EEEEvv.kd
    .uniform_work_group_size: 1
    .uses_dynamic_stack: false
    .vgpr_count:     0
    .vgpr_spill_count: 0
    .wavefront_size: 32
    .workgroup_processor_mode: 1
  - .args:           []
    .group_segment_fixed_size: 0
    .kernarg_segment_align: 4
    .kernarg_segment_size: 0
    .language:       OpenCL C
    .language_version:
      - 2
      - 0
    .max_flat_workgroup_size: 1024
    .name:           _ZN7rocprim17ROCPRIM_400000_NS6detail44device_merge_sort_compile_time_verifier_archINS1_11comp_targetILNS1_3genE4ELNS1_11target_archE910ELNS1_3gpuE8ELNS1_3repE0EEES8_NS1_28merge_sort_block_sort_configILj256ELj4ELNS0_20block_sort_algorithmE0EEENS0_14default_configENS1_37merge_sort_block_sort_config_selectorIjN6thrust23THRUST_200600_302600_NS5tupleIffNSF_9null_typeESH_SH_SH_SH_SH_SH_SH_EEEENS1_38merge_sort_block_merge_config_selectorIjSI_EEEEvv
    .private_segment_fixed_size: 0
    .sgpr_count:     0
    .sgpr_spill_count: 0
    .symbol:         _ZN7rocprim17ROCPRIM_400000_NS6detail44device_merge_sort_compile_time_verifier_archINS1_11comp_targetILNS1_3genE4ELNS1_11target_archE910ELNS1_3gpuE8ELNS1_3repE0EEES8_NS1_28merge_sort_block_sort_configILj256ELj4ELNS0_20block_sort_algorithmE0EEENS0_14default_configENS1_37merge_sort_block_sort_config_selectorIjN6thrust23THRUST_200600_302600_NS5tupleIffNSF_9null_typeESH_SH_SH_SH_SH_SH_SH_EEEENS1_38merge_sort_block_merge_config_selectorIjSI_EEEEvv.kd
    .uniform_work_group_size: 1
    .uses_dynamic_stack: false
    .vgpr_count:     0
    .vgpr_spill_count: 0
    .wavefront_size: 32
    .workgroup_processor_mode: 1
  - .args:           []
    .group_segment_fixed_size: 0
    .kernarg_segment_align: 4
    .kernarg_segment_size: 0
    .language:       OpenCL C
    .language_version:
      - 2
      - 0
    .max_flat_workgroup_size: 1024
    .name:           _ZN7rocprim17ROCPRIM_400000_NS6detail44device_merge_sort_compile_time_verifier_archINS1_11comp_targetILNS1_3genE3ELNS1_11target_archE908ELNS1_3gpuE7ELNS1_3repE0EEES8_NS1_28merge_sort_block_sort_configILj256ELj4ELNS0_20block_sort_algorithmE0EEENS0_14default_configENS1_37merge_sort_block_sort_config_selectorIjN6thrust23THRUST_200600_302600_NS5tupleIffNSF_9null_typeESH_SH_SH_SH_SH_SH_SH_EEEENS1_38merge_sort_block_merge_config_selectorIjSI_EEEEvv
    .private_segment_fixed_size: 0
    .sgpr_count:     0
    .sgpr_spill_count: 0
    .symbol:         _ZN7rocprim17ROCPRIM_400000_NS6detail44device_merge_sort_compile_time_verifier_archINS1_11comp_targetILNS1_3genE3ELNS1_11target_archE908ELNS1_3gpuE7ELNS1_3repE0EEES8_NS1_28merge_sort_block_sort_configILj256ELj4ELNS0_20block_sort_algorithmE0EEENS0_14default_configENS1_37merge_sort_block_sort_config_selectorIjN6thrust23THRUST_200600_302600_NS5tupleIffNSF_9null_typeESH_SH_SH_SH_SH_SH_SH_EEEENS1_38merge_sort_block_merge_config_selectorIjSI_EEEEvv.kd
    .uniform_work_group_size: 1
    .uses_dynamic_stack: false
    .vgpr_count:     0
    .vgpr_spill_count: 0
    .wavefront_size: 32
    .workgroup_processor_mode: 1
  - .args:           []
    .group_segment_fixed_size: 0
    .kernarg_segment_align: 4
    .kernarg_segment_size: 0
    .language:       OpenCL C
    .language_version:
      - 2
      - 0
    .max_flat_workgroup_size: 1024
    .name:           _ZN7rocprim17ROCPRIM_400000_NS6detail44device_merge_sort_compile_time_verifier_archINS1_11comp_targetILNS1_3genE2ELNS1_11target_archE906ELNS1_3gpuE6ELNS1_3repE0EEES8_NS1_28merge_sort_block_sort_configILj256ELj4ELNS0_20block_sort_algorithmE0EEENS0_14default_configENS1_37merge_sort_block_sort_config_selectorIjN6thrust23THRUST_200600_302600_NS5tupleIffNSF_9null_typeESH_SH_SH_SH_SH_SH_SH_EEEENS1_38merge_sort_block_merge_config_selectorIjSI_EEEEvv
    .private_segment_fixed_size: 0
    .sgpr_count:     0
    .sgpr_spill_count: 0
    .symbol:         _ZN7rocprim17ROCPRIM_400000_NS6detail44device_merge_sort_compile_time_verifier_archINS1_11comp_targetILNS1_3genE2ELNS1_11target_archE906ELNS1_3gpuE6ELNS1_3repE0EEES8_NS1_28merge_sort_block_sort_configILj256ELj4ELNS0_20block_sort_algorithmE0EEENS0_14default_configENS1_37merge_sort_block_sort_config_selectorIjN6thrust23THRUST_200600_302600_NS5tupleIffNSF_9null_typeESH_SH_SH_SH_SH_SH_SH_EEEENS1_38merge_sort_block_merge_config_selectorIjSI_EEEEvv.kd
    .uniform_work_group_size: 1
    .uses_dynamic_stack: false
    .vgpr_count:     0
    .vgpr_spill_count: 0
    .wavefront_size: 32
    .workgroup_processor_mode: 1
  - .args:           []
    .group_segment_fixed_size: 0
    .kernarg_segment_align: 4
    .kernarg_segment_size: 0
    .language:       OpenCL C
    .language_version:
      - 2
      - 0
    .max_flat_workgroup_size: 1024
    .name:           _ZN7rocprim17ROCPRIM_400000_NS6detail44device_merge_sort_compile_time_verifier_archINS1_11comp_targetILNS1_3genE10ELNS1_11target_archE1201ELNS1_3gpuE5ELNS1_3repE0EEES8_NS1_28merge_sort_block_sort_configILj256ELj4ELNS0_20block_sort_algorithmE0EEENS0_14default_configENS1_37merge_sort_block_sort_config_selectorIjN6thrust23THRUST_200600_302600_NS5tupleIffNSF_9null_typeESH_SH_SH_SH_SH_SH_SH_EEEENS1_38merge_sort_block_merge_config_selectorIjSI_EEEEvv
    .private_segment_fixed_size: 0
    .sgpr_count:     0
    .sgpr_spill_count: 0
    .symbol:         _ZN7rocprim17ROCPRIM_400000_NS6detail44device_merge_sort_compile_time_verifier_archINS1_11comp_targetILNS1_3genE10ELNS1_11target_archE1201ELNS1_3gpuE5ELNS1_3repE0EEES8_NS1_28merge_sort_block_sort_configILj256ELj4ELNS0_20block_sort_algorithmE0EEENS0_14default_configENS1_37merge_sort_block_sort_config_selectorIjN6thrust23THRUST_200600_302600_NS5tupleIffNSF_9null_typeESH_SH_SH_SH_SH_SH_SH_EEEENS1_38merge_sort_block_merge_config_selectorIjSI_EEEEvv.kd
    .uniform_work_group_size: 1
    .uses_dynamic_stack: false
    .vgpr_count:     0
    .vgpr_spill_count: 0
    .wavefront_size: 32
    .workgroup_processor_mode: 1
  - .args:           []
    .group_segment_fixed_size: 0
    .kernarg_segment_align: 4
    .kernarg_segment_size: 0
    .language:       OpenCL C
    .language_version:
      - 2
      - 0
    .max_flat_workgroup_size: 1024
    .name:           _ZN7rocprim17ROCPRIM_400000_NS6detail44device_merge_sort_compile_time_verifier_archINS1_11comp_targetILNS1_3genE10ELNS1_11target_archE1200ELNS1_3gpuE4ELNS1_3repE0EEENS3_ILS4_10ELS5_1201ELS6_5ELS7_0EEENS1_28merge_sort_block_sort_configILj256ELj4ELNS0_20block_sort_algorithmE0EEENS0_14default_configENS1_37merge_sort_block_sort_config_selectorIjN6thrust23THRUST_200600_302600_NS5tupleIffNSG_9null_typeESI_SI_SI_SI_SI_SI_SI_EEEENS1_38merge_sort_block_merge_config_selectorIjSJ_EEEEvv
    .private_segment_fixed_size: 0
    .sgpr_count:     0
    .sgpr_spill_count: 0
    .symbol:         _ZN7rocprim17ROCPRIM_400000_NS6detail44device_merge_sort_compile_time_verifier_archINS1_11comp_targetILNS1_3genE10ELNS1_11target_archE1200ELNS1_3gpuE4ELNS1_3repE0EEENS3_ILS4_10ELS5_1201ELS6_5ELS7_0EEENS1_28merge_sort_block_sort_configILj256ELj4ELNS0_20block_sort_algorithmE0EEENS0_14default_configENS1_37merge_sort_block_sort_config_selectorIjN6thrust23THRUST_200600_302600_NS5tupleIffNSG_9null_typeESI_SI_SI_SI_SI_SI_SI_EEEENS1_38merge_sort_block_merge_config_selectorIjSJ_EEEEvv.kd
    .uniform_work_group_size: 1
    .uses_dynamic_stack: false
    .vgpr_count:     0
    .vgpr_spill_count: 0
    .wavefront_size: 32
    .workgroup_processor_mode: 1
  - .args:           []
    .group_segment_fixed_size: 0
    .kernarg_segment_align: 4
    .kernarg_segment_size: 0
    .language:       OpenCL C
    .language_version:
      - 2
      - 0
    .max_flat_workgroup_size: 1024
    .name:           _ZN7rocprim17ROCPRIM_400000_NS6detail44device_merge_sort_compile_time_verifier_archINS1_11comp_targetILNS1_3genE9ELNS1_11target_archE1100ELNS1_3gpuE3ELNS1_3repE0EEES8_NS1_28merge_sort_block_sort_configILj256ELj4ELNS0_20block_sort_algorithmE0EEENS0_14default_configENS1_37merge_sort_block_sort_config_selectorIjN6thrust23THRUST_200600_302600_NS5tupleIffNSF_9null_typeESH_SH_SH_SH_SH_SH_SH_EEEENS1_38merge_sort_block_merge_config_selectorIjSI_EEEEvv
    .private_segment_fixed_size: 0
    .sgpr_count:     0
    .sgpr_spill_count: 0
    .symbol:         _ZN7rocprim17ROCPRIM_400000_NS6detail44device_merge_sort_compile_time_verifier_archINS1_11comp_targetILNS1_3genE9ELNS1_11target_archE1100ELNS1_3gpuE3ELNS1_3repE0EEES8_NS1_28merge_sort_block_sort_configILj256ELj4ELNS0_20block_sort_algorithmE0EEENS0_14default_configENS1_37merge_sort_block_sort_config_selectorIjN6thrust23THRUST_200600_302600_NS5tupleIffNSF_9null_typeESH_SH_SH_SH_SH_SH_SH_EEEENS1_38merge_sort_block_merge_config_selectorIjSI_EEEEvv.kd
    .uniform_work_group_size: 1
    .uses_dynamic_stack: false
    .vgpr_count:     0
    .vgpr_spill_count: 0
    .wavefront_size: 32
    .workgroup_processor_mode: 1
  - .args:           []
    .group_segment_fixed_size: 0
    .kernarg_segment_align: 4
    .kernarg_segment_size: 0
    .language:       OpenCL C
    .language_version:
      - 2
      - 0
    .max_flat_workgroup_size: 1024
    .name:           _ZN7rocprim17ROCPRIM_400000_NS6detail44device_merge_sort_compile_time_verifier_archINS1_11comp_targetILNS1_3genE8ELNS1_11target_archE1030ELNS1_3gpuE2ELNS1_3repE0EEES8_NS1_28merge_sort_block_sort_configILj256ELj4ELNS0_20block_sort_algorithmE0EEENS0_14default_configENS1_37merge_sort_block_sort_config_selectorIjN6thrust23THRUST_200600_302600_NS5tupleIffNSF_9null_typeESH_SH_SH_SH_SH_SH_SH_EEEENS1_38merge_sort_block_merge_config_selectorIjSI_EEEEvv
    .private_segment_fixed_size: 0
    .sgpr_count:     0
    .sgpr_spill_count: 0
    .symbol:         _ZN7rocprim17ROCPRIM_400000_NS6detail44device_merge_sort_compile_time_verifier_archINS1_11comp_targetILNS1_3genE8ELNS1_11target_archE1030ELNS1_3gpuE2ELNS1_3repE0EEES8_NS1_28merge_sort_block_sort_configILj256ELj4ELNS0_20block_sort_algorithmE0EEENS0_14default_configENS1_37merge_sort_block_sort_config_selectorIjN6thrust23THRUST_200600_302600_NS5tupleIffNSF_9null_typeESH_SH_SH_SH_SH_SH_SH_EEEENS1_38merge_sort_block_merge_config_selectorIjSI_EEEEvv.kd
    .uniform_work_group_size: 1
    .uses_dynamic_stack: false
    .vgpr_count:     0
    .vgpr_spill_count: 0
    .wavefront_size: 32
    .workgroup_processor_mode: 1
  - .args:
      - .offset:         0
        .size:           40
        .value_kind:     by_value
    .group_segment_fixed_size: 0
    .kernarg_segment_align: 8
    .kernarg_segment_size: 40
    .language:       OpenCL C
    .language_version:
      - 2
      - 0
    .max_flat_workgroup_size: 128
    .name:           _ZN7rocprim17ROCPRIM_400000_NS6detail17trampoline_kernelINS0_14default_configENS1_38merge_sort_block_merge_config_selectorIjN6thrust23THRUST_200600_302600_NS5tupleIffNS6_9null_typeES8_S8_S8_S8_S8_S8_S8_EEEEZZNS1_27merge_sort_block_merge_implIS3_NS6_6detail15normal_iteratorINS6_10device_ptrIjEEEENSD_INSE_IS9_EEEEjNS1_19radix_merge_compareILb0ELb0EjNS0_19identity_decomposerEEEEE10hipError_tT0_T1_T2_jT3_P12ihipStream_tbPNSt15iterator_traitsISN_E10value_typeEPNST_ISO_E10value_typeEPSP_NS1_7vsmem_tEENKUlT_SN_SO_SP_E_clIPjSG_PS9_SI_EESM_S12_SN_SO_SP_EUlS12_E_NS1_11comp_targetILNS1_3genE0ELNS1_11target_archE4294967295ELNS1_3gpuE0ELNS1_3repE0EEENS1_48merge_mergepath_partition_config_static_selectorELNS0_4arch9wavefront6targetE0EEEvSO_
    .private_segment_fixed_size: 0
    .sgpr_count:     0
    .sgpr_spill_count: 0
    .symbol:         _ZN7rocprim17ROCPRIM_400000_NS6detail17trampoline_kernelINS0_14default_configENS1_38merge_sort_block_merge_config_selectorIjN6thrust23THRUST_200600_302600_NS5tupleIffNS6_9null_typeES8_S8_S8_S8_S8_S8_S8_EEEEZZNS1_27merge_sort_block_merge_implIS3_NS6_6detail15normal_iteratorINS6_10device_ptrIjEEEENSD_INSE_IS9_EEEEjNS1_19radix_merge_compareILb0ELb0EjNS0_19identity_decomposerEEEEE10hipError_tT0_T1_T2_jT3_P12ihipStream_tbPNSt15iterator_traitsISN_E10value_typeEPNST_ISO_E10value_typeEPSP_NS1_7vsmem_tEENKUlT_SN_SO_SP_E_clIPjSG_PS9_SI_EESM_S12_SN_SO_SP_EUlS12_E_NS1_11comp_targetILNS1_3genE0ELNS1_11target_archE4294967295ELNS1_3gpuE0ELNS1_3repE0EEENS1_48merge_mergepath_partition_config_static_selectorELNS0_4arch9wavefront6targetE0EEEvSO_.kd
    .uniform_work_group_size: 1
    .uses_dynamic_stack: false
    .vgpr_count:     0
    .vgpr_spill_count: 0
    .wavefront_size: 32
    .workgroup_processor_mode: 1
  - .args:
      - .offset:         0
        .size:           40
        .value_kind:     by_value
    .group_segment_fixed_size: 0
    .kernarg_segment_align: 8
    .kernarg_segment_size: 40
    .language:       OpenCL C
    .language_version:
      - 2
      - 0
    .max_flat_workgroup_size: 128
    .name:           _ZN7rocprim17ROCPRIM_400000_NS6detail17trampoline_kernelINS0_14default_configENS1_38merge_sort_block_merge_config_selectorIjN6thrust23THRUST_200600_302600_NS5tupleIffNS6_9null_typeES8_S8_S8_S8_S8_S8_S8_EEEEZZNS1_27merge_sort_block_merge_implIS3_NS6_6detail15normal_iteratorINS6_10device_ptrIjEEEENSD_INSE_IS9_EEEEjNS1_19radix_merge_compareILb0ELb0EjNS0_19identity_decomposerEEEEE10hipError_tT0_T1_T2_jT3_P12ihipStream_tbPNSt15iterator_traitsISN_E10value_typeEPNST_ISO_E10value_typeEPSP_NS1_7vsmem_tEENKUlT_SN_SO_SP_E_clIPjSG_PS9_SI_EESM_S12_SN_SO_SP_EUlS12_E_NS1_11comp_targetILNS1_3genE10ELNS1_11target_archE1201ELNS1_3gpuE5ELNS1_3repE0EEENS1_48merge_mergepath_partition_config_static_selectorELNS0_4arch9wavefront6targetE0EEEvSO_
    .private_segment_fixed_size: 0
    .sgpr_count:     8
    .sgpr_spill_count: 0
    .symbol:         _ZN7rocprim17ROCPRIM_400000_NS6detail17trampoline_kernelINS0_14default_configENS1_38merge_sort_block_merge_config_selectorIjN6thrust23THRUST_200600_302600_NS5tupleIffNS6_9null_typeES8_S8_S8_S8_S8_S8_S8_EEEEZZNS1_27merge_sort_block_merge_implIS3_NS6_6detail15normal_iteratorINS6_10device_ptrIjEEEENSD_INSE_IS9_EEEEjNS1_19radix_merge_compareILb0ELb0EjNS0_19identity_decomposerEEEEE10hipError_tT0_T1_T2_jT3_P12ihipStream_tbPNSt15iterator_traitsISN_E10value_typeEPNST_ISO_E10value_typeEPSP_NS1_7vsmem_tEENKUlT_SN_SO_SP_E_clIPjSG_PS9_SI_EESM_S12_SN_SO_SP_EUlS12_E_NS1_11comp_targetILNS1_3genE10ELNS1_11target_archE1201ELNS1_3gpuE5ELNS1_3repE0EEENS1_48merge_mergepath_partition_config_static_selectorELNS0_4arch9wavefront6targetE0EEEvSO_.kd
    .uniform_work_group_size: 1
    .uses_dynamic_stack: false
    .vgpr_count:     15
    .vgpr_spill_count: 0
    .wavefront_size: 32
    .workgroup_processor_mode: 1
  - .args:
      - .offset:         0
        .size:           40
        .value_kind:     by_value
    .group_segment_fixed_size: 0
    .kernarg_segment_align: 8
    .kernarg_segment_size: 40
    .language:       OpenCL C
    .language_version:
      - 2
      - 0
    .max_flat_workgroup_size: 128
    .name:           _ZN7rocprim17ROCPRIM_400000_NS6detail17trampoline_kernelINS0_14default_configENS1_38merge_sort_block_merge_config_selectorIjN6thrust23THRUST_200600_302600_NS5tupleIffNS6_9null_typeES8_S8_S8_S8_S8_S8_S8_EEEEZZNS1_27merge_sort_block_merge_implIS3_NS6_6detail15normal_iteratorINS6_10device_ptrIjEEEENSD_INSE_IS9_EEEEjNS1_19radix_merge_compareILb0ELb0EjNS0_19identity_decomposerEEEEE10hipError_tT0_T1_T2_jT3_P12ihipStream_tbPNSt15iterator_traitsISN_E10value_typeEPNST_ISO_E10value_typeEPSP_NS1_7vsmem_tEENKUlT_SN_SO_SP_E_clIPjSG_PS9_SI_EESM_S12_SN_SO_SP_EUlS12_E_NS1_11comp_targetILNS1_3genE5ELNS1_11target_archE942ELNS1_3gpuE9ELNS1_3repE0EEENS1_48merge_mergepath_partition_config_static_selectorELNS0_4arch9wavefront6targetE0EEEvSO_
    .private_segment_fixed_size: 0
    .sgpr_count:     0
    .sgpr_spill_count: 0
    .symbol:         _ZN7rocprim17ROCPRIM_400000_NS6detail17trampoline_kernelINS0_14default_configENS1_38merge_sort_block_merge_config_selectorIjN6thrust23THRUST_200600_302600_NS5tupleIffNS6_9null_typeES8_S8_S8_S8_S8_S8_S8_EEEEZZNS1_27merge_sort_block_merge_implIS3_NS6_6detail15normal_iteratorINS6_10device_ptrIjEEEENSD_INSE_IS9_EEEEjNS1_19radix_merge_compareILb0ELb0EjNS0_19identity_decomposerEEEEE10hipError_tT0_T1_T2_jT3_P12ihipStream_tbPNSt15iterator_traitsISN_E10value_typeEPNST_ISO_E10value_typeEPSP_NS1_7vsmem_tEENKUlT_SN_SO_SP_E_clIPjSG_PS9_SI_EESM_S12_SN_SO_SP_EUlS12_E_NS1_11comp_targetILNS1_3genE5ELNS1_11target_archE942ELNS1_3gpuE9ELNS1_3repE0EEENS1_48merge_mergepath_partition_config_static_selectorELNS0_4arch9wavefront6targetE0EEEvSO_.kd
    .uniform_work_group_size: 1
    .uses_dynamic_stack: false
    .vgpr_count:     0
    .vgpr_spill_count: 0
    .wavefront_size: 32
    .workgroup_processor_mode: 1
  - .args:
      - .offset:         0
        .size:           40
        .value_kind:     by_value
    .group_segment_fixed_size: 0
    .kernarg_segment_align: 8
    .kernarg_segment_size: 40
    .language:       OpenCL C
    .language_version:
      - 2
      - 0
    .max_flat_workgroup_size: 128
    .name:           _ZN7rocprim17ROCPRIM_400000_NS6detail17trampoline_kernelINS0_14default_configENS1_38merge_sort_block_merge_config_selectorIjN6thrust23THRUST_200600_302600_NS5tupleIffNS6_9null_typeES8_S8_S8_S8_S8_S8_S8_EEEEZZNS1_27merge_sort_block_merge_implIS3_NS6_6detail15normal_iteratorINS6_10device_ptrIjEEEENSD_INSE_IS9_EEEEjNS1_19radix_merge_compareILb0ELb0EjNS0_19identity_decomposerEEEEE10hipError_tT0_T1_T2_jT3_P12ihipStream_tbPNSt15iterator_traitsISN_E10value_typeEPNST_ISO_E10value_typeEPSP_NS1_7vsmem_tEENKUlT_SN_SO_SP_E_clIPjSG_PS9_SI_EESM_S12_SN_SO_SP_EUlS12_E_NS1_11comp_targetILNS1_3genE4ELNS1_11target_archE910ELNS1_3gpuE8ELNS1_3repE0EEENS1_48merge_mergepath_partition_config_static_selectorELNS0_4arch9wavefront6targetE0EEEvSO_
    .private_segment_fixed_size: 0
    .sgpr_count:     0
    .sgpr_spill_count: 0
    .symbol:         _ZN7rocprim17ROCPRIM_400000_NS6detail17trampoline_kernelINS0_14default_configENS1_38merge_sort_block_merge_config_selectorIjN6thrust23THRUST_200600_302600_NS5tupleIffNS6_9null_typeES8_S8_S8_S8_S8_S8_S8_EEEEZZNS1_27merge_sort_block_merge_implIS3_NS6_6detail15normal_iteratorINS6_10device_ptrIjEEEENSD_INSE_IS9_EEEEjNS1_19radix_merge_compareILb0ELb0EjNS0_19identity_decomposerEEEEE10hipError_tT0_T1_T2_jT3_P12ihipStream_tbPNSt15iterator_traitsISN_E10value_typeEPNST_ISO_E10value_typeEPSP_NS1_7vsmem_tEENKUlT_SN_SO_SP_E_clIPjSG_PS9_SI_EESM_S12_SN_SO_SP_EUlS12_E_NS1_11comp_targetILNS1_3genE4ELNS1_11target_archE910ELNS1_3gpuE8ELNS1_3repE0EEENS1_48merge_mergepath_partition_config_static_selectorELNS0_4arch9wavefront6targetE0EEEvSO_.kd
    .uniform_work_group_size: 1
    .uses_dynamic_stack: false
    .vgpr_count:     0
    .vgpr_spill_count: 0
    .wavefront_size: 32
    .workgroup_processor_mode: 1
  - .args:
      - .offset:         0
        .size:           40
        .value_kind:     by_value
    .group_segment_fixed_size: 0
    .kernarg_segment_align: 8
    .kernarg_segment_size: 40
    .language:       OpenCL C
    .language_version:
      - 2
      - 0
    .max_flat_workgroup_size: 128
    .name:           _ZN7rocprim17ROCPRIM_400000_NS6detail17trampoline_kernelINS0_14default_configENS1_38merge_sort_block_merge_config_selectorIjN6thrust23THRUST_200600_302600_NS5tupleIffNS6_9null_typeES8_S8_S8_S8_S8_S8_S8_EEEEZZNS1_27merge_sort_block_merge_implIS3_NS6_6detail15normal_iteratorINS6_10device_ptrIjEEEENSD_INSE_IS9_EEEEjNS1_19radix_merge_compareILb0ELb0EjNS0_19identity_decomposerEEEEE10hipError_tT0_T1_T2_jT3_P12ihipStream_tbPNSt15iterator_traitsISN_E10value_typeEPNST_ISO_E10value_typeEPSP_NS1_7vsmem_tEENKUlT_SN_SO_SP_E_clIPjSG_PS9_SI_EESM_S12_SN_SO_SP_EUlS12_E_NS1_11comp_targetILNS1_3genE3ELNS1_11target_archE908ELNS1_3gpuE7ELNS1_3repE0EEENS1_48merge_mergepath_partition_config_static_selectorELNS0_4arch9wavefront6targetE0EEEvSO_
    .private_segment_fixed_size: 0
    .sgpr_count:     0
    .sgpr_spill_count: 0
    .symbol:         _ZN7rocprim17ROCPRIM_400000_NS6detail17trampoline_kernelINS0_14default_configENS1_38merge_sort_block_merge_config_selectorIjN6thrust23THRUST_200600_302600_NS5tupleIffNS6_9null_typeES8_S8_S8_S8_S8_S8_S8_EEEEZZNS1_27merge_sort_block_merge_implIS3_NS6_6detail15normal_iteratorINS6_10device_ptrIjEEEENSD_INSE_IS9_EEEEjNS1_19radix_merge_compareILb0ELb0EjNS0_19identity_decomposerEEEEE10hipError_tT0_T1_T2_jT3_P12ihipStream_tbPNSt15iterator_traitsISN_E10value_typeEPNST_ISO_E10value_typeEPSP_NS1_7vsmem_tEENKUlT_SN_SO_SP_E_clIPjSG_PS9_SI_EESM_S12_SN_SO_SP_EUlS12_E_NS1_11comp_targetILNS1_3genE3ELNS1_11target_archE908ELNS1_3gpuE7ELNS1_3repE0EEENS1_48merge_mergepath_partition_config_static_selectorELNS0_4arch9wavefront6targetE0EEEvSO_.kd
    .uniform_work_group_size: 1
    .uses_dynamic_stack: false
    .vgpr_count:     0
    .vgpr_spill_count: 0
    .wavefront_size: 32
    .workgroup_processor_mode: 1
  - .args:
      - .offset:         0
        .size:           40
        .value_kind:     by_value
    .group_segment_fixed_size: 0
    .kernarg_segment_align: 8
    .kernarg_segment_size: 40
    .language:       OpenCL C
    .language_version:
      - 2
      - 0
    .max_flat_workgroup_size: 128
    .name:           _ZN7rocprim17ROCPRIM_400000_NS6detail17trampoline_kernelINS0_14default_configENS1_38merge_sort_block_merge_config_selectorIjN6thrust23THRUST_200600_302600_NS5tupleIffNS6_9null_typeES8_S8_S8_S8_S8_S8_S8_EEEEZZNS1_27merge_sort_block_merge_implIS3_NS6_6detail15normal_iteratorINS6_10device_ptrIjEEEENSD_INSE_IS9_EEEEjNS1_19radix_merge_compareILb0ELb0EjNS0_19identity_decomposerEEEEE10hipError_tT0_T1_T2_jT3_P12ihipStream_tbPNSt15iterator_traitsISN_E10value_typeEPNST_ISO_E10value_typeEPSP_NS1_7vsmem_tEENKUlT_SN_SO_SP_E_clIPjSG_PS9_SI_EESM_S12_SN_SO_SP_EUlS12_E_NS1_11comp_targetILNS1_3genE2ELNS1_11target_archE906ELNS1_3gpuE6ELNS1_3repE0EEENS1_48merge_mergepath_partition_config_static_selectorELNS0_4arch9wavefront6targetE0EEEvSO_
    .private_segment_fixed_size: 0
    .sgpr_count:     0
    .sgpr_spill_count: 0
    .symbol:         _ZN7rocprim17ROCPRIM_400000_NS6detail17trampoline_kernelINS0_14default_configENS1_38merge_sort_block_merge_config_selectorIjN6thrust23THRUST_200600_302600_NS5tupleIffNS6_9null_typeES8_S8_S8_S8_S8_S8_S8_EEEEZZNS1_27merge_sort_block_merge_implIS3_NS6_6detail15normal_iteratorINS6_10device_ptrIjEEEENSD_INSE_IS9_EEEEjNS1_19radix_merge_compareILb0ELb0EjNS0_19identity_decomposerEEEEE10hipError_tT0_T1_T2_jT3_P12ihipStream_tbPNSt15iterator_traitsISN_E10value_typeEPNST_ISO_E10value_typeEPSP_NS1_7vsmem_tEENKUlT_SN_SO_SP_E_clIPjSG_PS9_SI_EESM_S12_SN_SO_SP_EUlS12_E_NS1_11comp_targetILNS1_3genE2ELNS1_11target_archE906ELNS1_3gpuE6ELNS1_3repE0EEENS1_48merge_mergepath_partition_config_static_selectorELNS0_4arch9wavefront6targetE0EEEvSO_.kd
    .uniform_work_group_size: 1
    .uses_dynamic_stack: false
    .vgpr_count:     0
    .vgpr_spill_count: 0
    .wavefront_size: 32
    .workgroup_processor_mode: 1
  - .args:
      - .offset:         0
        .size:           40
        .value_kind:     by_value
    .group_segment_fixed_size: 0
    .kernarg_segment_align: 8
    .kernarg_segment_size: 40
    .language:       OpenCL C
    .language_version:
      - 2
      - 0
    .max_flat_workgroup_size: 128
    .name:           _ZN7rocprim17ROCPRIM_400000_NS6detail17trampoline_kernelINS0_14default_configENS1_38merge_sort_block_merge_config_selectorIjN6thrust23THRUST_200600_302600_NS5tupleIffNS6_9null_typeES8_S8_S8_S8_S8_S8_S8_EEEEZZNS1_27merge_sort_block_merge_implIS3_NS6_6detail15normal_iteratorINS6_10device_ptrIjEEEENSD_INSE_IS9_EEEEjNS1_19radix_merge_compareILb0ELb0EjNS0_19identity_decomposerEEEEE10hipError_tT0_T1_T2_jT3_P12ihipStream_tbPNSt15iterator_traitsISN_E10value_typeEPNST_ISO_E10value_typeEPSP_NS1_7vsmem_tEENKUlT_SN_SO_SP_E_clIPjSG_PS9_SI_EESM_S12_SN_SO_SP_EUlS12_E_NS1_11comp_targetILNS1_3genE9ELNS1_11target_archE1100ELNS1_3gpuE3ELNS1_3repE0EEENS1_48merge_mergepath_partition_config_static_selectorELNS0_4arch9wavefront6targetE0EEEvSO_
    .private_segment_fixed_size: 0
    .sgpr_count:     0
    .sgpr_spill_count: 0
    .symbol:         _ZN7rocprim17ROCPRIM_400000_NS6detail17trampoline_kernelINS0_14default_configENS1_38merge_sort_block_merge_config_selectorIjN6thrust23THRUST_200600_302600_NS5tupleIffNS6_9null_typeES8_S8_S8_S8_S8_S8_S8_EEEEZZNS1_27merge_sort_block_merge_implIS3_NS6_6detail15normal_iteratorINS6_10device_ptrIjEEEENSD_INSE_IS9_EEEEjNS1_19radix_merge_compareILb0ELb0EjNS0_19identity_decomposerEEEEE10hipError_tT0_T1_T2_jT3_P12ihipStream_tbPNSt15iterator_traitsISN_E10value_typeEPNST_ISO_E10value_typeEPSP_NS1_7vsmem_tEENKUlT_SN_SO_SP_E_clIPjSG_PS9_SI_EESM_S12_SN_SO_SP_EUlS12_E_NS1_11comp_targetILNS1_3genE9ELNS1_11target_archE1100ELNS1_3gpuE3ELNS1_3repE0EEENS1_48merge_mergepath_partition_config_static_selectorELNS0_4arch9wavefront6targetE0EEEvSO_.kd
    .uniform_work_group_size: 1
    .uses_dynamic_stack: false
    .vgpr_count:     0
    .vgpr_spill_count: 0
    .wavefront_size: 32
    .workgroup_processor_mode: 1
  - .args:
      - .offset:         0
        .size:           40
        .value_kind:     by_value
    .group_segment_fixed_size: 0
    .kernarg_segment_align: 8
    .kernarg_segment_size: 40
    .language:       OpenCL C
    .language_version:
      - 2
      - 0
    .max_flat_workgroup_size: 128
    .name:           _ZN7rocprim17ROCPRIM_400000_NS6detail17trampoline_kernelINS0_14default_configENS1_38merge_sort_block_merge_config_selectorIjN6thrust23THRUST_200600_302600_NS5tupleIffNS6_9null_typeES8_S8_S8_S8_S8_S8_S8_EEEEZZNS1_27merge_sort_block_merge_implIS3_NS6_6detail15normal_iteratorINS6_10device_ptrIjEEEENSD_INSE_IS9_EEEEjNS1_19radix_merge_compareILb0ELb0EjNS0_19identity_decomposerEEEEE10hipError_tT0_T1_T2_jT3_P12ihipStream_tbPNSt15iterator_traitsISN_E10value_typeEPNST_ISO_E10value_typeEPSP_NS1_7vsmem_tEENKUlT_SN_SO_SP_E_clIPjSG_PS9_SI_EESM_S12_SN_SO_SP_EUlS12_E_NS1_11comp_targetILNS1_3genE8ELNS1_11target_archE1030ELNS1_3gpuE2ELNS1_3repE0EEENS1_48merge_mergepath_partition_config_static_selectorELNS0_4arch9wavefront6targetE0EEEvSO_
    .private_segment_fixed_size: 0
    .sgpr_count:     0
    .sgpr_spill_count: 0
    .symbol:         _ZN7rocprim17ROCPRIM_400000_NS6detail17trampoline_kernelINS0_14default_configENS1_38merge_sort_block_merge_config_selectorIjN6thrust23THRUST_200600_302600_NS5tupleIffNS6_9null_typeES8_S8_S8_S8_S8_S8_S8_EEEEZZNS1_27merge_sort_block_merge_implIS3_NS6_6detail15normal_iteratorINS6_10device_ptrIjEEEENSD_INSE_IS9_EEEEjNS1_19radix_merge_compareILb0ELb0EjNS0_19identity_decomposerEEEEE10hipError_tT0_T1_T2_jT3_P12ihipStream_tbPNSt15iterator_traitsISN_E10value_typeEPNST_ISO_E10value_typeEPSP_NS1_7vsmem_tEENKUlT_SN_SO_SP_E_clIPjSG_PS9_SI_EESM_S12_SN_SO_SP_EUlS12_E_NS1_11comp_targetILNS1_3genE8ELNS1_11target_archE1030ELNS1_3gpuE2ELNS1_3repE0EEENS1_48merge_mergepath_partition_config_static_selectorELNS0_4arch9wavefront6targetE0EEEvSO_.kd
    .uniform_work_group_size: 1
    .uses_dynamic_stack: false
    .vgpr_count:     0
    .vgpr_spill_count: 0
    .wavefront_size: 32
    .workgroup_processor_mode: 1
  - .args:
      - .offset:         0
        .size:           64
        .value_kind:     by_value
    .group_segment_fixed_size: 0
    .kernarg_segment_align: 8
    .kernarg_segment_size: 64
    .language:       OpenCL C
    .language_version:
      - 2
      - 0
    .max_flat_workgroup_size: 512
    .name:           _ZN7rocprim17ROCPRIM_400000_NS6detail17trampoline_kernelINS0_14default_configENS1_38merge_sort_block_merge_config_selectorIjN6thrust23THRUST_200600_302600_NS5tupleIffNS6_9null_typeES8_S8_S8_S8_S8_S8_S8_EEEEZZNS1_27merge_sort_block_merge_implIS3_NS6_6detail15normal_iteratorINS6_10device_ptrIjEEEENSD_INSE_IS9_EEEEjNS1_19radix_merge_compareILb0ELb0EjNS0_19identity_decomposerEEEEE10hipError_tT0_T1_T2_jT3_P12ihipStream_tbPNSt15iterator_traitsISN_E10value_typeEPNST_ISO_E10value_typeEPSP_NS1_7vsmem_tEENKUlT_SN_SO_SP_E_clIPjSG_PS9_SI_EESM_S12_SN_SO_SP_EUlS12_E0_NS1_11comp_targetILNS1_3genE0ELNS1_11target_archE4294967295ELNS1_3gpuE0ELNS1_3repE0EEENS1_38merge_mergepath_config_static_selectorELNS0_4arch9wavefront6targetE0EEEvSO_
    .private_segment_fixed_size: 0
    .sgpr_count:     0
    .sgpr_spill_count: 0
    .symbol:         _ZN7rocprim17ROCPRIM_400000_NS6detail17trampoline_kernelINS0_14default_configENS1_38merge_sort_block_merge_config_selectorIjN6thrust23THRUST_200600_302600_NS5tupleIffNS6_9null_typeES8_S8_S8_S8_S8_S8_S8_EEEEZZNS1_27merge_sort_block_merge_implIS3_NS6_6detail15normal_iteratorINS6_10device_ptrIjEEEENSD_INSE_IS9_EEEEjNS1_19radix_merge_compareILb0ELb0EjNS0_19identity_decomposerEEEEE10hipError_tT0_T1_T2_jT3_P12ihipStream_tbPNSt15iterator_traitsISN_E10value_typeEPNST_ISO_E10value_typeEPSP_NS1_7vsmem_tEENKUlT_SN_SO_SP_E_clIPjSG_PS9_SI_EESM_S12_SN_SO_SP_EUlS12_E0_NS1_11comp_targetILNS1_3genE0ELNS1_11target_archE4294967295ELNS1_3gpuE0ELNS1_3repE0EEENS1_38merge_mergepath_config_static_selectorELNS0_4arch9wavefront6targetE0EEEvSO_.kd
    .uniform_work_group_size: 1
    .uses_dynamic_stack: false
    .vgpr_count:     0
    .vgpr_spill_count: 0
    .wavefront_size: 32
    .workgroup_processor_mode: 1
  - .args:
      - .offset:         0
        .size:           64
        .value_kind:     by_value
      - .offset:         64
        .size:           4
        .value_kind:     hidden_block_count_x
      - .offset:         68
        .size:           4
        .value_kind:     hidden_block_count_y
      - .offset:         72
        .size:           4
        .value_kind:     hidden_block_count_z
      - .offset:         76
        .size:           2
        .value_kind:     hidden_group_size_x
      - .offset:         78
        .size:           2
        .value_kind:     hidden_group_size_y
      - .offset:         80
        .size:           2
        .value_kind:     hidden_group_size_z
      - .offset:         82
        .size:           2
        .value_kind:     hidden_remainder_x
      - .offset:         84
        .size:           2
        .value_kind:     hidden_remainder_y
      - .offset:         86
        .size:           2
        .value_kind:     hidden_remainder_z
      - .offset:         104
        .size:           8
        .value_kind:     hidden_global_offset_x
      - .offset:         112
        .size:           8
        .value_kind:     hidden_global_offset_y
      - .offset:         120
        .size:           8
        .value_kind:     hidden_global_offset_z
      - .offset:         128
        .size:           2
        .value_kind:     hidden_grid_dims
    .group_segment_fixed_size: 8448
    .kernarg_segment_align: 8
    .kernarg_segment_size: 320
    .language:       OpenCL C
    .language_version:
      - 2
      - 0
    .max_flat_workgroup_size: 512
    .name:           _ZN7rocprim17ROCPRIM_400000_NS6detail17trampoline_kernelINS0_14default_configENS1_38merge_sort_block_merge_config_selectorIjN6thrust23THRUST_200600_302600_NS5tupleIffNS6_9null_typeES8_S8_S8_S8_S8_S8_S8_EEEEZZNS1_27merge_sort_block_merge_implIS3_NS6_6detail15normal_iteratorINS6_10device_ptrIjEEEENSD_INSE_IS9_EEEEjNS1_19radix_merge_compareILb0ELb0EjNS0_19identity_decomposerEEEEE10hipError_tT0_T1_T2_jT3_P12ihipStream_tbPNSt15iterator_traitsISN_E10value_typeEPNST_ISO_E10value_typeEPSP_NS1_7vsmem_tEENKUlT_SN_SO_SP_E_clIPjSG_PS9_SI_EESM_S12_SN_SO_SP_EUlS12_E0_NS1_11comp_targetILNS1_3genE10ELNS1_11target_archE1201ELNS1_3gpuE5ELNS1_3repE0EEENS1_38merge_mergepath_config_static_selectorELNS0_4arch9wavefront6targetE0EEEvSO_
    .private_segment_fixed_size: 0
    .sgpr_count:     30
    .sgpr_spill_count: 0
    .symbol:         _ZN7rocprim17ROCPRIM_400000_NS6detail17trampoline_kernelINS0_14default_configENS1_38merge_sort_block_merge_config_selectorIjN6thrust23THRUST_200600_302600_NS5tupleIffNS6_9null_typeES8_S8_S8_S8_S8_S8_S8_EEEEZZNS1_27merge_sort_block_merge_implIS3_NS6_6detail15normal_iteratorINS6_10device_ptrIjEEEENSD_INSE_IS9_EEEEjNS1_19radix_merge_compareILb0ELb0EjNS0_19identity_decomposerEEEEE10hipError_tT0_T1_T2_jT3_P12ihipStream_tbPNSt15iterator_traitsISN_E10value_typeEPNST_ISO_E10value_typeEPSP_NS1_7vsmem_tEENKUlT_SN_SO_SP_E_clIPjSG_PS9_SI_EESM_S12_SN_SO_SP_EUlS12_E0_NS1_11comp_targetILNS1_3genE10ELNS1_11target_archE1201ELNS1_3gpuE5ELNS1_3repE0EEENS1_38merge_mergepath_config_static_selectorELNS0_4arch9wavefront6targetE0EEEvSO_.kd
    .uniform_work_group_size: 1
    .uses_dynamic_stack: false
    .vgpr_count:     18
    .vgpr_spill_count: 0
    .wavefront_size: 32
    .workgroup_processor_mode: 1
  - .args:
      - .offset:         0
        .size:           64
        .value_kind:     by_value
    .group_segment_fixed_size: 0
    .kernarg_segment_align: 8
    .kernarg_segment_size: 64
    .language:       OpenCL C
    .language_version:
      - 2
      - 0
    .max_flat_workgroup_size: 256
    .name:           _ZN7rocprim17ROCPRIM_400000_NS6detail17trampoline_kernelINS0_14default_configENS1_38merge_sort_block_merge_config_selectorIjN6thrust23THRUST_200600_302600_NS5tupleIffNS6_9null_typeES8_S8_S8_S8_S8_S8_S8_EEEEZZNS1_27merge_sort_block_merge_implIS3_NS6_6detail15normal_iteratorINS6_10device_ptrIjEEEENSD_INSE_IS9_EEEEjNS1_19radix_merge_compareILb0ELb0EjNS0_19identity_decomposerEEEEE10hipError_tT0_T1_T2_jT3_P12ihipStream_tbPNSt15iterator_traitsISN_E10value_typeEPNST_ISO_E10value_typeEPSP_NS1_7vsmem_tEENKUlT_SN_SO_SP_E_clIPjSG_PS9_SI_EESM_S12_SN_SO_SP_EUlS12_E0_NS1_11comp_targetILNS1_3genE5ELNS1_11target_archE942ELNS1_3gpuE9ELNS1_3repE0EEENS1_38merge_mergepath_config_static_selectorELNS0_4arch9wavefront6targetE0EEEvSO_
    .private_segment_fixed_size: 0
    .sgpr_count:     0
    .sgpr_spill_count: 0
    .symbol:         _ZN7rocprim17ROCPRIM_400000_NS6detail17trampoline_kernelINS0_14default_configENS1_38merge_sort_block_merge_config_selectorIjN6thrust23THRUST_200600_302600_NS5tupleIffNS6_9null_typeES8_S8_S8_S8_S8_S8_S8_EEEEZZNS1_27merge_sort_block_merge_implIS3_NS6_6detail15normal_iteratorINS6_10device_ptrIjEEEENSD_INSE_IS9_EEEEjNS1_19radix_merge_compareILb0ELb0EjNS0_19identity_decomposerEEEEE10hipError_tT0_T1_T2_jT3_P12ihipStream_tbPNSt15iterator_traitsISN_E10value_typeEPNST_ISO_E10value_typeEPSP_NS1_7vsmem_tEENKUlT_SN_SO_SP_E_clIPjSG_PS9_SI_EESM_S12_SN_SO_SP_EUlS12_E0_NS1_11comp_targetILNS1_3genE5ELNS1_11target_archE942ELNS1_3gpuE9ELNS1_3repE0EEENS1_38merge_mergepath_config_static_selectorELNS0_4arch9wavefront6targetE0EEEvSO_.kd
    .uniform_work_group_size: 1
    .uses_dynamic_stack: false
    .vgpr_count:     0
    .vgpr_spill_count: 0
    .wavefront_size: 32
    .workgroup_processor_mode: 1
  - .args:
      - .offset:         0
        .size:           64
        .value_kind:     by_value
    .group_segment_fixed_size: 0
    .kernarg_segment_align: 8
    .kernarg_segment_size: 64
    .language:       OpenCL C
    .language_version:
      - 2
      - 0
    .max_flat_workgroup_size: 256
    .name:           _ZN7rocprim17ROCPRIM_400000_NS6detail17trampoline_kernelINS0_14default_configENS1_38merge_sort_block_merge_config_selectorIjN6thrust23THRUST_200600_302600_NS5tupleIffNS6_9null_typeES8_S8_S8_S8_S8_S8_S8_EEEEZZNS1_27merge_sort_block_merge_implIS3_NS6_6detail15normal_iteratorINS6_10device_ptrIjEEEENSD_INSE_IS9_EEEEjNS1_19radix_merge_compareILb0ELb0EjNS0_19identity_decomposerEEEEE10hipError_tT0_T1_T2_jT3_P12ihipStream_tbPNSt15iterator_traitsISN_E10value_typeEPNST_ISO_E10value_typeEPSP_NS1_7vsmem_tEENKUlT_SN_SO_SP_E_clIPjSG_PS9_SI_EESM_S12_SN_SO_SP_EUlS12_E0_NS1_11comp_targetILNS1_3genE4ELNS1_11target_archE910ELNS1_3gpuE8ELNS1_3repE0EEENS1_38merge_mergepath_config_static_selectorELNS0_4arch9wavefront6targetE0EEEvSO_
    .private_segment_fixed_size: 0
    .sgpr_count:     0
    .sgpr_spill_count: 0
    .symbol:         _ZN7rocprim17ROCPRIM_400000_NS6detail17trampoline_kernelINS0_14default_configENS1_38merge_sort_block_merge_config_selectorIjN6thrust23THRUST_200600_302600_NS5tupleIffNS6_9null_typeES8_S8_S8_S8_S8_S8_S8_EEEEZZNS1_27merge_sort_block_merge_implIS3_NS6_6detail15normal_iteratorINS6_10device_ptrIjEEEENSD_INSE_IS9_EEEEjNS1_19radix_merge_compareILb0ELb0EjNS0_19identity_decomposerEEEEE10hipError_tT0_T1_T2_jT3_P12ihipStream_tbPNSt15iterator_traitsISN_E10value_typeEPNST_ISO_E10value_typeEPSP_NS1_7vsmem_tEENKUlT_SN_SO_SP_E_clIPjSG_PS9_SI_EESM_S12_SN_SO_SP_EUlS12_E0_NS1_11comp_targetILNS1_3genE4ELNS1_11target_archE910ELNS1_3gpuE8ELNS1_3repE0EEENS1_38merge_mergepath_config_static_selectorELNS0_4arch9wavefront6targetE0EEEvSO_.kd
    .uniform_work_group_size: 1
    .uses_dynamic_stack: false
    .vgpr_count:     0
    .vgpr_spill_count: 0
    .wavefront_size: 32
    .workgroup_processor_mode: 1
  - .args:
      - .offset:         0
        .size:           64
        .value_kind:     by_value
    .group_segment_fixed_size: 0
    .kernarg_segment_align: 8
    .kernarg_segment_size: 64
    .language:       OpenCL C
    .language_version:
      - 2
      - 0
    .max_flat_workgroup_size: 512
    .name:           _ZN7rocprim17ROCPRIM_400000_NS6detail17trampoline_kernelINS0_14default_configENS1_38merge_sort_block_merge_config_selectorIjN6thrust23THRUST_200600_302600_NS5tupleIffNS6_9null_typeES8_S8_S8_S8_S8_S8_S8_EEEEZZNS1_27merge_sort_block_merge_implIS3_NS6_6detail15normal_iteratorINS6_10device_ptrIjEEEENSD_INSE_IS9_EEEEjNS1_19radix_merge_compareILb0ELb0EjNS0_19identity_decomposerEEEEE10hipError_tT0_T1_T2_jT3_P12ihipStream_tbPNSt15iterator_traitsISN_E10value_typeEPNST_ISO_E10value_typeEPSP_NS1_7vsmem_tEENKUlT_SN_SO_SP_E_clIPjSG_PS9_SI_EESM_S12_SN_SO_SP_EUlS12_E0_NS1_11comp_targetILNS1_3genE3ELNS1_11target_archE908ELNS1_3gpuE7ELNS1_3repE0EEENS1_38merge_mergepath_config_static_selectorELNS0_4arch9wavefront6targetE0EEEvSO_
    .private_segment_fixed_size: 0
    .sgpr_count:     0
    .sgpr_spill_count: 0
    .symbol:         _ZN7rocprim17ROCPRIM_400000_NS6detail17trampoline_kernelINS0_14default_configENS1_38merge_sort_block_merge_config_selectorIjN6thrust23THRUST_200600_302600_NS5tupleIffNS6_9null_typeES8_S8_S8_S8_S8_S8_S8_EEEEZZNS1_27merge_sort_block_merge_implIS3_NS6_6detail15normal_iteratorINS6_10device_ptrIjEEEENSD_INSE_IS9_EEEEjNS1_19radix_merge_compareILb0ELb0EjNS0_19identity_decomposerEEEEE10hipError_tT0_T1_T2_jT3_P12ihipStream_tbPNSt15iterator_traitsISN_E10value_typeEPNST_ISO_E10value_typeEPSP_NS1_7vsmem_tEENKUlT_SN_SO_SP_E_clIPjSG_PS9_SI_EESM_S12_SN_SO_SP_EUlS12_E0_NS1_11comp_targetILNS1_3genE3ELNS1_11target_archE908ELNS1_3gpuE7ELNS1_3repE0EEENS1_38merge_mergepath_config_static_selectorELNS0_4arch9wavefront6targetE0EEEvSO_.kd
    .uniform_work_group_size: 1
    .uses_dynamic_stack: false
    .vgpr_count:     0
    .vgpr_spill_count: 0
    .wavefront_size: 32
    .workgroup_processor_mode: 1
  - .args:
      - .offset:         0
        .size:           64
        .value_kind:     by_value
    .group_segment_fixed_size: 0
    .kernarg_segment_align: 8
    .kernarg_segment_size: 64
    .language:       OpenCL C
    .language_version:
      - 2
      - 0
    .max_flat_workgroup_size: 256
    .name:           _ZN7rocprim17ROCPRIM_400000_NS6detail17trampoline_kernelINS0_14default_configENS1_38merge_sort_block_merge_config_selectorIjN6thrust23THRUST_200600_302600_NS5tupleIffNS6_9null_typeES8_S8_S8_S8_S8_S8_S8_EEEEZZNS1_27merge_sort_block_merge_implIS3_NS6_6detail15normal_iteratorINS6_10device_ptrIjEEEENSD_INSE_IS9_EEEEjNS1_19radix_merge_compareILb0ELb0EjNS0_19identity_decomposerEEEEE10hipError_tT0_T1_T2_jT3_P12ihipStream_tbPNSt15iterator_traitsISN_E10value_typeEPNST_ISO_E10value_typeEPSP_NS1_7vsmem_tEENKUlT_SN_SO_SP_E_clIPjSG_PS9_SI_EESM_S12_SN_SO_SP_EUlS12_E0_NS1_11comp_targetILNS1_3genE2ELNS1_11target_archE906ELNS1_3gpuE6ELNS1_3repE0EEENS1_38merge_mergepath_config_static_selectorELNS0_4arch9wavefront6targetE0EEEvSO_
    .private_segment_fixed_size: 0
    .sgpr_count:     0
    .sgpr_spill_count: 0
    .symbol:         _ZN7rocprim17ROCPRIM_400000_NS6detail17trampoline_kernelINS0_14default_configENS1_38merge_sort_block_merge_config_selectorIjN6thrust23THRUST_200600_302600_NS5tupleIffNS6_9null_typeES8_S8_S8_S8_S8_S8_S8_EEEEZZNS1_27merge_sort_block_merge_implIS3_NS6_6detail15normal_iteratorINS6_10device_ptrIjEEEENSD_INSE_IS9_EEEEjNS1_19radix_merge_compareILb0ELb0EjNS0_19identity_decomposerEEEEE10hipError_tT0_T1_T2_jT3_P12ihipStream_tbPNSt15iterator_traitsISN_E10value_typeEPNST_ISO_E10value_typeEPSP_NS1_7vsmem_tEENKUlT_SN_SO_SP_E_clIPjSG_PS9_SI_EESM_S12_SN_SO_SP_EUlS12_E0_NS1_11comp_targetILNS1_3genE2ELNS1_11target_archE906ELNS1_3gpuE6ELNS1_3repE0EEENS1_38merge_mergepath_config_static_selectorELNS0_4arch9wavefront6targetE0EEEvSO_.kd
    .uniform_work_group_size: 1
    .uses_dynamic_stack: false
    .vgpr_count:     0
    .vgpr_spill_count: 0
    .wavefront_size: 32
    .workgroup_processor_mode: 1
  - .args:
      - .offset:         0
        .size:           64
        .value_kind:     by_value
    .group_segment_fixed_size: 0
    .kernarg_segment_align: 8
    .kernarg_segment_size: 64
    .language:       OpenCL C
    .language_version:
      - 2
      - 0
    .max_flat_workgroup_size: 512
    .name:           _ZN7rocprim17ROCPRIM_400000_NS6detail17trampoline_kernelINS0_14default_configENS1_38merge_sort_block_merge_config_selectorIjN6thrust23THRUST_200600_302600_NS5tupleIffNS6_9null_typeES8_S8_S8_S8_S8_S8_S8_EEEEZZNS1_27merge_sort_block_merge_implIS3_NS6_6detail15normal_iteratorINS6_10device_ptrIjEEEENSD_INSE_IS9_EEEEjNS1_19radix_merge_compareILb0ELb0EjNS0_19identity_decomposerEEEEE10hipError_tT0_T1_T2_jT3_P12ihipStream_tbPNSt15iterator_traitsISN_E10value_typeEPNST_ISO_E10value_typeEPSP_NS1_7vsmem_tEENKUlT_SN_SO_SP_E_clIPjSG_PS9_SI_EESM_S12_SN_SO_SP_EUlS12_E0_NS1_11comp_targetILNS1_3genE9ELNS1_11target_archE1100ELNS1_3gpuE3ELNS1_3repE0EEENS1_38merge_mergepath_config_static_selectorELNS0_4arch9wavefront6targetE0EEEvSO_
    .private_segment_fixed_size: 0
    .sgpr_count:     0
    .sgpr_spill_count: 0
    .symbol:         _ZN7rocprim17ROCPRIM_400000_NS6detail17trampoline_kernelINS0_14default_configENS1_38merge_sort_block_merge_config_selectorIjN6thrust23THRUST_200600_302600_NS5tupleIffNS6_9null_typeES8_S8_S8_S8_S8_S8_S8_EEEEZZNS1_27merge_sort_block_merge_implIS3_NS6_6detail15normal_iteratorINS6_10device_ptrIjEEEENSD_INSE_IS9_EEEEjNS1_19radix_merge_compareILb0ELb0EjNS0_19identity_decomposerEEEEE10hipError_tT0_T1_T2_jT3_P12ihipStream_tbPNSt15iterator_traitsISN_E10value_typeEPNST_ISO_E10value_typeEPSP_NS1_7vsmem_tEENKUlT_SN_SO_SP_E_clIPjSG_PS9_SI_EESM_S12_SN_SO_SP_EUlS12_E0_NS1_11comp_targetILNS1_3genE9ELNS1_11target_archE1100ELNS1_3gpuE3ELNS1_3repE0EEENS1_38merge_mergepath_config_static_selectorELNS0_4arch9wavefront6targetE0EEEvSO_.kd
    .uniform_work_group_size: 1
    .uses_dynamic_stack: false
    .vgpr_count:     0
    .vgpr_spill_count: 0
    .wavefront_size: 32
    .workgroup_processor_mode: 1
  - .args:
      - .offset:         0
        .size:           64
        .value_kind:     by_value
    .group_segment_fixed_size: 0
    .kernarg_segment_align: 8
    .kernarg_segment_size: 64
    .language:       OpenCL C
    .language_version:
      - 2
      - 0
    .max_flat_workgroup_size: 1024
    .name:           _ZN7rocprim17ROCPRIM_400000_NS6detail17trampoline_kernelINS0_14default_configENS1_38merge_sort_block_merge_config_selectorIjN6thrust23THRUST_200600_302600_NS5tupleIffNS6_9null_typeES8_S8_S8_S8_S8_S8_S8_EEEEZZNS1_27merge_sort_block_merge_implIS3_NS6_6detail15normal_iteratorINS6_10device_ptrIjEEEENSD_INSE_IS9_EEEEjNS1_19radix_merge_compareILb0ELb0EjNS0_19identity_decomposerEEEEE10hipError_tT0_T1_T2_jT3_P12ihipStream_tbPNSt15iterator_traitsISN_E10value_typeEPNST_ISO_E10value_typeEPSP_NS1_7vsmem_tEENKUlT_SN_SO_SP_E_clIPjSG_PS9_SI_EESM_S12_SN_SO_SP_EUlS12_E0_NS1_11comp_targetILNS1_3genE8ELNS1_11target_archE1030ELNS1_3gpuE2ELNS1_3repE0EEENS1_38merge_mergepath_config_static_selectorELNS0_4arch9wavefront6targetE0EEEvSO_
    .private_segment_fixed_size: 0
    .sgpr_count:     0
    .sgpr_spill_count: 0
    .symbol:         _ZN7rocprim17ROCPRIM_400000_NS6detail17trampoline_kernelINS0_14default_configENS1_38merge_sort_block_merge_config_selectorIjN6thrust23THRUST_200600_302600_NS5tupleIffNS6_9null_typeES8_S8_S8_S8_S8_S8_S8_EEEEZZNS1_27merge_sort_block_merge_implIS3_NS6_6detail15normal_iteratorINS6_10device_ptrIjEEEENSD_INSE_IS9_EEEEjNS1_19radix_merge_compareILb0ELb0EjNS0_19identity_decomposerEEEEE10hipError_tT0_T1_T2_jT3_P12ihipStream_tbPNSt15iterator_traitsISN_E10value_typeEPNST_ISO_E10value_typeEPSP_NS1_7vsmem_tEENKUlT_SN_SO_SP_E_clIPjSG_PS9_SI_EESM_S12_SN_SO_SP_EUlS12_E0_NS1_11comp_targetILNS1_3genE8ELNS1_11target_archE1030ELNS1_3gpuE2ELNS1_3repE0EEENS1_38merge_mergepath_config_static_selectorELNS0_4arch9wavefront6targetE0EEEvSO_.kd
    .uniform_work_group_size: 1
    .uses_dynamic_stack: false
    .vgpr_count:     0
    .vgpr_spill_count: 0
    .wavefront_size: 32
    .workgroup_processor_mode: 1
  - .args:
      - .offset:         0
        .size:           48
        .value_kind:     by_value
    .group_segment_fixed_size: 0
    .kernarg_segment_align: 8
    .kernarg_segment_size: 48
    .language:       OpenCL C
    .language_version:
      - 2
      - 0
    .max_flat_workgroup_size: 256
    .name:           _ZN7rocprim17ROCPRIM_400000_NS6detail17trampoline_kernelINS0_14default_configENS1_38merge_sort_block_merge_config_selectorIjN6thrust23THRUST_200600_302600_NS5tupleIffNS6_9null_typeES8_S8_S8_S8_S8_S8_S8_EEEEZZNS1_27merge_sort_block_merge_implIS3_NS6_6detail15normal_iteratorINS6_10device_ptrIjEEEENSD_INSE_IS9_EEEEjNS1_19radix_merge_compareILb0ELb0EjNS0_19identity_decomposerEEEEE10hipError_tT0_T1_T2_jT3_P12ihipStream_tbPNSt15iterator_traitsISN_E10value_typeEPNST_ISO_E10value_typeEPSP_NS1_7vsmem_tEENKUlT_SN_SO_SP_E_clIPjSG_PS9_SI_EESM_S12_SN_SO_SP_EUlS12_E1_NS1_11comp_targetILNS1_3genE0ELNS1_11target_archE4294967295ELNS1_3gpuE0ELNS1_3repE0EEENS1_36merge_oddeven_config_static_selectorELNS0_4arch9wavefront6targetE0EEEvSO_
    .private_segment_fixed_size: 0
    .sgpr_count:     0
    .sgpr_spill_count: 0
    .symbol:         _ZN7rocprim17ROCPRIM_400000_NS6detail17trampoline_kernelINS0_14default_configENS1_38merge_sort_block_merge_config_selectorIjN6thrust23THRUST_200600_302600_NS5tupleIffNS6_9null_typeES8_S8_S8_S8_S8_S8_S8_EEEEZZNS1_27merge_sort_block_merge_implIS3_NS6_6detail15normal_iteratorINS6_10device_ptrIjEEEENSD_INSE_IS9_EEEEjNS1_19radix_merge_compareILb0ELb0EjNS0_19identity_decomposerEEEEE10hipError_tT0_T1_T2_jT3_P12ihipStream_tbPNSt15iterator_traitsISN_E10value_typeEPNST_ISO_E10value_typeEPSP_NS1_7vsmem_tEENKUlT_SN_SO_SP_E_clIPjSG_PS9_SI_EESM_S12_SN_SO_SP_EUlS12_E1_NS1_11comp_targetILNS1_3genE0ELNS1_11target_archE4294967295ELNS1_3gpuE0ELNS1_3repE0EEENS1_36merge_oddeven_config_static_selectorELNS0_4arch9wavefront6targetE0EEEvSO_.kd
    .uniform_work_group_size: 1
    .uses_dynamic_stack: false
    .vgpr_count:     0
    .vgpr_spill_count: 0
    .wavefront_size: 32
    .workgroup_processor_mode: 1
  - .args:
      - .offset:         0
        .size:           48
        .value_kind:     by_value
    .group_segment_fixed_size: 0
    .kernarg_segment_align: 8
    .kernarg_segment_size: 48
    .language:       OpenCL C
    .language_version:
      - 2
      - 0
    .max_flat_workgroup_size: 256
    .name:           _ZN7rocprim17ROCPRIM_400000_NS6detail17trampoline_kernelINS0_14default_configENS1_38merge_sort_block_merge_config_selectorIjN6thrust23THRUST_200600_302600_NS5tupleIffNS6_9null_typeES8_S8_S8_S8_S8_S8_S8_EEEEZZNS1_27merge_sort_block_merge_implIS3_NS6_6detail15normal_iteratorINS6_10device_ptrIjEEEENSD_INSE_IS9_EEEEjNS1_19radix_merge_compareILb0ELb0EjNS0_19identity_decomposerEEEEE10hipError_tT0_T1_T2_jT3_P12ihipStream_tbPNSt15iterator_traitsISN_E10value_typeEPNST_ISO_E10value_typeEPSP_NS1_7vsmem_tEENKUlT_SN_SO_SP_E_clIPjSG_PS9_SI_EESM_S12_SN_SO_SP_EUlS12_E1_NS1_11comp_targetILNS1_3genE10ELNS1_11target_archE1201ELNS1_3gpuE5ELNS1_3repE0EEENS1_36merge_oddeven_config_static_selectorELNS0_4arch9wavefront6targetE0EEEvSO_
    .private_segment_fixed_size: 0
    .sgpr_count:     22
    .sgpr_spill_count: 0
    .symbol:         _ZN7rocprim17ROCPRIM_400000_NS6detail17trampoline_kernelINS0_14default_configENS1_38merge_sort_block_merge_config_selectorIjN6thrust23THRUST_200600_302600_NS5tupleIffNS6_9null_typeES8_S8_S8_S8_S8_S8_S8_EEEEZZNS1_27merge_sort_block_merge_implIS3_NS6_6detail15normal_iteratorINS6_10device_ptrIjEEEENSD_INSE_IS9_EEEEjNS1_19radix_merge_compareILb0ELb0EjNS0_19identity_decomposerEEEEE10hipError_tT0_T1_T2_jT3_P12ihipStream_tbPNSt15iterator_traitsISN_E10value_typeEPNST_ISO_E10value_typeEPSP_NS1_7vsmem_tEENKUlT_SN_SO_SP_E_clIPjSG_PS9_SI_EESM_S12_SN_SO_SP_EUlS12_E1_NS1_11comp_targetILNS1_3genE10ELNS1_11target_archE1201ELNS1_3gpuE5ELNS1_3repE0EEENS1_36merge_oddeven_config_static_selectorELNS0_4arch9wavefront6targetE0EEEvSO_.kd
    .uniform_work_group_size: 1
    .uses_dynamic_stack: false
    .vgpr_count:     10
    .vgpr_spill_count: 0
    .wavefront_size: 32
    .workgroup_processor_mode: 1
  - .args:
      - .offset:         0
        .size:           48
        .value_kind:     by_value
    .group_segment_fixed_size: 0
    .kernarg_segment_align: 8
    .kernarg_segment_size: 48
    .language:       OpenCL C
    .language_version:
      - 2
      - 0
    .max_flat_workgroup_size: 256
    .name:           _ZN7rocprim17ROCPRIM_400000_NS6detail17trampoline_kernelINS0_14default_configENS1_38merge_sort_block_merge_config_selectorIjN6thrust23THRUST_200600_302600_NS5tupleIffNS6_9null_typeES8_S8_S8_S8_S8_S8_S8_EEEEZZNS1_27merge_sort_block_merge_implIS3_NS6_6detail15normal_iteratorINS6_10device_ptrIjEEEENSD_INSE_IS9_EEEEjNS1_19radix_merge_compareILb0ELb0EjNS0_19identity_decomposerEEEEE10hipError_tT0_T1_T2_jT3_P12ihipStream_tbPNSt15iterator_traitsISN_E10value_typeEPNST_ISO_E10value_typeEPSP_NS1_7vsmem_tEENKUlT_SN_SO_SP_E_clIPjSG_PS9_SI_EESM_S12_SN_SO_SP_EUlS12_E1_NS1_11comp_targetILNS1_3genE5ELNS1_11target_archE942ELNS1_3gpuE9ELNS1_3repE0EEENS1_36merge_oddeven_config_static_selectorELNS0_4arch9wavefront6targetE0EEEvSO_
    .private_segment_fixed_size: 0
    .sgpr_count:     0
    .sgpr_spill_count: 0
    .symbol:         _ZN7rocprim17ROCPRIM_400000_NS6detail17trampoline_kernelINS0_14default_configENS1_38merge_sort_block_merge_config_selectorIjN6thrust23THRUST_200600_302600_NS5tupleIffNS6_9null_typeES8_S8_S8_S8_S8_S8_S8_EEEEZZNS1_27merge_sort_block_merge_implIS3_NS6_6detail15normal_iteratorINS6_10device_ptrIjEEEENSD_INSE_IS9_EEEEjNS1_19radix_merge_compareILb0ELb0EjNS0_19identity_decomposerEEEEE10hipError_tT0_T1_T2_jT3_P12ihipStream_tbPNSt15iterator_traitsISN_E10value_typeEPNST_ISO_E10value_typeEPSP_NS1_7vsmem_tEENKUlT_SN_SO_SP_E_clIPjSG_PS9_SI_EESM_S12_SN_SO_SP_EUlS12_E1_NS1_11comp_targetILNS1_3genE5ELNS1_11target_archE942ELNS1_3gpuE9ELNS1_3repE0EEENS1_36merge_oddeven_config_static_selectorELNS0_4arch9wavefront6targetE0EEEvSO_.kd
    .uniform_work_group_size: 1
    .uses_dynamic_stack: false
    .vgpr_count:     0
    .vgpr_spill_count: 0
    .wavefront_size: 32
    .workgroup_processor_mode: 1
  - .args:
      - .offset:         0
        .size:           48
        .value_kind:     by_value
    .group_segment_fixed_size: 0
    .kernarg_segment_align: 8
    .kernarg_segment_size: 48
    .language:       OpenCL C
    .language_version:
      - 2
      - 0
    .max_flat_workgroup_size: 256
    .name:           _ZN7rocprim17ROCPRIM_400000_NS6detail17trampoline_kernelINS0_14default_configENS1_38merge_sort_block_merge_config_selectorIjN6thrust23THRUST_200600_302600_NS5tupleIffNS6_9null_typeES8_S8_S8_S8_S8_S8_S8_EEEEZZNS1_27merge_sort_block_merge_implIS3_NS6_6detail15normal_iteratorINS6_10device_ptrIjEEEENSD_INSE_IS9_EEEEjNS1_19radix_merge_compareILb0ELb0EjNS0_19identity_decomposerEEEEE10hipError_tT0_T1_T2_jT3_P12ihipStream_tbPNSt15iterator_traitsISN_E10value_typeEPNST_ISO_E10value_typeEPSP_NS1_7vsmem_tEENKUlT_SN_SO_SP_E_clIPjSG_PS9_SI_EESM_S12_SN_SO_SP_EUlS12_E1_NS1_11comp_targetILNS1_3genE4ELNS1_11target_archE910ELNS1_3gpuE8ELNS1_3repE0EEENS1_36merge_oddeven_config_static_selectorELNS0_4arch9wavefront6targetE0EEEvSO_
    .private_segment_fixed_size: 0
    .sgpr_count:     0
    .sgpr_spill_count: 0
    .symbol:         _ZN7rocprim17ROCPRIM_400000_NS6detail17trampoline_kernelINS0_14default_configENS1_38merge_sort_block_merge_config_selectorIjN6thrust23THRUST_200600_302600_NS5tupleIffNS6_9null_typeES8_S8_S8_S8_S8_S8_S8_EEEEZZNS1_27merge_sort_block_merge_implIS3_NS6_6detail15normal_iteratorINS6_10device_ptrIjEEEENSD_INSE_IS9_EEEEjNS1_19radix_merge_compareILb0ELb0EjNS0_19identity_decomposerEEEEE10hipError_tT0_T1_T2_jT3_P12ihipStream_tbPNSt15iterator_traitsISN_E10value_typeEPNST_ISO_E10value_typeEPSP_NS1_7vsmem_tEENKUlT_SN_SO_SP_E_clIPjSG_PS9_SI_EESM_S12_SN_SO_SP_EUlS12_E1_NS1_11comp_targetILNS1_3genE4ELNS1_11target_archE910ELNS1_3gpuE8ELNS1_3repE0EEENS1_36merge_oddeven_config_static_selectorELNS0_4arch9wavefront6targetE0EEEvSO_.kd
    .uniform_work_group_size: 1
    .uses_dynamic_stack: false
    .vgpr_count:     0
    .vgpr_spill_count: 0
    .wavefront_size: 32
    .workgroup_processor_mode: 1
  - .args:
      - .offset:         0
        .size:           48
        .value_kind:     by_value
    .group_segment_fixed_size: 0
    .kernarg_segment_align: 8
    .kernarg_segment_size: 48
    .language:       OpenCL C
    .language_version:
      - 2
      - 0
    .max_flat_workgroup_size: 256
    .name:           _ZN7rocprim17ROCPRIM_400000_NS6detail17trampoline_kernelINS0_14default_configENS1_38merge_sort_block_merge_config_selectorIjN6thrust23THRUST_200600_302600_NS5tupleIffNS6_9null_typeES8_S8_S8_S8_S8_S8_S8_EEEEZZNS1_27merge_sort_block_merge_implIS3_NS6_6detail15normal_iteratorINS6_10device_ptrIjEEEENSD_INSE_IS9_EEEEjNS1_19radix_merge_compareILb0ELb0EjNS0_19identity_decomposerEEEEE10hipError_tT0_T1_T2_jT3_P12ihipStream_tbPNSt15iterator_traitsISN_E10value_typeEPNST_ISO_E10value_typeEPSP_NS1_7vsmem_tEENKUlT_SN_SO_SP_E_clIPjSG_PS9_SI_EESM_S12_SN_SO_SP_EUlS12_E1_NS1_11comp_targetILNS1_3genE3ELNS1_11target_archE908ELNS1_3gpuE7ELNS1_3repE0EEENS1_36merge_oddeven_config_static_selectorELNS0_4arch9wavefront6targetE0EEEvSO_
    .private_segment_fixed_size: 0
    .sgpr_count:     0
    .sgpr_spill_count: 0
    .symbol:         _ZN7rocprim17ROCPRIM_400000_NS6detail17trampoline_kernelINS0_14default_configENS1_38merge_sort_block_merge_config_selectorIjN6thrust23THRUST_200600_302600_NS5tupleIffNS6_9null_typeES8_S8_S8_S8_S8_S8_S8_EEEEZZNS1_27merge_sort_block_merge_implIS3_NS6_6detail15normal_iteratorINS6_10device_ptrIjEEEENSD_INSE_IS9_EEEEjNS1_19radix_merge_compareILb0ELb0EjNS0_19identity_decomposerEEEEE10hipError_tT0_T1_T2_jT3_P12ihipStream_tbPNSt15iterator_traitsISN_E10value_typeEPNST_ISO_E10value_typeEPSP_NS1_7vsmem_tEENKUlT_SN_SO_SP_E_clIPjSG_PS9_SI_EESM_S12_SN_SO_SP_EUlS12_E1_NS1_11comp_targetILNS1_3genE3ELNS1_11target_archE908ELNS1_3gpuE7ELNS1_3repE0EEENS1_36merge_oddeven_config_static_selectorELNS0_4arch9wavefront6targetE0EEEvSO_.kd
    .uniform_work_group_size: 1
    .uses_dynamic_stack: false
    .vgpr_count:     0
    .vgpr_spill_count: 0
    .wavefront_size: 32
    .workgroup_processor_mode: 1
  - .args:
      - .offset:         0
        .size:           48
        .value_kind:     by_value
    .group_segment_fixed_size: 0
    .kernarg_segment_align: 8
    .kernarg_segment_size: 48
    .language:       OpenCL C
    .language_version:
      - 2
      - 0
    .max_flat_workgroup_size: 256
    .name:           _ZN7rocprim17ROCPRIM_400000_NS6detail17trampoline_kernelINS0_14default_configENS1_38merge_sort_block_merge_config_selectorIjN6thrust23THRUST_200600_302600_NS5tupleIffNS6_9null_typeES8_S8_S8_S8_S8_S8_S8_EEEEZZNS1_27merge_sort_block_merge_implIS3_NS6_6detail15normal_iteratorINS6_10device_ptrIjEEEENSD_INSE_IS9_EEEEjNS1_19radix_merge_compareILb0ELb0EjNS0_19identity_decomposerEEEEE10hipError_tT0_T1_T2_jT3_P12ihipStream_tbPNSt15iterator_traitsISN_E10value_typeEPNST_ISO_E10value_typeEPSP_NS1_7vsmem_tEENKUlT_SN_SO_SP_E_clIPjSG_PS9_SI_EESM_S12_SN_SO_SP_EUlS12_E1_NS1_11comp_targetILNS1_3genE2ELNS1_11target_archE906ELNS1_3gpuE6ELNS1_3repE0EEENS1_36merge_oddeven_config_static_selectorELNS0_4arch9wavefront6targetE0EEEvSO_
    .private_segment_fixed_size: 0
    .sgpr_count:     0
    .sgpr_spill_count: 0
    .symbol:         _ZN7rocprim17ROCPRIM_400000_NS6detail17trampoline_kernelINS0_14default_configENS1_38merge_sort_block_merge_config_selectorIjN6thrust23THRUST_200600_302600_NS5tupleIffNS6_9null_typeES8_S8_S8_S8_S8_S8_S8_EEEEZZNS1_27merge_sort_block_merge_implIS3_NS6_6detail15normal_iteratorINS6_10device_ptrIjEEEENSD_INSE_IS9_EEEEjNS1_19radix_merge_compareILb0ELb0EjNS0_19identity_decomposerEEEEE10hipError_tT0_T1_T2_jT3_P12ihipStream_tbPNSt15iterator_traitsISN_E10value_typeEPNST_ISO_E10value_typeEPSP_NS1_7vsmem_tEENKUlT_SN_SO_SP_E_clIPjSG_PS9_SI_EESM_S12_SN_SO_SP_EUlS12_E1_NS1_11comp_targetILNS1_3genE2ELNS1_11target_archE906ELNS1_3gpuE6ELNS1_3repE0EEENS1_36merge_oddeven_config_static_selectorELNS0_4arch9wavefront6targetE0EEEvSO_.kd
    .uniform_work_group_size: 1
    .uses_dynamic_stack: false
    .vgpr_count:     0
    .vgpr_spill_count: 0
    .wavefront_size: 32
    .workgroup_processor_mode: 1
  - .args:
      - .offset:         0
        .size:           48
        .value_kind:     by_value
    .group_segment_fixed_size: 0
    .kernarg_segment_align: 8
    .kernarg_segment_size: 48
    .language:       OpenCL C
    .language_version:
      - 2
      - 0
    .max_flat_workgroup_size: 256
    .name:           _ZN7rocprim17ROCPRIM_400000_NS6detail17trampoline_kernelINS0_14default_configENS1_38merge_sort_block_merge_config_selectorIjN6thrust23THRUST_200600_302600_NS5tupleIffNS6_9null_typeES8_S8_S8_S8_S8_S8_S8_EEEEZZNS1_27merge_sort_block_merge_implIS3_NS6_6detail15normal_iteratorINS6_10device_ptrIjEEEENSD_INSE_IS9_EEEEjNS1_19radix_merge_compareILb0ELb0EjNS0_19identity_decomposerEEEEE10hipError_tT0_T1_T2_jT3_P12ihipStream_tbPNSt15iterator_traitsISN_E10value_typeEPNST_ISO_E10value_typeEPSP_NS1_7vsmem_tEENKUlT_SN_SO_SP_E_clIPjSG_PS9_SI_EESM_S12_SN_SO_SP_EUlS12_E1_NS1_11comp_targetILNS1_3genE9ELNS1_11target_archE1100ELNS1_3gpuE3ELNS1_3repE0EEENS1_36merge_oddeven_config_static_selectorELNS0_4arch9wavefront6targetE0EEEvSO_
    .private_segment_fixed_size: 0
    .sgpr_count:     0
    .sgpr_spill_count: 0
    .symbol:         _ZN7rocprim17ROCPRIM_400000_NS6detail17trampoline_kernelINS0_14default_configENS1_38merge_sort_block_merge_config_selectorIjN6thrust23THRUST_200600_302600_NS5tupleIffNS6_9null_typeES8_S8_S8_S8_S8_S8_S8_EEEEZZNS1_27merge_sort_block_merge_implIS3_NS6_6detail15normal_iteratorINS6_10device_ptrIjEEEENSD_INSE_IS9_EEEEjNS1_19radix_merge_compareILb0ELb0EjNS0_19identity_decomposerEEEEE10hipError_tT0_T1_T2_jT3_P12ihipStream_tbPNSt15iterator_traitsISN_E10value_typeEPNST_ISO_E10value_typeEPSP_NS1_7vsmem_tEENKUlT_SN_SO_SP_E_clIPjSG_PS9_SI_EESM_S12_SN_SO_SP_EUlS12_E1_NS1_11comp_targetILNS1_3genE9ELNS1_11target_archE1100ELNS1_3gpuE3ELNS1_3repE0EEENS1_36merge_oddeven_config_static_selectorELNS0_4arch9wavefront6targetE0EEEvSO_.kd
    .uniform_work_group_size: 1
    .uses_dynamic_stack: false
    .vgpr_count:     0
    .vgpr_spill_count: 0
    .wavefront_size: 32
    .workgroup_processor_mode: 1
  - .args:
      - .offset:         0
        .size:           48
        .value_kind:     by_value
    .group_segment_fixed_size: 0
    .kernarg_segment_align: 8
    .kernarg_segment_size: 48
    .language:       OpenCL C
    .language_version:
      - 2
      - 0
    .max_flat_workgroup_size: 256
    .name:           _ZN7rocprim17ROCPRIM_400000_NS6detail17trampoline_kernelINS0_14default_configENS1_38merge_sort_block_merge_config_selectorIjN6thrust23THRUST_200600_302600_NS5tupleIffNS6_9null_typeES8_S8_S8_S8_S8_S8_S8_EEEEZZNS1_27merge_sort_block_merge_implIS3_NS6_6detail15normal_iteratorINS6_10device_ptrIjEEEENSD_INSE_IS9_EEEEjNS1_19radix_merge_compareILb0ELb0EjNS0_19identity_decomposerEEEEE10hipError_tT0_T1_T2_jT3_P12ihipStream_tbPNSt15iterator_traitsISN_E10value_typeEPNST_ISO_E10value_typeEPSP_NS1_7vsmem_tEENKUlT_SN_SO_SP_E_clIPjSG_PS9_SI_EESM_S12_SN_SO_SP_EUlS12_E1_NS1_11comp_targetILNS1_3genE8ELNS1_11target_archE1030ELNS1_3gpuE2ELNS1_3repE0EEENS1_36merge_oddeven_config_static_selectorELNS0_4arch9wavefront6targetE0EEEvSO_
    .private_segment_fixed_size: 0
    .sgpr_count:     0
    .sgpr_spill_count: 0
    .symbol:         _ZN7rocprim17ROCPRIM_400000_NS6detail17trampoline_kernelINS0_14default_configENS1_38merge_sort_block_merge_config_selectorIjN6thrust23THRUST_200600_302600_NS5tupleIffNS6_9null_typeES8_S8_S8_S8_S8_S8_S8_EEEEZZNS1_27merge_sort_block_merge_implIS3_NS6_6detail15normal_iteratorINS6_10device_ptrIjEEEENSD_INSE_IS9_EEEEjNS1_19radix_merge_compareILb0ELb0EjNS0_19identity_decomposerEEEEE10hipError_tT0_T1_T2_jT3_P12ihipStream_tbPNSt15iterator_traitsISN_E10value_typeEPNST_ISO_E10value_typeEPSP_NS1_7vsmem_tEENKUlT_SN_SO_SP_E_clIPjSG_PS9_SI_EESM_S12_SN_SO_SP_EUlS12_E1_NS1_11comp_targetILNS1_3genE8ELNS1_11target_archE1030ELNS1_3gpuE2ELNS1_3repE0EEENS1_36merge_oddeven_config_static_selectorELNS0_4arch9wavefront6targetE0EEEvSO_.kd
    .uniform_work_group_size: 1
    .uses_dynamic_stack: false
    .vgpr_count:     0
    .vgpr_spill_count: 0
    .wavefront_size: 32
    .workgroup_processor_mode: 1
  - .args:
      - .offset:         0
        .size:           40
        .value_kind:     by_value
    .group_segment_fixed_size: 0
    .kernarg_segment_align: 8
    .kernarg_segment_size: 40
    .language:       OpenCL C
    .language_version:
      - 2
      - 0
    .max_flat_workgroup_size: 128
    .name:           _ZN7rocprim17ROCPRIM_400000_NS6detail17trampoline_kernelINS0_14default_configENS1_38merge_sort_block_merge_config_selectorIjN6thrust23THRUST_200600_302600_NS5tupleIffNS6_9null_typeES8_S8_S8_S8_S8_S8_S8_EEEEZZNS1_27merge_sort_block_merge_implIS3_NS6_6detail15normal_iteratorINS6_10device_ptrIjEEEENSD_INSE_IS9_EEEEjNS1_19radix_merge_compareILb0ELb0EjNS0_19identity_decomposerEEEEE10hipError_tT0_T1_T2_jT3_P12ihipStream_tbPNSt15iterator_traitsISN_E10value_typeEPNST_ISO_E10value_typeEPSP_NS1_7vsmem_tEENKUlT_SN_SO_SP_E_clISG_PjSI_PS9_EESM_S12_SN_SO_SP_EUlS12_E_NS1_11comp_targetILNS1_3genE0ELNS1_11target_archE4294967295ELNS1_3gpuE0ELNS1_3repE0EEENS1_48merge_mergepath_partition_config_static_selectorELNS0_4arch9wavefront6targetE0EEEvSO_
    .private_segment_fixed_size: 0
    .sgpr_count:     0
    .sgpr_spill_count: 0
    .symbol:         _ZN7rocprim17ROCPRIM_400000_NS6detail17trampoline_kernelINS0_14default_configENS1_38merge_sort_block_merge_config_selectorIjN6thrust23THRUST_200600_302600_NS5tupleIffNS6_9null_typeES8_S8_S8_S8_S8_S8_S8_EEEEZZNS1_27merge_sort_block_merge_implIS3_NS6_6detail15normal_iteratorINS6_10device_ptrIjEEEENSD_INSE_IS9_EEEEjNS1_19radix_merge_compareILb0ELb0EjNS0_19identity_decomposerEEEEE10hipError_tT0_T1_T2_jT3_P12ihipStream_tbPNSt15iterator_traitsISN_E10value_typeEPNST_ISO_E10value_typeEPSP_NS1_7vsmem_tEENKUlT_SN_SO_SP_E_clISG_PjSI_PS9_EESM_S12_SN_SO_SP_EUlS12_E_NS1_11comp_targetILNS1_3genE0ELNS1_11target_archE4294967295ELNS1_3gpuE0ELNS1_3repE0EEENS1_48merge_mergepath_partition_config_static_selectorELNS0_4arch9wavefront6targetE0EEEvSO_.kd
    .uniform_work_group_size: 1
    .uses_dynamic_stack: false
    .vgpr_count:     0
    .vgpr_spill_count: 0
    .wavefront_size: 32
    .workgroup_processor_mode: 1
  - .args:
      - .offset:         0
        .size:           40
        .value_kind:     by_value
    .group_segment_fixed_size: 0
    .kernarg_segment_align: 8
    .kernarg_segment_size: 40
    .language:       OpenCL C
    .language_version:
      - 2
      - 0
    .max_flat_workgroup_size: 128
    .name:           _ZN7rocprim17ROCPRIM_400000_NS6detail17trampoline_kernelINS0_14default_configENS1_38merge_sort_block_merge_config_selectorIjN6thrust23THRUST_200600_302600_NS5tupleIffNS6_9null_typeES8_S8_S8_S8_S8_S8_S8_EEEEZZNS1_27merge_sort_block_merge_implIS3_NS6_6detail15normal_iteratorINS6_10device_ptrIjEEEENSD_INSE_IS9_EEEEjNS1_19radix_merge_compareILb0ELb0EjNS0_19identity_decomposerEEEEE10hipError_tT0_T1_T2_jT3_P12ihipStream_tbPNSt15iterator_traitsISN_E10value_typeEPNST_ISO_E10value_typeEPSP_NS1_7vsmem_tEENKUlT_SN_SO_SP_E_clISG_PjSI_PS9_EESM_S12_SN_SO_SP_EUlS12_E_NS1_11comp_targetILNS1_3genE10ELNS1_11target_archE1201ELNS1_3gpuE5ELNS1_3repE0EEENS1_48merge_mergepath_partition_config_static_selectorELNS0_4arch9wavefront6targetE0EEEvSO_
    .private_segment_fixed_size: 0
    .sgpr_count:     8
    .sgpr_spill_count: 0
    .symbol:         _ZN7rocprim17ROCPRIM_400000_NS6detail17trampoline_kernelINS0_14default_configENS1_38merge_sort_block_merge_config_selectorIjN6thrust23THRUST_200600_302600_NS5tupleIffNS6_9null_typeES8_S8_S8_S8_S8_S8_S8_EEEEZZNS1_27merge_sort_block_merge_implIS3_NS6_6detail15normal_iteratorINS6_10device_ptrIjEEEENSD_INSE_IS9_EEEEjNS1_19radix_merge_compareILb0ELb0EjNS0_19identity_decomposerEEEEE10hipError_tT0_T1_T2_jT3_P12ihipStream_tbPNSt15iterator_traitsISN_E10value_typeEPNST_ISO_E10value_typeEPSP_NS1_7vsmem_tEENKUlT_SN_SO_SP_E_clISG_PjSI_PS9_EESM_S12_SN_SO_SP_EUlS12_E_NS1_11comp_targetILNS1_3genE10ELNS1_11target_archE1201ELNS1_3gpuE5ELNS1_3repE0EEENS1_48merge_mergepath_partition_config_static_selectorELNS0_4arch9wavefront6targetE0EEEvSO_.kd
    .uniform_work_group_size: 1
    .uses_dynamic_stack: false
    .vgpr_count:     15
    .vgpr_spill_count: 0
    .wavefront_size: 32
    .workgroup_processor_mode: 1
  - .args:
      - .offset:         0
        .size:           40
        .value_kind:     by_value
    .group_segment_fixed_size: 0
    .kernarg_segment_align: 8
    .kernarg_segment_size: 40
    .language:       OpenCL C
    .language_version:
      - 2
      - 0
    .max_flat_workgroup_size: 128
    .name:           _ZN7rocprim17ROCPRIM_400000_NS6detail17trampoline_kernelINS0_14default_configENS1_38merge_sort_block_merge_config_selectorIjN6thrust23THRUST_200600_302600_NS5tupleIffNS6_9null_typeES8_S8_S8_S8_S8_S8_S8_EEEEZZNS1_27merge_sort_block_merge_implIS3_NS6_6detail15normal_iteratorINS6_10device_ptrIjEEEENSD_INSE_IS9_EEEEjNS1_19radix_merge_compareILb0ELb0EjNS0_19identity_decomposerEEEEE10hipError_tT0_T1_T2_jT3_P12ihipStream_tbPNSt15iterator_traitsISN_E10value_typeEPNST_ISO_E10value_typeEPSP_NS1_7vsmem_tEENKUlT_SN_SO_SP_E_clISG_PjSI_PS9_EESM_S12_SN_SO_SP_EUlS12_E_NS1_11comp_targetILNS1_3genE5ELNS1_11target_archE942ELNS1_3gpuE9ELNS1_3repE0EEENS1_48merge_mergepath_partition_config_static_selectorELNS0_4arch9wavefront6targetE0EEEvSO_
    .private_segment_fixed_size: 0
    .sgpr_count:     0
    .sgpr_spill_count: 0
    .symbol:         _ZN7rocprim17ROCPRIM_400000_NS6detail17trampoline_kernelINS0_14default_configENS1_38merge_sort_block_merge_config_selectorIjN6thrust23THRUST_200600_302600_NS5tupleIffNS6_9null_typeES8_S8_S8_S8_S8_S8_S8_EEEEZZNS1_27merge_sort_block_merge_implIS3_NS6_6detail15normal_iteratorINS6_10device_ptrIjEEEENSD_INSE_IS9_EEEEjNS1_19radix_merge_compareILb0ELb0EjNS0_19identity_decomposerEEEEE10hipError_tT0_T1_T2_jT3_P12ihipStream_tbPNSt15iterator_traitsISN_E10value_typeEPNST_ISO_E10value_typeEPSP_NS1_7vsmem_tEENKUlT_SN_SO_SP_E_clISG_PjSI_PS9_EESM_S12_SN_SO_SP_EUlS12_E_NS1_11comp_targetILNS1_3genE5ELNS1_11target_archE942ELNS1_3gpuE9ELNS1_3repE0EEENS1_48merge_mergepath_partition_config_static_selectorELNS0_4arch9wavefront6targetE0EEEvSO_.kd
    .uniform_work_group_size: 1
    .uses_dynamic_stack: false
    .vgpr_count:     0
    .vgpr_spill_count: 0
    .wavefront_size: 32
    .workgroup_processor_mode: 1
  - .args:
      - .offset:         0
        .size:           40
        .value_kind:     by_value
    .group_segment_fixed_size: 0
    .kernarg_segment_align: 8
    .kernarg_segment_size: 40
    .language:       OpenCL C
    .language_version:
      - 2
      - 0
    .max_flat_workgroup_size: 128
    .name:           _ZN7rocprim17ROCPRIM_400000_NS6detail17trampoline_kernelINS0_14default_configENS1_38merge_sort_block_merge_config_selectorIjN6thrust23THRUST_200600_302600_NS5tupleIffNS6_9null_typeES8_S8_S8_S8_S8_S8_S8_EEEEZZNS1_27merge_sort_block_merge_implIS3_NS6_6detail15normal_iteratorINS6_10device_ptrIjEEEENSD_INSE_IS9_EEEEjNS1_19radix_merge_compareILb0ELb0EjNS0_19identity_decomposerEEEEE10hipError_tT0_T1_T2_jT3_P12ihipStream_tbPNSt15iterator_traitsISN_E10value_typeEPNST_ISO_E10value_typeEPSP_NS1_7vsmem_tEENKUlT_SN_SO_SP_E_clISG_PjSI_PS9_EESM_S12_SN_SO_SP_EUlS12_E_NS1_11comp_targetILNS1_3genE4ELNS1_11target_archE910ELNS1_3gpuE8ELNS1_3repE0EEENS1_48merge_mergepath_partition_config_static_selectorELNS0_4arch9wavefront6targetE0EEEvSO_
    .private_segment_fixed_size: 0
    .sgpr_count:     0
    .sgpr_spill_count: 0
    .symbol:         _ZN7rocprim17ROCPRIM_400000_NS6detail17trampoline_kernelINS0_14default_configENS1_38merge_sort_block_merge_config_selectorIjN6thrust23THRUST_200600_302600_NS5tupleIffNS6_9null_typeES8_S8_S8_S8_S8_S8_S8_EEEEZZNS1_27merge_sort_block_merge_implIS3_NS6_6detail15normal_iteratorINS6_10device_ptrIjEEEENSD_INSE_IS9_EEEEjNS1_19radix_merge_compareILb0ELb0EjNS0_19identity_decomposerEEEEE10hipError_tT0_T1_T2_jT3_P12ihipStream_tbPNSt15iterator_traitsISN_E10value_typeEPNST_ISO_E10value_typeEPSP_NS1_7vsmem_tEENKUlT_SN_SO_SP_E_clISG_PjSI_PS9_EESM_S12_SN_SO_SP_EUlS12_E_NS1_11comp_targetILNS1_3genE4ELNS1_11target_archE910ELNS1_3gpuE8ELNS1_3repE0EEENS1_48merge_mergepath_partition_config_static_selectorELNS0_4arch9wavefront6targetE0EEEvSO_.kd
    .uniform_work_group_size: 1
    .uses_dynamic_stack: false
    .vgpr_count:     0
    .vgpr_spill_count: 0
    .wavefront_size: 32
    .workgroup_processor_mode: 1
  - .args:
      - .offset:         0
        .size:           40
        .value_kind:     by_value
    .group_segment_fixed_size: 0
    .kernarg_segment_align: 8
    .kernarg_segment_size: 40
    .language:       OpenCL C
    .language_version:
      - 2
      - 0
    .max_flat_workgroup_size: 128
    .name:           _ZN7rocprim17ROCPRIM_400000_NS6detail17trampoline_kernelINS0_14default_configENS1_38merge_sort_block_merge_config_selectorIjN6thrust23THRUST_200600_302600_NS5tupleIffNS6_9null_typeES8_S8_S8_S8_S8_S8_S8_EEEEZZNS1_27merge_sort_block_merge_implIS3_NS6_6detail15normal_iteratorINS6_10device_ptrIjEEEENSD_INSE_IS9_EEEEjNS1_19radix_merge_compareILb0ELb0EjNS0_19identity_decomposerEEEEE10hipError_tT0_T1_T2_jT3_P12ihipStream_tbPNSt15iterator_traitsISN_E10value_typeEPNST_ISO_E10value_typeEPSP_NS1_7vsmem_tEENKUlT_SN_SO_SP_E_clISG_PjSI_PS9_EESM_S12_SN_SO_SP_EUlS12_E_NS1_11comp_targetILNS1_3genE3ELNS1_11target_archE908ELNS1_3gpuE7ELNS1_3repE0EEENS1_48merge_mergepath_partition_config_static_selectorELNS0_4arch9wavefront6targetE0EEEvSO_
    .private_segment_fixed_size: 0
    .sgpr_count:     0
    .sgpr_spill_count: 0
    .symbol:         _ZN7rocprim17ROCPRIM_400000_NS6detail17trampoline_kernelINS0_14default_configENS1_38merge_sort_block_merge_config_selectorIjN6thrust23THRUST_200600_302600_NS5tupleIffNS6_9null_typeES8_S8_S8_S8_S8_S8_S8_EEEEZZNS1_27merge_sort_block_merge_implIS3_NS6_6detail15normal_iteratorINS6_10device_ptrIjEEEENSD_INSE_IS9_EEEEjNS1_19radix_merge_compareILb0ELb0EjNS0_19identity_decomposerEEEEE10hipError_tT0_T1_T2_jT3_P12ihipStream_tbPNSt15iterator_traitsISN_E10value_typeEPNST_ISO_E10value_typeEPSP_NS1_7vsmem_tEENKUlT_SN_SO_SP_E_clISG_PjSI_PS9_EESM_S12_SN_SO_SP_EUlS12_E_NS1_11comp_targetILNS1_3genE3ELNS1_11target_archE908ELNS1_3gpuE7ELNS1_3repE0EEENS1_48merge_mergepath_partition_config_static_selectorELNS0_4arch9wavefront6targetE0EEEvSO_.kd
    .uniform_work_group_size: 1
    .uses_dynamic_stack: false
    .vgpr_count:     0
    .vgpr_spill_count: 0
    .wavefront_size: 32
    .workgroup_processor_mode: 1
  - .args:
      - .offset:         0
        .size:           40
        .value_kind:     by_value
    .group_segment_fixed_size: 0
    .kernarg_segment_align: 8
    .kernarg_segment_size: 40
    .language:       OpenCL C
    .language_version:
      - 2
      - 0
    .max_flat_workgroup_size: 128
    .name:           _ZN7rocprim17ROCPRIM_400000_NS6detail17trampoline_kernelINS0_14default_configENS1_38merge_sort_block_merge_config_selectorIjN6thrust23THRUST_200600_302600_NS5tupleIffNS6_9null_typeES8_S8_S8_S8_S8_S8_S8_EEEEZZNS1_27merge_sort_block_merge_implIS3_NS6_6detail15normal_iteratorINS6_10device_ptrIjEEEENSD_INSE_IS9_EEEEjNS1_19radix_merge_compareILb0ELb0EjNS0_19identity_decomposerEEEEE10hipError_tT0_T1_T2_jT3_P12ihipStream_tbPNSt15iterator_traitsISN_E10value_typeEPNST_ISO_E10value_typeEPSP_NS1_7vsmem_tEENKUlT_SN_SO_SP_E_clISG_PjSI_PS9_EESM_S12_SN_SO_SP_EUlS12_E_NS1_11comp_targetILNS1_3genE2ELNS1_11target_archE906ELNS1_3gpuE6ELNS1_3repE0EEENS1_48merge_mergepath_partition_config_static_selectorELNS0_4arch9wavefront6targetE0EEEvSO_
    .private_segment_fixed_size: 0
    .sgpr_count:     0
    .sgpr_spill_count: 0
    .symbol:         _ZN7rocprim17ROCPRIM_400000_NS6detail17trampoline_kernelINS0_14default_configENS1_38merge_sort_block_merge_config_selectorIjN6thrust23THRUST_200600_302600_NS5tupleIffNS6_9null_typeES8_S8_S8_S8_S8_S8_S8_EEEEZZNS1_27merge_sort_block_merge_implIS3_NS6_6detail15normal_iteratorINS6_10device_ptrIjEEEENSD_INSE_IS9_EEEEjNS1_19radix_merge_compareILb0ELb0EjNS0_19identity_decomposerEEEEE10hipError_tT0_T1_T2_jT3_P12ihipStream_tbPNSt15iterator_traitsISN_E10value_typeEPNST_ISO_E10value_typeEPSP_NS1_7vsmem_tEENKUlT_SN_SO_SP_E_clISG_PjSI_PS9_EESM_S12_SN_SO_SP_EUlS12_E_NS1_11comp_targetILNS1_3genE2ELNS1_11target_archE906ELNS1_3gpuE6ELNS1_3repE0EEENS1_48merge_mergepath_partition_config_static_selectorELNS0_4arch9wavefront6targetE0EEEvSO_.kd
    .uniform_work_group_size: 1
    .uses_dynamic_stack: false
    .vgpr_count:     0
    .vgpr_spill_count: 0
    .wavefront_size: 32
    .workgroup_processor_mode: 1
  - .args:
      - .offset:         0
        .size:           40
        .value_kind:     by_value
    .group_segment_fixed_size: 0
    .kernarg_segment_align: 8
    .kernarg_segment_size: 40
    .language:       OpenCL C
    .language_version:
      - 2
      - 0
    .max_flat_workgroup_size: 128
    .name:           _ZN7rocprim17ROCPRIM_400000_NS6detail17trampoline_kernelINS0_14default_configENS1_38merge_sort_block_merge_config_selectorIjN6thrust23THRUST_200600_302600_NS5tupleIffNS6_9null_typeES8_S8_S8_S8_S8_S8_S8_EEEEZZNS1_27merge_sort_block_merge_implIS3_NS6_6detail15normal_iteratorINS6_10device_ptrIjEEEENSD_INSE_IS9_EEEEjNS1_19radix_merge_compareILb0ELb0EjNS0_19identity_decomposerEEEEE10hipError_tT0_T1_T2_jT3_P12ihipStream_tbPNSt15iterator_traitsISN_E10value_typeEPNST_ISO_E10value_typeEPSP_NS1_7vsmem_tEENKUlT_SN_SO_SP_E_clISG_PjSI_PS9_EESM_S12_SN_SO_SP_EUlS12_E_NS1_11comp_targetILNS1_3genE9ELNS1_11target_archE1100ELNS1_3gpuE3ELNS1_3repE0EEENS1_48merge_mergepath_partition_config_static_selectorELNS0_4arch9wavefront6targetE0EEEvSO_
    .private_segment_fixed_size: 0
    .sgpr_count:     0
    .sgpr_spill_count: 0
    .symbol:         _ZN7rocprim17ROCPRIM_400000_NS6detail17trampoline_kernelINS0_14default_configENS1_38merge_sort_block_merge_config_selectorIjN6thrust23THRUST_200600_302600_NS5tupleIffNS6_9null_typeES8_S8_S8_S8_S8_S8_S8_EEEEZZNS1_27merge_sort_block_merge_implIS3_NS6_6detail15normal_iteratorINS6_10device_ptrIjEEEENSD_INSE_IS9_EEEEjNS1_19radix_merge_compareILb0ELb0EjNS0_19identity_decomposerEEEEE10hipError_tT0_T1_T2_jT3_P12ihipStream_tbPNSt15iterator_traitsISN_E10value_typeEPNST_ISO_E10value_typeEPSP_NS1_7vsmem_tEENKUlT_SN_SO_SP_E_clISG_PjSI_PS9_EESM_S12_SN_SO_SP_EUlS12_E_NS1_11comp_targetILNS1_3genE9ELNS1_11target_archE1100ELNS1_3gpuE3ELNS1_3repE0EEENS1_48merge_mergepath_partition_config_static_selectorELNS0_4arch9wavefront6targetE0EEEvSO_.kd
    .uniform_work_group_size: 1
    .uses_dynamic_stack: false
    .vgpr_count:     0
    .vgpr_spill_count: 0
    .wavefront_size: 32
    .workgroup_processor_mode: 1
  - .args:
      - .offset:         0
        .size:           40
        .value_kind:     by_value
    .group_segment_fixed_size: 0
    .kernarg_segment_align: 8
    .kernarg_segment_size: 40
    .language:       OpenCL C
    .language_version:
      - 2
      - 0
    .max_flat_workgroup_size: 128
    .name:           _ZN7rocprim17ROCPRIM_400000_NS6detail17trampoline_kernelINS0_14default_configENS1_38merge_sort_block_merge_config_selectorIjN6thrust23THRUST_200600_302600_NS5tupleIffNS6_9null_typeES8_S8_S8_S8_S8_S8_S8_EEEEZZNS1_27merge_sort_block_merge_implIS3_NS6_6detail15normal_iteratorINS6_10device_ptrIjEEEENSD_INSE_IS9_EEEEjNS1_19radix_merge_compareILb0ELb0EjNS0_19identity_decomposerEEEEE10hipError_tT0_T1_T2_jT3_P12ihipStream_tbPNSt15iterator_traitsISN_E10value_typeEPNST_ISO_E10value_typeEPSP_NS1_7vsmem_tEENKUlT_SN_SO_SP_E_clISG_PjSI_PS9_EESM_S12_SN_SO_SP_EUlS12_E_NS1_11comp_targetILNS1_3genE8ELNS1_11target_archE1030ELNS1_3gpuE2ELNS1_3repE0EEENS1_48merge_mergepath_partition_config_static_selectorELNS0_4arch9wavefront6targetE0EEEvSO_
    .private_segment_fixed_size: 0
    .sgpr_count:     0
    .sgpr_spill_count: 0
    .symbol:         _ZN7rocprim17ROCPRIM_400000_NS6detail17trampoline_kernelINS0_14default_configENS1_38merge_sort_block_merge_config_selectorIjN6thrust23THRUST_200600_302600_NS5tupleIffNS6_9null_typeES8_S8_S8_S8_S8_S8_S8_EEEEZZNS1_27merge_sort_block_merge_implIS3_NS6_6detail15normal_iteratorINS6_10device_ptrIjEEEENSD_INSE_IS9_EEEEjNS1_19radix_merge_compareILb0ELb0EjNS0_19identity_decomposerEEEEE10hipError_tT0_T1_T2_jT3_P12ihipStream_tbPNSt15iterator_traitsISN_E10value_typeEPNST_ISO_E10value_typeEPSP_NS1_7vsmem_tEENKUlT_SN_SO_SP_E_clISG_PjSI_PS9_EESM_S12_SN_SO_SP_EUlS12_E_NS1_11comp_targetILNS1_3genE8ELNS1_11target_archE1030ELNS1_3gpuE2ELNS1_3repE0EEENS1_48merge_mergepath_partition_config_static_selectorELNS0_4arch9wavefront6targetE0EEEvSO_.kd
    .uniform_work_group_size: 1
    .uses_dynamic_stack: false
    .vgpr_count:     0
    .vgpr_spill_count: 0
    .wavefront_size: 32
    .workgroup_processor_mode: 1
  - .args:
      - .offset:         0
        .size:           64
        .value_kind:     by_value
    .group_segment_fixed_size: 0
    .kernarg_segment_align: 8
    .kernarg_segment_size: 64
    .language:       OpenCL C
    .language_version:
      - 2
      - 0
    .max_flat_workgroup_size: 512
    .name:           _ZN7rocprim17ROCPRIM_400000_NS6detail17trampoline_kernelINS0_14default_configENS1_38merge_sort_block_merge_config_selectorIjN6thrust23THRUST_200600_302600_NS5tupleIffNS6_9null_typeES8_S8_S8_S8_S8_S8_S8_EEEEZZNS1_27merge_sort_block_merge_implIS3_NS6_6detail15normal_iteratorINS6_10device_ptrIjEEEENSD_INSE_IS9_EEEEjNS1_19radix_merge_compareILb0ELb0EjNS0_19identity_decomposerEEEEE10hipError_tT0_T1_T2_jT3_P12ihipStream_tbPNSt15iterator_traitsISN_E10value_typeEPNST_ISO_E10value_typeEPSP_NS1_7vsmem_tEENKUlT_SN_SO_SP_E_clISG_PjSI_PS9_EESM_S12_SN_SO_SP_EUlS12_E0_NS1_11comp_targetILNS1_3genE0ELNS1_11target_archE4294967295ELNS1_3gpuE0ELNS1_3repE0EEENS1_38merge_mergepath_config_static_selectorELNS0_4arch9wavefront6targetE0EEEvSO_
    .private_segment_fixed_size: 0
    .sgpr_count:     0
    .sgpr_spill_count: 0
    .symbol:         _ZN7rocprim17ROCPRIM_400000_NS6detail17trampoline_kernelINS0_14default_configENS1_38merge_sort_block_merge_config_selectorIjN6thrust23THRUST_200600_302600_NS5tupleIffNS6_9null_typeES8_S8_S8_S8_S8_S8_S8_EEEEZZNS1_27merge_sort_block_merge_implIS3_NS6_6detail15normal_iteratorINS6_10device_ptrIjEEEENSD_INSE_IS9_EEEEjNS1_19radix_merge_compareILb0ELb0EjNS0_19identity_decomposerEEEEE10hipError_tT0_T1_T2_jT3_P12ihipStream_tbPNSt15iterator_traitsISN_E10value_typeEPNST_ISO_E10value_typeEPSP_NS1_7vsmem_tEENKUlT_SN_SO_SP_E_clISG_PjSI_PS9_EESM_S12_SN_SO_SP_EUlS12_E0_NS1_11comp_targetILNS1_3genE0ELNS1_11target_archE4294967295ELNS1_3gpuE0ELNS1_3repE0EEENS1_38merge_mergepath_config_static_selectorELNS0_4arch9wavefront6targetE0EEEvSO_.kd
    .uniform_work_group_size: 1
    .uses_dynamic_stack: false
    .vgpr_count:     0
    .vgpr_spill_count: 0
    .wavefront_size: 32
    .workgroup_processor_mode: 1
  - .args:
      - .offset:         0
        .size:           64
        .value_kind:     by_value
      - .offset:         64
        .size:           4
        .value_kind:     hidden_block_count_x
      - .offset:         68
        .size:           4
        .value_kind:     hidden_block_count_y
      - .offset:         72
        .size:           4
        .value_kind:     hidden_block_count_z
      - .offset:         76
        .size:           2
        .value_kind:     hidden_group_size_x
      - .offset:         78
        .size:           2
        .value_kind:     hidden_group_size_y
      - .offset:         80
        .size:           2
        .value_kind:     hidden_group_size_z
      - .offset:         82
        .size:           2
        .value_kind:     hidden_remainder_x
      - .offset:         84
        .size:           2
        .value_kind:     hidden_remainder_y
      - .offset:         86
        .size:           2
        .value_kind:     hidden_remainder_z
      - .offset:         104
        .size:           8
        .value_kind:     hidden_global_offset_x
      - .offset:         112
        .size:           8
        .value_kind:     hidden_global_offset_y
      - .offset:         120
        .size:           8
        .value_kind:     hidden_global_offset_z
      - .offset:         128
        .size:           2
        .value_kind:     hidden_grid_dims
    .group_segment_fixed_size: 8448
    .kernarg_segment_align: 8
    .kernarg_segment_size: 320
    .language:       OpenCL C
    .language_version:
      - 2
      - 0
    .max_flat_workgroup_size: 512
    .name:           _ZN7rocprim17ROCPRIM_400000_NS6detail17trampoline_kernelINS0_14default_configENS1_38merge_sort_block_merge_config_selectorIjN6thrust23THRUST_200600_302600_NS5tupleIffNS6_9null_typeES8_S8_S8_S8_S8_S8_S8_EEEEZZNS1_27merge_sort_block_merge_implIS3_NS6_6detail15normal_iteratorINS6_10device_ptrIjEEEENSD_INSE_IS9_EEEEjNS1_19radix_merge_compareILb0ELb0EjNS0_19identity_decomposerEEEEE10hipError_tT0_T1_T2_jT3_P12ihipStream_tbPNSt15iterator_traitsISN_E10value_typeEPNST_ISO_E10value_typeEPSP_NS1_7vsmem_tEENKUlT_SN_SO_SP_E_clISG_PjSI_PS9_EESM_S12_SN_SO_SP_EUlS12_E0_NS1_11comp_targetILNS1_3genE10ELNS1_11target_archE1201ELNS1_3gpuE5ELNS1_3repE0EEENS1_38merge_mergepath_config_static_selectorELNS0_4arch9wavefront6targetE0EEEvSO_
    .private_segment_fixed_size: 0
    .sgpr_count:     30
    .sgpr_spill_count: 0
    .symbol:         _ZN7rocprim17ROCPRIM_400000_NS6detail17trampoline_kernelINS0_14default_configENS1_38merge_sort_block_merge_config_selectorIjN6thrust23THRUST_200600_302600_NS5tupleIffNS6_9null_typeES8_S8_S8_S8_S8_S8_S8_EEEEZZNS1_27merge_sort_block_merge_implIS3_NS6_6detail15normal_iteratorINS6_10device_ptrIjEEEENSD_INSE_IS9_EEEEjNS1_19radix_merge_compareILb0ELb0EjNS0_19identity_decomposerEEEEE10hipError_tT0_T1_T2_jT3_P12ihipStream_tbPNSt15iterator_traitsISN_E10value_typeEPNST_ISO_E10value_typeEPSP_NS1_7vsmem_tEENKUlT_SN_SO_SP_E_clISG_PjSI_PS9_EESM_S12_SN_SO_SP_EUlS12_E0_NS1_11comp_targetILNS1_3genE10ELNS1_11target_archE1201ELNS1_3gpuE5ELNS1_3repE0EEENS1_38merge_mergepath_config_static_selectorELNS0_4arch9wavefront6targetE0EEEvSO_.kd
    .uniform_work_group_size: 1
    .uses_dynamic_stack: false
    .vgpr_count:     19
    .vgpr_spill_count: 0
    .wavefront_size: 32
    .workgroup_processor_mode: 1
  - .args:
      - .offset:         0
        .size:           64
        .value_kind:     by_value
    .group_segment_fixed_size: 0
    .kernarg_segment_align: 8
    .kernarg_segment_size: 64
    .language:       OpenCL C
    .language_version:
      - 2
      - 0
    .max_flat_workgroup_size: 256
    .name:           _ZN7rocprim17ROCPRIM_400000_NS6detail17trampoline_kernelINS0_14default_configENS1_38merge_sort_block_merge_config_selectorIjN6thrust23THRUST_200600_302600_NS5tupleIffNS6_9null_typeES8_S8_S8_S8_S8_S8_S8_EEEEZZNS1_27merge_sort_block_merge_implIS3_NS6_6detail15normal_iteratorINS6_10device_ptrIjEEEENSD_INSE_IS9_EEEEjNS1_19radix_merge_compareILb0ELb0EjNS0_19identity_decomposerEEEEE10hipError_tT0_T1_T2_jT3_P12ihipStream_tbPNSt15iterator_traitsISN_E10value_typeEPNST_ISO_E10value_typeEPSP_NS1_7vsmem_tEENKUlT_SN_SO_SP_E_clISG_PjSI_PS9_EESM_S12_SN_SO_SP_EUlS12_E0_NS1_11comp_targetILNS1_3genE5ELNS1_11target_archE942ELNS1_3gpuE9ELNS1_3repE0EEENS1_38merge_mergepath_config_static_selectorELNS0_4arch9wavefront6targetE0EEEvSO_
    .private_segment_fixed_size: 0
    .sgpr_count:     0
    .sgpr_spill_count: 0
    .symbol:         _ZN7rocprim17ROCPRIM_400000_NS6detail17trampoline_kernelINS0_14default_configENS1_38merge_sort_block_merge_config_selectorIjN6thrust23THRUST_200600_302600_NS5tupleIffNS6_9null_typeES8_S8_S8_S8_S8_S8_S8_EEEEZZNS1_27merge_sort_block_merge_implIS3_NS6_6detail15normal_iteratorINS6_10device_ptrIjEEEENSD_INSE_IS9_EEEEjNS1_19radix_merge_compareILb0ELb0EjNS0_19identity_decomposerEEEEE10hipError_tT0_T1_T2_jT3_P12ihipStream_tbPNSt15iterator_traitsISN_E10value_typeEPNST_ISO_E10value_typeEPSP_NS1_7vsmem_tEENKUlT_SN_SO_SP_E_clISG_PjSI_PS9_EESM_S12_SN_SO_SP_EUlS12_E0_NS1_11comp_targetILNS1_3genE5ELNS1_11target_archE942ELNS1_3gpuE9ELNS1_3repE0EEENS1_38merge_mergepath_config_static_selectorELNS0_4arch9wavefront6targetE0EEEvSO_.kd
    .uniform_work_group_size: 1
    .uses_dynamic_stack: false
    .vgpr_count:     0
    .vgpr_spill_count: 0
    .wavefront_size: 32
    .workgroup_processor_mode: 1
  - .args:
      - .offset:         0
        .size:           64
        .value_kind:     by_value
    .group_segment_fixed_size: 0
    .kernarg_segment_align: 8
    .kernarg_segment_size: 64
    .language:       OpenCL C
    .language_version:
      - 2
      - 0
    .max_flat_workgroup_size: 256
    .name:           _ZN7rocprim17ROCPRIM_400000_NS6detail17trampoline_kernelINS0_14default_configENS1_38merge_sort_block_merge_config_selectorIjN6thrust23THRUST_200600_302600_NS5tupleIffNS6_9null_typeES8_S8_S8_S8_S8_S8_S8_EEEEZZNS1_27merge_sort_block_merge_implIS3_NS6_6detail15normal_iteratorINS6_10device_ptrIjEEEENSD_INSE_IS9_EEEEjNS1_19radix_merge_compareILb0ELb0EjNS0_19identity_decomposerEEEEE10hipError_tT0_T1_T2_jT3_P12ihipStream_tbPNSt15iterator_traitsISN_E10value_typeEPNST_ISO_E10value_typeEPSP_NS1_7vsmem_tEENKUlT_SN_SO_SP_E_clISG_PjSI_PS9_EESM_S12_SN_SO_SP_EUlS12_E0_NS1_11comp_targetILNS1_3genE4ELNS1_11target_archE910ELNS1_3gpuE8ELNS1_3repE0EEENS1_38merge_mergepath_config_static_selectorELNS0_4arch9wavefront6targetE0EEEvSO_
    .private_segment_fixed_size: 0
    .sgpr_count:     0
    .sgpr_spill_count: 0
    .symbol:         _ZN7rocprim17ROCPRIM_400000_NS6detail17trampoline_kernelINS0_14default_configENS1_38merge_sort_block_merge_config_selectorIjN6thrust23THRUST_200600_302600_NS5tupleIffNS6_9null_typeES8_S8_S8_S8_S8_S8_S8_EEEEZZNS1_27merge_sort_block_merge_implIS3_NS6_6detail15normal_iteratorINS6_10device_ptrIjEEEENSD_INSE_IS9_EEEEjNS1_19radix_merge_compareILb0ELb0EjNS0_19identity_decomposerEEEEE10hipError_tT0_T1_T2_jT3_P12ihipStream_tbPNSt15iterator_traitsISN_E10value_typeEPNST_ISO_E10value_typeEPSP_NS1_7vsmem_tEENKUlT_SN_SO_SP_E_clISG_PjSI_PS9_EESM_S12_SN_SO_SP_EUlS12_E0_NS1_11comp_targetILNS1_3genE4ELNS1_11target_archE910ELNS1_3gpuE8ELNS1_3repE0EEENS1_38merge_mergepath_config_static_selectorELNS0_4arch9wavefront6targetE0EEEvSO_.kd
    .uniform_work_group_size: 1
    .uses_dynamic_stack: false
    .vgpr_count:     0
    .vgpr_spill_count: 0
    .wavefront_size: 32
    .workgroup_processor_mode: 1
  - .args:
      - .offset:         0
        .size:           64
        .value_kind:     by_value
    .group_segment_fixed_size: 0
    .kernarg_segment_align: 8
    .kernarg_segment_size: 64
    .language:       OpenCL C
    .language_version:
      - 2
      - 0
    .max_flat_workgroup_size: 512
    .name:           _ZN7rocprim17ROCPRIM_400000_NS6detail17trampoline_kernelINS0_14default_configENS1_38merge_sort_block_merge_config_selectorIjN6thrust23THRUST_200600_302600_NS5tupleIffNS6_9null_typeES8_S8_S8_S8_S8_S8_S8_EEEEZZNS1_27merge_sort_block_merge_implIS3_NS6_6detail15normal_iteratorINS6_10device_ptrIjEEEENSD_INSE_IS9_EEEEjNS1_19radix_merge_compareILb0ELb0EjNS0_19identity_decomposerEEEEE10hipError_tT0_T1_T2_jT3_P12ihipStream_tbPNSt15iterator_traitsISN_E10value_typeEPNST_ISO_E10value_typeEPSP_NS1_7vsmem_tEENKUlT_SN_SO_SP_E_clISG_PjSI_PS9_EESM_S12_SN_SO_SP_EUlS12_E0_NS1_11comp_targetILNS1_3genE3ELNS1_11target_archE908ELNS1_3gpuE7ELNS1_3repE0EEENS1_38merge_mergepath_config_static_selectorELNS0_4arch9wavefront6targetE0EEEvSO_
    .private_segment_fixed_size: 0
    .sgpr_count:     0
    .sgpr_spill_count: 0
    .symbol:         _ZN7rocprim17ROCPRIM_400000_NS6detail17trampoline_kernelINS0_14default_configENS1_38merge_sort_block_merge_config_selectorIjN6thrust23THRUST_200600_302600_NS5tupleIffNS6_9null_typeES8_S8_S8_S8_S8_S8_S8_EEEEZZNS1_27merge_sort_block_merge_implIS3_NS6_6detail15normal_iteratorINS6_10device_ptrIjEEEENSD_INSE_IS9_EEEEjNS1_19radix_merge_compareILb0ELb0EjNS0_19identity_decomposerEEEEE10hipError_tT0_T1_T2_jT3_P12ihipStream_tbPNSt15iterator_traitsISN_E10value_typeEPNST_ISO_E10value_typeEPSP_NS1_7vsmem_tEENKUlT_SN_SO_SP_E_clISG_PjSI_PS9_EESM_S12_SN_SO_SP_EUlS12_E0_NS1_11comp_targetILNS1_3genE3ELNS1_11target_archE908ELNS1_3gpuE7ELNS1_3repE0EEENS1_38merge_mergepath_config_static_selectorELNS0_4arch9wavefront6targetE0EEEvSO_.kd
    .uniform_work_group_size: 1
    .uses_dynamic_stack: false
    .vgpr_count:     0
    .vgpr_spill_count: 0
    .wavefront_size: 32
    .workgroup_processor_mode: 1
  - .args:
      - .offset:         0
        .size:           64
        .value_kind:     by_value
    .group_segment_fixed_size: 0
    .kernarg_segment_align: 8
    .kernarg_segment_size: 64
    .language:       OpenCL C
    .language_version:
      - 2
      - 0
    .max_flat_workgroup_size: 256
    .name:           _ZN7rocprim17ROCPRIM_400000_NS6detail17trampoline_kernelINS0_14default_configENS1_38merge_sort_block_merge_config_selectorIjN6thrust23THRUST_200600_302600_NS5tupleIffNS6_9null_typeES8_S8_S8_S8_S8_S8_S8_EEEEZZNS1_27merge_sort_block_merge_implIS3_NS6_6detail15normal_iteratorINS6_10device_ptrIjEEEENSD_INSE_IS9_EEEEjNS1_19radix_merge_compareILb0ELb0EjNS0_19identity_decomposerEEEEE10hipError_tT0_T1_T2_jT3_P12ihipStream_tbPNSt15iterator_traitsISN_E10value_typeEPNST_ISO_E10value_typeEPSP_NS1_7vsmem_tEENKUlT_SN_SO_SP_E_clISG_PjSI_PS9_EESM_S12_SN_SO_SP_EUlS12_E0_NS1_11comp_targetILNS1_3genE2ELNS1_11target_archE906ELNS1_3gpuE6ELNS1_3repE0EEENS1_38merge_mergepath_config_static_selectorELNS0_4arch9wavefront6targetE0EEEvSO_
    .private_segment_fixed_size: 0
    .sgpr_count:     0
    .sgpr_spill_count: 0
    .symbol:         _ZN7rocprim17ROCPRIM_400000_NS6detail17trampoline_kernelINS0_14default_configENS1_38merge_sort_block_merge_config_selectorIjN6thrust23THRUST_200600_302600_NS5tupleIffNS6_9null_typeES8_S8_S8_S8_S8_S8_S8_EEEEZZNS1_27merge_sort_block_merge_implIS3_NS6_6detail15normal_iteratorINS6_10device_ptrIjEEEENSD_INSE_IS9_EEEEjNS1_19radix_merge_compareILb0ELb0EjNS0_19identity_decomposerEEEEE10hipError_tT0_T1_T2_jT3_P12ihipStream_tbPNSt15iterator_traitsISN_E10value_typeEPNST_ISO_E10value_typeEPSP_NS1_7vsmem_tEENKUlT_SN_SO_SP_E_clISG_PjSI_PS9_EESM_S12_SN_SO_SP_EUlS12_E0_NS1_11comp_targetILNS1_3genE2ELNS1_11target_archE906ELNS1_3gpuE6ELNS1_3repE0EEENS1_38merge_mergepath_config_static_selectorELNS0_4arch9wavefront6targetE0EEEvSO_.kd
    .uniform_work_group_size: 1
    .uses_dynamic_stack: false
    .vgpr_count:     0
    .vgpr_spill_count: 0
    .wavefront_size: 32
    .workgroup_processor_mode: 1
  - .args:
      - .offset:         0
        .size:           64
        .value_kind:     by_value
    .group_segment_fixed_size: 0
    .kernarg_segment_align: 8
    .kernarg_segment_size: 64
    .language:       OpenCL C
    .language_version:
      - 2
      - 0
    .max_flat_workgroup_size: 512
    .name:           _ZN7rocprim17ROCPRIM_400000_NS6detail17trampoline_kernelINS0_14default_configENS1_38merge_sort_block_merge_config_selectorIjN6thrust23THRUST_200600_302600_NS5tupleIffNS6_9null_typeES8_S8_S8_S8_S8_S8_S8_EEEEZZNS1_27merge_sort_block_merge_implIS3_NS6_6detail15normal_iteratorINS6_10device_ptrIjEEEENSD_INSE_IS9_EEEEjNS1_19radix_merge_compareILb0ELb0EjNS0_19identity_decomposerEEEEE10hipError_tT0_T1_T2_jT3_P12ihipStream_tbPNSt15iterator_traitsISN_E10value_typeEPNST_ISO_E10value_typeEPSP_NS1_7vsmem_tEENKUlT_SN_SO_SP_E_clISG_PjSI_PS9_EESM_S12_SN_SO_SP_EUlS12_E0_NS1_11comp_targetILNS1_3genE9ELNS1_11target_archE1100ELNS1_3gpuE3ELNS1_3repE0EEENS1_38merge_mergepath_config_static_selectorELNS0_4arch9wavefront6targetE0EEEvSO_
    .private_segment_fixed_size: 0
    .sgpr_count:     0
    .sgpr_spill_count: 0
    .symbol:         _ZN7rocprim17ROCPRIM_400000_NS6detail17trampoline_kernelINS0_14default_configENS1_38merge_sort_block_merge_config_selectorIjN6thrust23THRUST_200600_302600_NS5tupleIffNS6_9null_typeES8_S8_S8_S8_S8_S8_S8_EEEEZZNS1_27merge_sort_block_merge_implIS3_NS6_6detail15normal_iteratorINS6_10device_ptrIjEEEENSD_INSE_IS9_EEEEjNS1_19radix_merge_compareILb0ELb0EjNS0_19identity_decomposerEEEEE10hipError_tT0_T1_T2_jT3_P12ihipStream_tbPNSt15iterator_traitsISN_E10value_typeEPNST_ISO_E10value_typeEPSP_NS1_7vsmem_tEENKUlT_SN_SO_SP_E_clISG_PjSI_PS9_EESM_S12_SN_SO_SP_EUlS12_E0_NS1_11comp_targetILNS1_3genE9ELNS1_11target_archE1100ELNS1_3gpuE3ELNS1_3repE0EEENS1_38merge_mergepath_config_static_selectorELNS0_4arch9wavefront6targetE0EEEvSO_.kd
    .uniform_work_group_size: 1
    .uses_dynamic_stack: false
    .vgpr_count:     0
    .vgpr_spill_count: 0
    .wavefront_size: 32
    .workgroup_processor_mode: 1
  - .args:
      - .offset:         0
        .size:           64
        .value_kind:     by_value
    .group_segment_fixed_size: 0
    .kernarg_segment_align: 8
    .kernarg_segment_size: 64
    .language:       OpenCL C
    .language_version:
      - 2
      - 0
    .max_flat_workgroup_size: 1024
    .name:           _ZN7rocprim17ROCPRIM_400000_NS6detail17trampoline_kernelINS0_14default_configENS1_38merge_sort_block_merge_config_selectorIjN6thrust23THRUST_200600_302600_NS5tupleIffNS6_9null_typeES8_S8_S8_S8_S8_S8_S8_EEEEZZNS1_27merge_sort_block_merge_implIS3_NS6_6detail15normal_iteratorINS6_10device_ptrIjEEEENSD_INSE_IS9_EEEEjNS1_19radix_merge_compareILb0ELb0EjNS0_19identity_decomposerEEEEE10hipError_tT0_T1_T2_jT3_P12ihipStream_tbPNSt15iterator_traitsISN_E10value_typeEPNST_ISO_E10value_typeEPSP_NS1_7vsmem_tEENKUlT_SN_SO_SP_E_clISG_PjSI_PS9_EESM_S12_SN_SO_SP_EUlS12_E0_NS1_11comp_targetILNS1_3genE8ELNS1_11target_archE1030ELNS1_3gpuE2ELNS1_3repE0EEENS1_38merge_mergepath_config_static_selectorELNS0_4arch9wavefront6targetE0EEEvSO_
    .private_segment_fixed_size: 0
    .sgpr_count:     0
    .sgpr_spill_count: 0
    .symbol:         _ZN7rocprim17ROCPRIM_400000_NS6detail17trampoline_kernelINS0_14default_configENS1_38merge_sort_block_merge_config_selectorIjN6thrust23THRUST_200600_302600_NS5tupleIffNS6_9null_typeES8_S8_S8_S8_S8_S8_S8_EEEEZZNS1_27merge_sort_block_merge_implIS3_NS6_6detail15normal_iteratorINS6_10device_ptrIjEEEENSD_INSE_IS9_EEEEjNS1_19radix_merge_compareILb0ELb0EjNS0_19identity_decomposerEEEEE10hipError_tT0_T1_T2_jT3_P12ihipStream_tbPNSt15iterator_traitsISN_E10value_typeEPNST_ISO_E10value_typeEPSP_NS1_7vsmem_tEENKUlT_SN_SO_SP_E_clISG_PjSI_PS9_EESM_S12_SN_SO_SP_EUlS12_E0_NS1_11comp_targetILNS1_3genE8ELNS1_11target_archE1030ELNS1_3gpuE2ELNS1_3repE0EEENS1_38merge_mergepath_config_static_selectorELNS0_4arch9wavefront6targetE0EEEvSO_.kd
    .uniform_work_group_size: 1
    .uses_dynamic_stack: false
    .vgpr_count:     0
    .vgpr_spill_count: 0
    .wavefront_size: 32
    .workgroup_processor_mode: 1
  - .args:
      - .offset:         0
        .size:           48
        .value_kind:     by_value
    .group_segment_fixed_size: 0
    .kernarg_segment_align: 8
    .kernarg_segment_size: 48
    .language:       OpenCL C
    .language_version:
      - 2
      - 0
    .max_flat_workgroup_size: 256
    .name:           _ZN7rocprim17ROCPRIM_400000_NS6detail17trampoline_kernelINS0_14default_configENS1_38merge_sort_block_merge_config_selectorIjN6thrust23THRUST_200600_302600_NS5tupleIffNS6_9null_typeES8_S8_S8_S8_S8_S8_S8_EEEEZZNS1_27merge_sort_block_merge_implIS3_NS6_6detail15normal_iteratorINS6_10device_ptrIjEEEENSD_INSE_IS9_EEEEjNS1_19radix_merge_compareILb0ELb0EjNS0_19identity_decomposerEEEEE10hipError_tT0_T1_T2_jT3_P12ihipStream_tbPNSt15iterator_traitsISN_E10value_typeEPNST_ISO_E10value_typeEPSP_NS1_7vsmem_tEENKUlT_SN_SO_SP_E_clISG_PjSI_PS9_EESM_S12_SN_SO_SP_EUlS12_E1_NS1_11comp_targetILNS1_3genE0ELNS1_11target_archE4294967295ELNS1_3gpuE0ELNS1_3repE0EEENS1_36merge_oddeven_config_static_selectorELNS0_4arch9wavefront6targetE0EEEvSO_
    .private_segment_fixed_size: 0
    .sgpr_count:     0
    .sgpr_spill_count: 0
    .symbol:         _ZN7rocprim17ROCPRIM_400000_NS6detail17trampoline_kernelINS0_14default_configENS1_38merge_sort_block_merge_config_selectorIjN6thrust23THRUST_200600_302600_NS5tupleIffNS6_9null_typeES8_S8_S8_S8_S8_S8_S8_EEEEZZNS1_27merge_sort_block_merge_implIS3_NS6_6detail15normal_iteratorINS6_10device_ptrIjEEEENSD_INSE_IS9_EEEEjNS1_19radix_merge_compareILb0ELb0EjNS0_19identity_decomposerEEEEE10hipError_tT0_T1_T2_jT3_P12ihipStream_tbPNSt15iterator_traitsISN_E10value_typeEPNST_ISO_E10value_typeEPSP_NS1_7vsmem_tEENKUlT_SN_SO_SP_E_clISG_PjSI_PS9_EESM_S12_SN_SO_SP_EUlS12_E1_NS1_11comp_targetILNS1_3genE0ELNS1_11target_archE4294967295ELNS1_3gpuE0ELNS1_3repE0EEENS1_36merge_oddeven_config_static_selectorELNS0_4arch9wavefront6targetE0EEEvSO_.kd
    .uniform_work_group_size: 1
    .uses_dynamic_stack: false
    .vgpr_count:     0
    .vgpr_spill_count: 0
    .wavefront_size: 32
    .workgroup_processor_mode: 1
  - .args:
      - .offset:         0
        .size:           48
        .value_kind:     by_value
    .group_segment_fixed_size: 0
    .kernarg_segment_align: 8
    .kernarg_segment_size: 48
    .language:       OpenCL C
    .language_version:
      - 2
      - 0
    .max_flat_workgroup_size: 256
    .name:           _ZN7rocprim17ROCPRIM_400000_NS6detail17trampoline_kernelINS0_14default_configENS1_38merge_sort_block_merge_config_selectorIjN6thrust23THRUST_200600_302600_NS5tupleIffNS6_9null_typeES8_S8_S8_S8_S8_S8_S8_EEEEZZNS1_27merge_sort_block_merge_implIS3_NS6_6detail15normal_iteratorINS6_10device_ptrIjEEEENSD_INSE_IS9_EEEEjNS1_19radix_merge_compareILb0ELb0EjNS0_19identity_decomposerEEEEE10hipError_tT0_T1_T2_jT3_P12ihipStream_tbPNSt15iterator_traitsISN_E10value_typeEPNST_ISO_E10value_typeEPSP_NS1_7vsmem_tEENKUlT_SN_SO_SP_E_clISG_PjSI_PS9_EESM_S12_SN_SO_SP_EUlS12_E1_NS1_11comp_targetILNS1_3genE10ELNS1_11target_archE1201ELNS1_3gpuE5ELNS1_3repE0EEENS1_36merge_oddeven_config_static_selectorELNS0_4arch9wavefront6targetE0EEEvSO_
    .private_segment_fixed_size: 0
    .sgpr_count:     22
    .sgpr_spill_count: 0
    .symbol:         _ZN7rocprim17ROCPRIM_400000_NS6detail17trampoline_kernelINS0_14default_configENS1_38merge_sort_block_merge_config_selectorIjN6thrust23THRUST_200600_302600_NS5tupleIffNS6_9null_typeES8_S8_S8_S8_S8_S8_S8_EEEEZZNS1_27merge_sort_block_merge_implIS3_NS6_6detail15normal_iteratorINS6_10device_ptrIjEEEENSD_INSE_IS9_EEEEjNS1_19radix_merge_compareILb0ELb0EjNS0_19identity_decomposerEEEEE10hipError_tT0_T1_T2_jT3_P12ihipStream_tbPNSt15iterator_traitsISN_E10value_typeEPNST_ISO_E10value_typeEPSP_NS1_7vsmem_tEENKUlT_SN_SO_SP_E_clISG_PjSI_PS9_EESM_S12_SN_SO_SP_EUlS12_E1_NS1_11comp_targetILNS1_3genE10ELNS1_11target_archE1201ELNS1_3gpuE5ELNS1_3repE0EEENS1_36merge_oddeven_config_static_selectorELNS0_4arch9wavefront6targetE0EEEvSO_.kd
    .uniform_work_group_size: 1
    .uses_dynamic_stack: false
    .vgpr_count:     10
    .vgpr_spill_count: 0
    .wavefront_size: 32
    .workgroup_processor_mode: 1
  - .args:
      - .offset:         0
        .size:           48
        .value_kind:     by_value
    .group_segment_fixed_size: 0
    .kernarg_segment_align: 8
    .kernarg_segment_size: 48
    .language:       OpenCL C
    .language_version:
      - 2
      - 0
    .max_flat_workgroup_size: 256
    .name:           _ZN7rocprim17ROCPRIM_400000_NS6detail17trampoline_kernelINS0_14default_configENS1_38merge_sort_block_merge_config_selectorIjN6thrust23THRUST_200600_302600_NS5tupleIffNS6_9null_typeES8_S8_S8_S8_S8_S8_S8_EEEEZZNS1_27merge_sort_block_merge_implIS3_NS6_6detail15normal_iteratorINS6_10device_ptrIjEEEENSD_INSE_IS9_EEEEjNS1_19radix_merge_compareILb0ELb0EjNS0_19identity_decomposerEEEEE10hipError_tT0_T1_T2_jT3_P12ihipStream_tbPNSt15iterator_traitsISN_E10value_typeEPNST_ISO_E10value_typeEPSP_NS1_7vsmem_tEENKUlT_SN_SO_SP_E_clISG_PjSI_PS9_EESM_S12_SN_SO_SP_EUlS12_E1_NS1_11comp_targetILNS1_3genE5ELNS1_11target_archE942ELNS1_3gpuE9ELNS1_3repE0EEENS1_36merge_oddeven_config_static_selectorELNS0_4arch9wavefront6targetE0EEEvSO_
    .private_segment_fixed_size: 0
    .sgpr_count:     0
    .sgpr_spill_count: 0
    .symbol:         _ZN7rocprim17ROCPRIM_400000_NS6detail17trampoline_kernelINS0_14default_configENS1_38merge_sort_block_merge_config_selectorIjN6thrust23THRUST_200600_302600_NS5tupleIffNS6_9null_typeES8_S8_S8_S8_S8_S8_S8_EEEEZZNS1_27merge_sort_block_merge_implIS3_NS6_6detail15normal_iteratorINS6_10device_ptrIjEEEENSD_INSE_IS9_EEEEjNS1_19radix_merge_compareILb0ELb0EjNS0_19identity_decomposerEEEEE10hipError_tT0_T1_T2_jT3_P12ihipStream_tbPNSt15iterator_traitsISN_E10value_typeEPNST_ISO_E10value_typeEPSP_NS1_7vsmem_tEENKUlT_SN_SO_SP_E_clISG_PjSI_PS9_EESM_S12_SN_SO_SP_EUlS12_E1_NS1_11comp_targetILNS1_3genE5ELNS1_11target_archE942ELNS1_3gpuE9ELNS1_3repE0EEENS1_36merge_oddeven_config_static_selectorELNS0_4arch9wavefront6targetE0EEEvSO_.kd
    .uniform_work_group_size: 1
    .uses_dynamic_stack: false
    .vgpr_count:     0
    .vgpr_spill_count: 0
    .wavefront_size: 32
    .workgroup_processor_mode: 1
  - .args:
      - .offset:         0
        .size:           48
        .value_kind:     by_value
    .group_segment_fixed_size: 0
    .kernarg_segment_align: 8
    .kernarg_segment_size: 48
    .language:       OpenCL C
    .language_version:
      - 2
      - 0
    .max_flat_workgroup_size: 256
    .name:           _ZN7rocprim17ROCPRIM_400000_NS6detail17trampoline_kernelINS0_14default_configENS1_38merge_sort_block_merge_config_selectorIjN6thrust23THRUST_200600_302600_NS5tupleIffNS6_9null_typeES8_S8_S8_S8_S8_S8_S8_EEEEZZNS1_27merge_sort_block_merge_implIS3_NS6_6detail15normal_iteratorINS6_10device_ptrIjEEEENSD_INSE_IS9_EEEEjNS1_19radix_merge_compareILb0ELb0EjNS0_19identity_decomposerEEEEE10hipError_tT0_T1_T2_jT3_P12ihipStream_tbPNSt15iterator_traitsISN_E10value_typeEPNST_ISO_E10value_typeEPSP_NS1_7vsmem_tEENKUlT_SN_SO_SP_E_clISG_PjSI_PS9_EESM_S12_SN_SO_SP_EUlS12_E1_NS1_11comp_targetILNS1_3genE4ELNS1_11target_archE910ELNS1_3gpuE8ELNS1_3repE0EEENS1_36merge_oddeven_config_static_selectorELNS0_4arch9wavefront6targetE0EEEvSO_
    .private_segment_fixed_size: 0
    .sgpr_count:     0
    .sgpr_spill_count: 0
    .symbol:         _ZN7rocprim17ROCPRIM_400000_NS6detail17trampoline_kernelINS0_14default_configENS1_38merge_sort_block_merge_config_selectorIjN6thrust23THRUST_200600_302600_NS5tupleIffNS6_9null_typeES8_S8_S8_S8_S8_S8_S8_EEEEZZNS1_27merge_sort_block_merge_implIS3_NS6_6detail15normal_iteratorINS6_10device_ptrIjEEEENSD_INSE_IS9_EEEEjNS1_19radix_merge_compareILb0ELb0EjNS0_19identity_decomposerEEEEE10hipError_tT0_T1_T2_jT3_P12ihipStream_tbPNSt15iterator_traitsISN_E10value_typeEPNST_ISO_E10value_typeEPSP_NS1_7vsmem_tEENKUlT_SN_SO_SP_E_clISG_PjSI_PS9_EESM_S12_SN_SO_SP_EUlS12_E1_NS1_11comp_targetILNS1_3genE4ELNS1_11target_archE910ELNS1_3gpuE8ELNS1_3repE0EEENS1_36merge_oddeven_config_static_selectorELNS0_4arch9wavefront6targetE0EEEvSO_.kd
    .uniform_work_group_size: 1
    .uses_dynamic_stack: false
    .vgpr_count:     0
    .vgpr_spill_count: 0
    .wavefront_size: 32
    .workgroup_processor_mode: 1
  - .args:
      - .offset:         0
        .size:           48
        .value_kind:     by_value
    .group_segment_fixed_size: 0
    .kernarg_segment_align: 8
    .kernarg_segment_size: 48
    .language:       OpenCL C
    .language_version:
      - 2
      - 0
    .max_flat_workgroup_size: 256
    .name:           _ZN7rocprim17ROCPRIM_400000_NS6detail17trampoline_kernelINS0_14default_configENS1_38merge_sort_block_merge_config_selectorIjN6thrust23THRUST_200600_302600_NS5tupleIffNS6_9null_typeES8_S8_S8_S8_S8_S8_S8_EEEEZZNS1_27merge_sort_block_merge_implIS3_NS6_6detail15normal_iteratorINS6_10device_ptrIjEEEENSD_INSE_IS9_EEEEjNS1_19radix_merge_compareILb0ELb0EjNS0_19identity_decomposerEEEEE10hipError_tT0_T1_T2_jT3_P12ihipStream_tbPNSt15iterator_traitsISN_E10value_typeEPNST_ISO_E10value_typeEPSP_NS1_7vsmem_tEENKUlT_SN_SO_SP_E_clISG_PjSI_PS9_EESM_S12_SN_SO_SP_EUlS12_E1_NS1_11comp_targetILNS1_3genE3ELNS1_11target_archE908ELNS1_3gpuE7ELNS1_3repE0EEENS1_36merge_oddeven_config_static_selectorELNS0_4arch9wavefront6targetE0EEEvSO_
    .private_segment_fixed_size: 0
    .sgpr_count:     0
    .sgpr_spill_count: 0
    .symbol:         _ZN7rocprim17ROCPRIM_400000_NS6detail17trampoline_kernelINS0_14default_configENS1_38merge_sort_block_merge_config_selectorIjN6thrust23THRUST_200600_302600_NS5tupleIffNS6_9null_typeES8_S8_S8_S8_S8_S8_S8_EEEEZZNS1_27merge_sort_block_merge_implIS3_NS6_6detail15normal_iteratorINS6_10device_ptrIjEEEENSD_INSE_IS9_EEEEjNS1_19radix_merge_compareILb0ELb0EjNS0_19identity_decomposerEEEEE10hipError_tT0_T1_T2_jT3_P12ihipStream_tbPNSt15iterator_traitsISN_E10value_typeEPNST_ISO_E10value_typeEPSP_NS1_7vsmem_tEENKUlT_SN_SO_SP_E_clISG_PjSI_PS9_EESM_S12_SN_SO_SP_EUlS12_E1_NS1_11comp_targetILNS1_3genE3ELNS1_11target_archE908ELNS1_3gpuE7ELNS1_3repE0EEENS1_36merge_oddeven_config_static_selectorELNS0_4arch9wavefront6targetE0EEEvSO_.kd
    .uniform_work_group_size: 1
    .uses_dynamic_stack: false
    .vgpr_count:     0
    .vgpr_spill_count: 0
    .wavefront_size: 32
    .workgroup_processor_mode: 1
  - .args:
      - .offset:         0
        .size:           48
        .value_kind:     by_value
    .group_segment_fixed_size: 0
    .kernarg_segment_align: 8
    .kernarg_segment_size: 48
    .language:       OpenCL C
    .language_version:
      - 2
      - 0
    .max_flat_workgroup_size: 256
    .name:           _ZN7rocprim17ROCPRIM_400000_NS6detail17trampoline_kernelINS0_14default_configENS1_38merge_sort_block_merge_config_selectorIjN6thrust23THRUST_200600_302600_NS5tupleIffNS6_9null_typeES8_S8_S8_S8_S8_S8_S8_EEEEZZNS1_27merge_sort_block_merge_implIS3_NS6_6detail15normal_iteratorINS6_10device_ptrIjEEEENSD_INSE_IS9_EEEEjNS1_19radix_merge_compareILb0ELb0EjNS0_19identity_decomposerEEEEE10hipError_tT0_T1_T2_jT3_P12ihipStream_tbPNSt15iterator_traitsISN_E10value_typeEPNST_ISO_E10value_typeEPSP_NS1_7vsmem_tEENKUlT_SN_SO_SP_E_clISG_PjSI_PS9_EESM_S12_SN_SO_SP_EUlS12_E1_NS1_11comp_targetILNS1_3genE2ELNS1_11target_archE906ELNS1_3gpuE6ELNS1_3repE0EEENS1_36merge_oddeven_config_static_selectorELNS0_4arch9wavefront6targetE0EEEvSO_
    .private_segment_fixed_size: 0
    .sgpr_count:     0
    .sgpr_spill_count: 0
    .symbol:         _ZN7rocprim17ROCPRIM_400000_NS6detail17trampoline_kernelINS0_14default_configENS1_38merge_sort_block_merge_config_selectorIjN6thrust23THRUST_200600_302600_NS5tupleIffNS6_9null_typeES8_S8_S8_S8_S8_S8_S8_EEEEZZNS1_27merge_sort_block_merge_implIS3_NS6_6detail15normal_iteratorINS6_10device_ptrIjEEEENSD_INSE_IS9_EEEEjNS1_19radix_merge_compareILb0ELb0EjNS0_19identity_decomposerEEEEE10hipError_tT0_T1_T2_jT3_P12ihipStream_tbPNSt15iterator_traitsISN_E10value_typeEPNST_ISO_E10value_typeEPSP_NS1_7vsmem_tEENKUlT_SN_SO_SP_E_clISG_PjSI_PS9_EESM_S12_SN_SO_SP_EUlS12_E1_NS1_11comp_targetILNS1_3genE2ELNS1_11target_archE906ELNS1_3gpuE6ELNS1_3repE0EEENS1_36merge_oddeven_config_static_selectorELNS0_4arch9wavefront6targetE0EEEvSO_.kd
    .uniform_work_group_size: 1
    .uses_dynamic_stack: false
    .vgpr_count:     0
    .vgpr_spill_count: 0
    .wavefront_size: 32
    .workgroup_processor_mode: 1
  - .args:
      - .offset:         0
        .size:           48
        .value_kind:     by_value
    .group_segment_fixed_size: 0
    .kernarg_segment_align: 8
    .kernarg_segment_size: 48
    .language:       OpenCL C
    .language_version:
      - 2
      - 0
    .max_flat_workgroup_size: 256
    .name:           _ZN7rocprim17ROCPRIM_400000_NS6detail17trampoline_kernelINS0_14default_configENS1_38merge_sort_block_merge_config_selectorIjN6thrust23THRUST_200600_302600_NS5tupleIffNS6_9null_typeES8_S8_S8_S8_S8_S8_S8_EEEEZZNS1_27merge_sort_block_merge_implIS3_NS6_6detail15normal_iteratorINS6_10device_ptrIjEEEENSD_INSE_IS9_EEEEjNS1_19radix_merge_compareILb0ELb0EjNS0_19identity_decomposerEEEEE10hipError_tT0_T1_T2_jT3_P12ihipStream_tbPNSt15iterator_traitsISN_E10value_typeEPNST_ISO_E10value_typeEPSP_NS1_7vsmem_tEENKUlT_SN_SO_SP_E_clISG_PjSI_PS9_EESM_S12_SN_SO_SP_EUlS12_E1_NS1_11comp_targetILNS1_3genE9ELNS1_11target_archE1100ELNS1_3gpuE3ELNS1_3repE0EEENS1_36merge_oddeven_config_static_selectorELNS0_4arch9wavefront6targetE0EEEvSO_
    .private_segment_fixed_size: 0
    .sgpr_count:     0
    .sgpr_spill_count: 0
    .symbol:         _ZN7rocprim17ROCPRIM_400000_NS6detail17trampoline_kernelINS0_14default_configENS1_38merge_sort_block_merge_config_selectorIjN6thrust23THRUST_200600_302600_NS5tupleIffNS6_9null_typeES8_S8_S8_S8_S8_S8_S8_EEEEZZNS1_27merge_sort_block_merge_implIS3_NS6_6detail15normal_iteratorINS6_10device_ptrIjEEEENSD_INSE_IS9_EEEEjNS1_19radix_merge_compareILb0ELb0EjNS0_19identity_decomposerEEEEE10hipError_tT0_T1_T2_jT3_P12ihipStream_tbPNSt15iterator_traitsISN_E10value_typeEPNST_ISO_E10value_typeEPSP_NS1_7vsmem_tEENKUlT_SN_SO_SP_E_clISG_PjSI_PS9_EESM_S12_SN_SO_SP_EUlS12_E1_NS1_11comp_targetILNS1_3genE9ELNS1_11target_archE1100ELNS1_3gpuE3ELNS1_3repE0EEENS1_36merge_oddeven_config_static_selectorELNS0_4arch9wavefront6targetE0EEEvSO_.kd
    .uniform_work_group_size: 1
    .uses_dynamic_stack: false
    .vgpr_count:     0
    .vgpr_spill_count: 0
    .wavefront_size: 32
    .workgroup_processor_mode: 1
  - .args:
      - .offset:         0
        .size:           48
        .value_kind:     by_value
    .group_segment_fixed_size: 0
    .kernarg_segment_align: 8
    .kernarg_segment_size: 48
    .language:       OpenCL C
    .language_version:
      - 2
      - 0
    .max_flat_workgroup_size: 256
    .name:           _ZN7rocprim17ROCPRIM_400000_NS6detail17trampoline_kernelINS0_14default_configENS1_38merge_sort_block_merge_config_selectorIjN6thrust23THRUST_200600_302600_NS5tupleIffNS6_9null_typeES8_S8_S8_S8_S8_S8_S8_EEEEZZNS1_27merge_sort_block_merge_implIS3_NS6_6detail15normal_iteratorINS6_10device_ptrIjEEEENSD_INSE_IS9_EEEEjNS1_19radix_merge_compareILb0ELb0EjNS0_19identity_decomposerEEEEE10hipError_tT0_T1_T2_jT3_P12ihipStream_tbPNSt15iterator_traitsISN_E10value_typeEPNST_ISO_E10value_typeEPSP_NS1_7vsmem_tEENKUlT_SN_SO_SP_E_clISG_PjSI_PS9_EESM_S12_SN_SO_SP_EUlS12_E1_NS1_11comp_targetILNS1_3genE8ELNS1_11target_archE1030ELNS1_3gpuE2ELNS1_3repE0EEENS1_36merge_oddeven_config_static_selectorELNS0_4arch9wavefront6targetE0EEEvSO_
    .private_segment_fixed_size: 0
    .sgpr_count:     0
    .sgpr_spill_count: 0
    .symbol:         _ZN7rocprim17ROCPRIM_400000_NS6detail17trampoline_kernelINS0_14default_configENS1_38merge_sort_block_merge_config_selectorIjN6thrust23THRUST_200600_302600_NS5tupleIffNS6_9null_typeES8_S8_S8_S8_S8_S8_S8_EEEEZZNS1_27merge_sort_block_merge_implIS3_NS6_6detail15normal_iteratorINS6_10device_ptrIjEEEENSD_INSE_IS9_EEEEjNS1_19radix_merge_compareILb0ELb0EjNS0_19identity_decomposerEEEEE10hipError_tT0_T1_T2_jT3_P12ihipStream_tbPNSt15iterator_traitsISN_E10value_typeEPNST_ISO_E10value_typeEPSP_NS1_7vsmem_tEENKUlT_SN_SO_SP_E_clISG_PjSI_PS9_EESM_S12_SN_SO_SP_EUlS12_E1_NS1_11comp_targetILNS1_3genE8ELNS1_11target_archE1030ELNS1_3gpuE2ELNS1_3repE0EEENS1_36merge_oddeven_config_static_selectorELNS0_4arch9wavefront6targetE0EEEvSO_.kd
    .uniform_work_group_size: 1
    .uses_dynamic_stack: false
    .vgpr_count:     0
    .vgpr_spill_count: 0
    .wavefront_size: 32
    .workgroup_processor_mode: 1
  - .args:
      - .offset:         0
        .size:           40
        .value_kind:     by_value
    .group_segment_fixed_size: 0
    .kernarg_segment_align: 8
    .kernarg_segment_size: 40
    .language:       OpenCL C
    .language_version:
      - 2
      - 0
    .max_flat_workgroup_size: 128
    .name:           _ZN7rocprim17ROCPRIM_400000_NS6detail17trampoline_kernelINS0_14default_configENS1_25transform_config_selectorIjLb0EEEZNS1_14transform_implILb0ES3_S5_PjN6thrust23THRUST_200600_302600_NS6detail15normal_iteratorINS9_10device_ptrIjEEEENS0_8identityIjEEEE10hipError_tT2_T3_mT4_P12ihipStream_tbEUlT_E_NS1_11comp_targetILNS1_3genE0ELNS1_11target_archE4294967295ELNS1_3gpuE0ELNS1_3repE0EEENS1_30default_config_static_selectorELNS0_4arch9wavefront6targetE0EEEvT1_
    .private_segment_fixed_size: 0
    .sgpr_count:     0
    .sgpr_spill_count: 0
    .symbol:         _ZN7rocprim17ROCPRIM_400000_NS6detail17trampoline_kernelINS0_14default_configENS1_25transform_config_selectorIjLb0EEEZNS1_14transform_implILb0ES3_S5_PjN6thrust23THRUST_200600_302600_NS6detail15normal_iteratorINS9_10device_ptrIjEEEENS0_8identityIjEEEE10hipError_tT2_T3_mT4_P12ihipStream_tbEUlT_E_NS1_11comp_targetILNS1_3genE0ELNS1_11target_archE4294967295ELNS1_3gpuE0ELNS1_3repE0EEENS1_30default_config_static_selectorELNS0_4arch9wavefront6targetE0EEEvT1_.kd
    .uniform_work_group_size: 1
    .uses_dynamic_stack: false
    .vgpr_count:     0
    .vgpr_spill_count: 0
    .wavefront_size: 32
    .workgroup_processor_mode: 1
  - .args:
      - .offset:         0
        .size:           40
        .value_kind:     by_value
    .group_segment_fixed_size: 0
    .kernarg_segment_align: 8
    .kernarg_segment_size: 40
    .language:       OpenCL C
    .language_version:
      - 2
      - 0
    .max_flat_workgroup_size: 512
    .name:           _ZN7rocprim17ROCPRIM_400000_NS6detail17trampoline_kernelINS0_14default_configENS1_25transform_config_selectorIjLb0EEEZNS1_14transform_implILb0ES3_S5_PjN6thrust23THRUST_200600_302600_NS6detail15normal_iteratorINS9_10device_ptrIjEEEENS0_8identityIjEEEE10hipError_tT2_T3_mT4_P12ihipStream_tbEUlT_E_NS1_11comp_targetILNS1_3genE5ELNS1_11target_archE942ELNS1_3gpuE9ELNS1_3repE0EEENS1_30default_config_static_selectorELNS0_4arch9wavefront6targetE0EEEvT1_
    .private_segment_fixed_size: 0
    .sgpr_count:     0
    .sgpr_spill_count: 0
    .symbol:         _ZN7rocprim17ROCPRIM_400000_NS6detail17trampoline_kernelINS0_14default_configENS1_25transform_config_selectorIjLb0EEEZNS1_14transform_implILb0ES3_S5_PjN6thrust23THRUST_200600_302600_NS6detail15normal_iteratorINS9_10device_ptrIjEEEENS0_8identityIjEEEE10hipError_tT2_T3_mT4_P12ihipStream_tbEUlT_E_NS1_11comp_targetILNS1_3genE5ELNS1_11target_archE942ELNS1_3gpuE9ELNS1_3repE0EEENS1_30default_config_static_selectorELNS0_4arch9wavefront6targetE0EEEvT1_.kd
    .uniform_work_group_size: 1
    .uses_dynamic_stack: false
    .vgpr_count:     0
    .vgpr_spill_count: 0
    .wavefront_size: 32
    .workgroup_processor_mode: 1
  - .args:
      - .offset:         0
        .size:           40
        .value_kind:     by_value
    .group_segment_fixed_size: 0
    .kernarg_segment_align: 8
    .kernarg_segment_size: 40
    .language:       OpenCL C
    .language_version:
      - 2
      - 0
    .max_flat_workgroup_size: 1024
    .name:           _ZN7rocprim17ROCPRIM_400000_NS6detail17trampoline_kernelINS0_14default_configENS1_25transform_config_selectorIjLb0EEEZNS1_14transform_implILb0ES3_S5_PjN6thrust23THRUST_200600_302600_NS6detail15normal_iteratorINS9_10device_ptrIjEEEENS0_8identityIjEEEE10hipError_tT2_T3_mT4_P12ihipStream_tbEUlT_E_NS1_11comp_targetILNS1_3genE4ELNS1_11target_archE910ELNS1_3gpuE8ELNS1_3repE0EEENS1_30default_config_static_selectorELNS0_4arch9wavefront6targetE0EEEvT1_
    .private_segment_fixed_size: 0
    .sgpr_count:     0
    .sgpr_spill_count: 0
    .symbol:         _ZN7rocprim17ROCPRIM_400000_NS6detail17trampoline_kernelINS0_14default_configENS1_25transform_config_selectorIjLb0EEEZNS1_14transform_implILb0ES3_S5_PjN6thrust23THRUST_200600_302600_NS6detail15normal_iteratorINS9_10device_ptrIjEEEENS0_8identityIjEEEE10hipError_tT2_T3_mT4_P12ihipStream_tbEUlT_E_NS1_11comp_targetILNS1_3genE4ELNS1_11target_archE910ELNS1_3gpuE8ELNS1_3repE0EEENS1_30default_config_static_selectorELNS0_4arch9wavefront6targetE0EEEvT1_.kd
    .uniform_work_group_size: 1
    .uses_dynamic_stack: false
    .vgpr_count:     0
    .vgpr_spill_count: 0
    .wavefront_size: 32
    .workgroup_processor_mode: 1
  - .args:
      - .offset:         0
        .size:           40
        .value_kind:     by_value
    .group_segment_fixed_size: 0
    .kernarg_segment_align: 8
    .kernarg_segment_size: 40
    .language:       OpenCL C
    .language_version:
      - 2
      - 0
    .max_flat_workgroup_size: 128
    .name:           _ZN7rocprim17ROCPRIM_400000_NS6detail17trampoline_kernelINS0_14default_configENS1_25transform_config_selectorIjLb0EEEZNS1_14transform_implILb0ES3_S5_PjN6thrust23THRUST_200600_302600_NS6detail15normal_iteratorINS9_10device_ptrIjEEEENS0_8identityIjEEEE10hipError_tT2_T3_mT4_P12ihipStream_tbEUlT_E_NS1_11comp_targetILNS1_3genE3ELNS1_11target_archE908ELNS1_3gpuE7ELNS1_3repE0EEENS1_30default_config_static_selectorELNS0_4arch9wavefront6targetE0EEEvT1_
    .private_segment_fixed_size: 0
    .sgpr_count:     0
    .sgpr_spill_count: 0
    .symbol:         _ZN7rocprim17ROCPRIM_400000_NS6detail17trampoline_kernelINS0_14default_configENS1_25transform_config_selectorIjLb0EEEZNS1_14transform_implILb0ES3_S5_PjN6thrust23THRUST_200600_302600_NS6detail15normal_iteratorINS9_10device_ptrIjEEEENS0_8identityIjEEEE10hipError_tT2_T3_mT4_P12ihipStream_tbEUlT_E_NS1_11comp_targetILNS1_3genE3ELNS1_11target_archE908ELNS1_3gpuE7ELNS1_3repE0EEENS1_30default_config_static_selectorELNS0_4arch9wavefront6targetE0EEEvT1_.kd
    .uniform_work_group_size: 1
    .uses_dynamic_stack: false
    .vgpr_count:     0
    .vgpr_spill_count: 0
    .wavefront_size: 32
    .workgroup_processor_mode: 1
  - .args:
      - .offset:         0
        .size:           40
        .value_kind:     by_value
    .group_segment_fixed_size: 0
    .kernarg_segment_align: 8
    .kernarg_segment_size: 40
    .language:       OpenCL C
    .language_version:
      - 2
      - 0
    .max_flat_workgroup_size: 1024
    .name:           _ZN7rocprim17ROCPRIM_400000_NS6detail17trampoline_kernelINS0_14default_configENS1_25transform_config_selectorIjLb0EEEZNS1_14transform_implILb0ES3_S5_PjN6thrust23THRUST_200600_302600_NS6detail15normal_iteratorINS9_10device_ptrIjEEEENS0_8identityIjEEEE10hipError_tT2_T3_mT4_P12ihipStream_tbEUlT_E_NS1_11comp_targetILNS1_3genE2ELNS1_11target_archE906ELNS1_3gpuE6ELNS1_3repE0EEENS1_30default_config_static_selectorELNS0_4arch9wavefront6targetE0EEEvT1_
    .private_segment_fixed_size: 0
    .sgpr_count:     0
    .sgpr_spill_count: 0
    .symbol:         _ZN7rocprim17ROCPRIM_400000_NS6detail17trampoline_kernelINS0_14default_configENS1_25transform_config_selectorIjLb0EEEZNS1_14transform_implILb0ES3_S5_PjN6thrust23THRUST_200600_302600_NS6detail15normal_iteratorINS9_10device_ptrIjEEEENS0_8identityIjEEEE10hipError_tT2_T3_mT4_P12ihipStream_tbEUlT_E_NS1_11comp_targetILNS1_3genE2ELNS1_11target_archE906ELNS1_3gpuE6ELNS1_3repE0EEENS1_30default_config_static_selectorELNS0_4arch9wavefront6targetE0EEEvT1_.kd
    .uniform_work_group_size: 1
    .uses_dynamic_stack: false
    .vgpr_count:     0
    .vgpr_spill_count: 0
    .wavefront_size: 32
    .workgroup_processor_mode: 1
  - .args:
      - .offset:         0
        .size:           40
        .value_kind:     by_value
      - .offset:         40
        .size:           4
        .value_kind:     hidden_block_count_x
      - .offset:         44
        .size:           4
        .value_kind:     hidden_block_count_y
      - .offset:         48
        .size:           4
        .value_kind:     hidden_block_count_z
      - .offset:         52
        .size:           2
        .value_kind:     hidden_group_size_x
      - .offset:         54
        .size:           2
        .value_kind:     hidden_group_size_y
      - .offset:         56
        .size:           2
        .value_kind:     hidden_group_size_z
      - .offset:         58
        .size:           2
        .value_kind:     hidden_remainder_x
      - .offset:         60
        .size:           2
        .value_kind:     hidden_remainder_y
      - .offset:         62
        .size:           2
        .value_kind:     hidden_remainder_z
      - .offset:         80
        .size:           8
        .value_kind:     hidden_global_offset_x
      - .offset:         88
        .size:           8
        .value_kind:     hidden_global_offset_y
      - .offset:         96
        .size:           8
        .value_kind:     hidden_global_offset_z
      - .offset:         104
        .size:           2
        .value_kind:     hidden_grid_dims
    .group_segment_fixed_size: 0
    .kernarg_segment_align: 8
    .kernarg_segment_size: 296
    .language:       OpenCL C
    .language_version:
      - 2
      - 0
    .max_flat_workgroup_size: 1024
    .name:           _ZN7rocprim17ROCPRIM_400000_NS6detail17trampoline_kernelINS0_14default_configENS1_25transform_config_selectorIjLb0EEEZNS1_14transform_implILb0ES3_S5_PjN6thrust23THRUST_200600_302600_NS6detail15normal_iteratorINS9_10device_ptrIjEEEENS0_8identityIjEEEE10hipError_tT2_T3_mT4_P12ihipStream_tbEUlT_E_NS1_11comp_targetILNS1_3genE10ELNS1_11target_archE1201ELNS1_3gpuE5ELNS1_3repE0EEENS1_30default_config_static_selectorELNS0_4arch9wavefront6targetE0EEEvT1_
    .private_segment_fixed_size: 0
    .sgpr_count:     18
    .sgpr_spill_count: 0
    .symbol:         _ZN7rocprim17ROCPRIM_400000_NS6detail17trampoline_kernelINS0_14default_configENS1_25transform_config_selectorIjLb0EEEZNS1_14transform_implILb0ES3_S5_PjN6thrust23THRUST_200600_302600_NS6detail15normal_iteratorINS9_10device_ptrIjEEEENS0_8identityIjEEEE10hipError_tT2_T3_mT4_P12ihipStream_tbEUlT_E_NS1_11comp_targetILNS1_3genE10ELNS1_11target_archE1201ELNS1_3gpuE5ELNS1_3repE0EEENS1_30default_config_static_selectorELNS0_4arch9wavefront6targetE0EEEvT1_.kd
    .uniform_work_group_size: 1
    .uses_dynamic_stack: false
    .vgpr_count:     8
    .vgpr_spill_count: 0
    .wavefront_size: 32
    .workgroup_processor_mode: 1
  - .args:
      - .offset:         0
        .size:           40
        .value_kind:     by_value
    .group_segment_fixed_size: 0
    .kernarg_segment_align: 8
    .kernarg_segment_size: 40
    .language:       OpenCL C
    .language_version:
      - 2
      - 0
    .max_flat_workgroup_size: 512
    .name:           _ZN7rocprim17ROCPRIM_400000_NS6detail17trampoline_kernelINS0_14default_configENS1_25transform_config_selectorIjLb0EEEZNS1_14transform_implILb0ES3_S5_PjN6thrust23THRUST_200600_302600_NS6detail15normal_iteratorINS9_10device_ptrIjEEEENS0_8identityIjEEEE10hipError_tT2_T3_mT4_P12ihipStream_tbEUlT_E_NS1_11comp_targetILNS1_3genE10ELNS1_11target_archE1200ELNS1_3gpuE4ELNS1_3repE0EEENS1_30default_config_static_selectorELNS0_4arch9wavefront6targetE0EEEvT1_
    .private_segment_fixed_size: 0
    .sgpr_count:     0
    .sgpr_spill_count: 0
    .symbol:         _ZN7rocprim17ROCPRIM_400000_NS6detail17trampoline_kernelINS0_14default_configENS1_25transform_config_selectorIjLb0EEEZNS1_14transform_implILb0ES3_S5_PjN6thrust23THRUST_200600_302600_NS6detail15normal_iteratorINS9_10device_ptrIjEEEENS0_8identityIjEEEE10hipError_tT2_T3_mT4_P12ihipStream_tbEUlT_E_NS1_11comp_targetILNS1_3genE10ELNS1_11target_archE1200ELNS1_3gpuE4ELNS1_3repE0EEENS1_30default_config_static_selectorELNS0_4arch9wavefront6targetE0EEEvT1_.kd
    .uniform_work_group_size: 1
    .uses_dynamic_stack: false
    .vgpr_count:     0
    .vgpr_spill_count: 0
    .wavefront_size: 32
    .workgroup_processor_mode: 1
  - .args:
      - .offset:         0
        .size:           40
        .value_kind:     by_value
    .group_segment_fixed_size: 0
    .kernarg_segment_align: 8
    .kernarg_segment_size: 40
    .language:       OpenCL C
    .language_version:
      - 2
      - 0
    .max_flat_workgroup_size: 64
    .name:           _ZN7rocprim17ROCPRIM_400000_NS6detail17trampoline_kernelINS0_14default_configENS1_25transform_config_selectorIjLb0EEEZNS1_14transform_implILb0ES3_S5_PjN6thrust23THRUST_200600_302600_NS6detail15normal_iteratorINS9_10device_ptrIjEEEENS0_8identityIjEEEE10hipError_tT2_T3_mT4_P12ihipStream_tbEUlT_E_NS1_11comp_targetILNS1_3genE9ELNS1_11target_archE1100ELNS1_3gpuE3ELNS1_3repE0EEENS1_30default_config_static_selectorELNS0_4arch9wavefront6targetE0EEEvT1_
    .private_segment_fixed_size: 0
    .sgpr_count:     0
    .sgpr_spill_count: 0
    .symbol:         _ZN7rocprim17ROCPRIM_400000_NS6detail17trampoline_kernelINS0_14default_configENS1_25transform_config_selectorIjLb0EEEZNS1_14transform_implILb0ES3_S5_PjN6thrust23THRUST_200600_302600_NS6detail15normal_iteratorINS9_10device_ptrIjEEEENS0_8identityIjEEEE10hipError_tT2_T3_mT4_P12ihipStream_tbEUlT_E_NS1_11comp_targetILNS1_3genE9ELNS1_11target_archE1100ELNS1_3gpuE3ELNS1_3repE0EEENS1_30default_config_static_selectorELNS0_4arch9wavefront6targetE0EEEvT1_.kd
    .uniform_work_group_size: 1
    .uses_dynamic_stack: false
    .vgpr_count:     0
    .vgpr_spill_count: 0
    .wavefront_size: 32
    .workgroup_processor_mode: 1
  - .args:
      - .offset:         0
        .size:           40
        .value_kind:     by_value
    .group_segment_fixed_size: 0
    .kernarg_segment_align: 8
    .kernarg_segment_size: 40
    .language:       OpenCL C
    .language_version:
      - 2
      - 0
    .max_flat_workgroup_size: 256
    .name:           _ZN7rocprim17ROCPRIM_400000_NS6detail17trampoline_kernelINS0_14default_configENS1_25transform_config_selectorIjLb0EEEZNS1_14transform_implILb0ES3_S5_PjN6thrust23THRUST_200600_302600_NS6detail15normal_iteratorINS9_10device_ptrIjEEEENS0_8identityIjEEEE10hipError_tT2_T3_mT4_P12ihipStream_tbEUlT_E_NS1_11comp_targetILNS1_3genE8ELNS1_11target_archE1030ELNS1_3gpuE2ELNS1_3repE0EEENS1_30default_config_static_selectorELNS0_4arch9wavefront6targetE0EEEvT1_
    .private_segment_fixed_size: 0
    .sgpr_count:     0
    .sgpr_spill_count: 0
    .symbol:         _ZN7rocprim17ROCPRIM_400000_NS6detail17trampoline_kernelINS0_14default_configENS1_25transform_config_selectorIjLb0EEEZNS1_14transform_implILb0ES3_S5_PjN6thrust23THRUST_200600_302600_NS6detail15normal_iteratorINS9_10device_ptrIjEEEENS0_8identityIjEEEE10hipError_tT2_T3_mT4_P12ihipStream_tbEUlT_E_NS1_11comp_targetILNS1_3genE8ELNS1_11target_archE1030ELNS1_3gpuE2ELNS1_3repE0EEENS1_30default_config_static_selectorELNS0_4arch9wavefront6targetE0EEEvT1_.kd
    .uniform_work_group_size: 1
    .uses_dynamic_stack: false
    .vgpr_count:     0
    .vgpr_spill_count: 0
    .wavefront_size: 32
    .workgroup_processor_mode: 1
  - .args:
      - .offset:         0
        .size:           40
        .value_kind:     by_value
    .group_segment_fixed_size: 0
    .kernarg_segment_align: 8
    .kernarg_segment_size: 40
    .language:       OpenCL C
    .language_version:
      - 2
      - 0
    .max_flat_workgroup_size: 128
    .name:           _ZN7rocprim17ROCPRIM_400000_NS6detail17trampoline_kernelINS0_14default_configENS1_25transform_config_selectorIN6thrust23THRUST_200600_302600_NS5tupleIffNS6_9null_typeES8_S8_S8_S8_S8_S8_S8_EELb0EEEZNS1_14transform_implILb0ES3_SA_PS9_NS6_6detail15normal_iteratorINS6_10device_ptrIS9_EEEENS0_8identityIS9_EEEE10hipError_tT2_T3_mT4_P12ihipStream_tbEUlT_E_NS1_11comp_targetILNS1_3genE0ELNS1_11target_archE4294967295ELNS1_3gpuE0ELNS1_3repE0EEENS1_30default_config_static_selectorELNS0_4arch9wavefront6targetE0EEEvT1_
    .private_segment_fixed_size: 0
    .sgpr_count:     0
    .sgpr_spill_count: 0
    .symbol:         _ZN7rocprim17ROCPRIM_400000_NS6detail17trampoline_kernelINS0_14default_configENS1_25transform_config_selectorIN6thrust23THRUST_200600_302600_NS5tupleIffNS6_9null_typeES8_S8_S8_S8_S8_S8_S8_EELb0EEEZNS1_14transform_implILb0ES3_SA_PS9_NS6_6detail15normal_iteratorINS6_10device_ptrIS9_EEEENS0_8identityIS9_EEEE10hipError_tT2_T3_mT4_P12ihipStream_tbEUlT_E_NS1_11comp_targetILNS1_3genE0ELNS1_11target_archE4294967295ELNS1_3gpuE0ELNS1_3repE0EEENS1_30default_config_static_selectorELNS0_4arch9wavefront6targetE0EEEvT1_.kd
    .uniform_work_group_size: 1
    .uses_dynamic_stack: false
    .vgpr_count:     0
    .vgpr_spill_count: 0
    .wavefront_size: 32
    .workgroup_processor_mode: 1
  - .args:
      - .offset:         0
        .size:           40
        .value_kind:     by_value
    .group_segment_fixed_size: 0
    .kernarg_segment_align: 8
    .kernarg_segment_size: 40
    .language:       OpenCL C
    .language_version:
      - 2
      - 0
    .max_flat_workgroup_size: 512
    .name:           _ZN7rocprim17ROCPRIM_400000_NS6detail17trampoline_kernelINS0_14default_configENS1_25transform_config_selectorIN6thrust23THRUST_200600_302600_NS5tupleIffNS6_9null_typeES8_S8_S8_S8_S8_S8_S8_EELb0EEEZNS1_14transform_implILb0ES3_SA_PS9_NS6_6detail15normal_iteratorINS6_10device_ptrIS9_EEEENS0_8identityIS9_EEEE10hipError_tT2_T3_mT4_P12ihipStream_tbEUlT_E_NS1_11comp_targetILNS1_3genE5ELNS1_11target_archE942ELNS1_3gpuE9ELNS1_3repE0EEENS1_30default_config_static_selectorELNS0_4arch9wavefront6targetE0EEEvT1_
    .private_segment_fixed_size: 0
    .sgpr_count:     0
    .sgpr_spill_count: 0
    .symbol:         _ZN7rocprim17ROCPRIM_400000_NS6detail17trampoline_kernelINS0_14default_configENS1_25transform_config_selectorIN6thrust23THRUST_200600_302600_NS5tupleIffNS6_9null_typeES8_S8_S8_S8_S8_S8_S8_EELb0EEEZNS1_14transform_implILb0ES3_SA_PS9_NS6_6detail15normal_iteratorINS6_10device_ptrIS9_EEEENS0_8identityIS9_EEEE10hipError_tT2_T3_mT4_P12ihipStream_tbEUlT_E_NS1_11comp_targetILNS1_3genE5ELNS1_11target_archE942ELNS1_3gpuE9ELNS1_3repE0EEENS1_30default_config_static_selectorELNS0_4arch9wavefront6targetE0EEEvT1_.kd
    .uniform_work_group_size: 1
    .uses_dynamic_stack: false
    .vgpr_count:     0
    .vgpr_spill_count: 0
    .wavefront_size: 32
    .workgroup_processor_mode: 1
  - .args:
      - .offset:         0
        .size:           40
        .value_kind:     by_value
    .group_segment_fixed_size: 0
    .kernarg_segment_align: 8
    .kernarg_segment_size: 40
    .language:       OpenCL C
    .language_version:
      - 2
      - 0
    .max_flat_workgroup_size: 256
    .name:           _ZN7rocprim17ROCPRIM_400000_NS6detail17trampoline_kernelINS0_14default_configENS1_25transform_config_selectorIN6thrust23THRUST_200600_302600_NS5tupleIffNS6_9null_typeES8_S8_S8_S8_S8_S8_S8_EELb0EEEZNS1_14transform_implILb0ES3_SA_PS9_NS6_6detail15normal_iteratorINS6_10device_ptrIS9_EEEENS0_8identityIS9_EEEE10hipError_tT2_T3_mT4_P12ihipStream_tbEUlT_E_NS1_11comp_targetILNS1_3genE4ELNS1_11target_archE910ELNS1_3gpuE8ELNS1_3repE0EEENS1_30default_config_static_selectorELNS0_4arch9wavefront6targetE0EEEvT1_
    .private_segment_fixed_size: 0
    .sgpr_count:     0
    .sgpr_spill_count: 0
    .symbol:         _ZN7rocprim17ROCPRIM_400000_NS6detail17trampoline_kernelINS0_14default_configENS1_25transform_config_selectorIN6thrust23THRUST_200600_302600_NS5tupleIffNS6_9null_typeES8_S8_S8_S8_S8_S8_S8_EELb0EEEZNS1_14transform_implILb0ES3_SA_PS9_NS6_6detail15normal_iteratorINS6_10device_ptrIS9_EEEENS0_8identityIS9_EEEE10hipError_tT2_T3_mT4_P12ihipStream_tbEUlT_E_NS1_11comp_targetILNS1_3genE4ELNS1_11target_archE910ELNS1_3gpuE8ELNS1_3repE0EEENS1_30default_config_static_selectorELNS0_4arch9wavefront6targetE0EEEvT1_.kd
    .uniform_work_group_size: 1
    .uses_dynamic_stack: false
    .vgpr_count:     0
    .vgpr_spill_count: 0
    .wavefront_size: 32
    .workgroup_processor_mode: 1
  - .args:
      - .offset:         0
        .size:           40
        .value_kind:     by_value
    .group_segment_fixed_size: 0
    .kernarg_segment_align: 8
    .kernarg_segment_size: 40
    .language:       OpenCL C
    .language_version:
      - 2
      - 0
    .max_flat_workgroup_size: 128
    .name:           _ZN7rocprim17ROCPRIM_400000_NS6detail17trampoline_kernelINS0_14default_configENS1_25transform_config_selectorIN6thrust23THRUST_200600_302600_NS5tupleIffNS6_9null_typeES8_S8_S8_S8_S8_S8_S8_EELb0EEEZNS1_14transform_implILb0ES3_SA_PS9_NS6_6detail15normal_iteratorINS6_10device_ptrIS9_EEEENS0_8identityIS9_EEEE10hipError_tT2_T3_mT4_P12ihipStream_tbEUlT_E_NS1_11comp_targetILNS1_3genE3ELNS1_11target_archE908ELNS1_3gpuE7ELNS1_3repE0EEENS1_30default_config_static_selectorELNS0_4arch9wavefront6targetE0EEEvT1_
    .private_segment_fixed_size: 0
    .sgpr_count:     0
    .sgpr_spill_count: 0
    .symbol:         _ZN7rocprim17ROCPRIM_400000_NS6detail17trampoline_kernelINS0_14default_configENS1_25transform_config_selectorIN6thrust23THRUST_200600_302600_NS5tupleIffNS6_9null_typeES8_S8_S8_S8_S8_S8_S8_EELb0EEEZNS1_14transform_implILb0ES3_SA_PS9_NS6_6detail15normal_iteratorINS6_10device_ptrIS9_EEEENS0_8identityIS9_EEEE10hipError_tT2_T3_mT4_P12ihipStream_tbEUlT_E_NS1_11comp_targetILNS1_3genE3ELNS1_11target_archE908ELNS1_3gpuE7ELNS1_3repE0EEENS1_30default_config_static_selectorELNS0_4arch9wavefront6targetE0EEEvT1_.kd
    .uniform_work_group_size: 1
    .uses_dynamic_stack: false
    .vgpr_count:     0
    .vgpr_spill_count: 0
    .wavefront_size: 32
    .workgroup_processor_mode: 1
  - .args:
      - .offset:         0
        .size:           40
        .value_kind:     by_value
    .group_segment_fixed_size: 0
    .kernarg_segment_align: 8
    .kernarg_segment_size: 40
    .language:       OpenCL C
    .language_version:
      - 2
      - 0
    .max_flat_workgroup_size: 512
    .name:           _ZN7rocprim17ROCPRIM_400000_NS6detail17trampoline_kernelINS0_14default_configENS1_25transform_config_selectorIN6thrust23THRUST_200600_302600_NS5tupleIffNS6_9null_typeES8_S8_S8_S8_S8_S8_S8_EELb0EEEZNS1_14transform_implILb0ES3_SA_PS9_NS6_6detail15normal_iteratorINS6_10device_ptrIS9_EEEENS0_8identityIS9_EEEE10hipError_tT2_T3_mT4_P12ihipStream_tbEUlT_E_NS1_11comp_targetILNS1_3genE2ELNS1_11target_archE906ELNS1_3gpuE6ELNS1_3repE0EEENS1_30default_config_static_selectorELNS0_4arch9wavefront6targetE0EEEvT1_
    .private_segment_fixed_size: 0
    .sgpr_count:     0
    .sgpr_spill_count: 0
    .symbol:         _ZN7rocprim17ROCPRIM_400000_NS6detail17trampoline_kernelINS0_14default_configENS1_25transform_config_selectorIN6thrust23THRUST_200600_302600_NS5tupleIffNS6_9null_typeES8_S8_S8_S8_S8_S8_S8_EELb0EEEZNS1_14transform_implILb0ES3_SA_PS9_NS6_6detail15normal_iteratorINS6_10device_ptrIS9_EEEENS0_8identityIS9_EEEE10hipError_tT2_T3_mT4_P12ihipStream_tbEUlT_E_NS1_11comp_targetILNS1_3genE2ELNS1_11target_archE906ELNS1_3gpuE6ELNS1_3repE0EEENS1_30default_config_static_selectorELNS0_4arch9wavefront6targetE0EEEvT1_.kd
    .uniform_work_group_size: 1
    .uses_dynamic_stack: false
    .vgpr_count:     0
    .vgpr_spill_count: 0
    .wavefront_size: 32
    .workgroup_processor_mode: 1
  - .args:
      - .offset:         0
        .size:           40
        .value_kind:     by_value
      - .offset:         40
        .size:           4
        .value_kind:     hidden_block_count_x
      - .offset:         44
        .size:           4
        .value_kind:     hidden_block_count_y
      - .offset:         48
        .size:           4
        .value_kind:     hidden_block_count_z
      - .offset:         52
        .size:           2
        .value_kind:     hidden_group_size_x
      - .offset:         54
        .size:           2
        .value_kind:     hidden_group_size_y
      - .offset:         56
        .size:           2
        .value_kind:     hidden_group_size_z
      - .offset:         58
        .size:           2
        .value_kind:     hidden_remainder_x
      - .offset:         60
        .size:           2
        .value_kind:     hidden_remainder_y
      - .offset:         62
        .size:           2
        .value_kind:     hidden_remainder_z
      - .offset:         80
        .size:           8
        .value_kind:     hidden_global_offset_x
      - .offset:         88
        .size:           8
        .value_kind:     hidden_global_offset_y
      - .offset:         96
        .size:           8
        .value_kind:     hidden_global_offset_z
      - .offset:         104
        .size:           2
        .value_kind:     hidden_grid_dims
    .group_segment_fixed_size: 0
    .kernarg_segment_align: 8
    .kernarg_segment_size: 296
    .language:       OpenCL C
    .language_version:
      - 2
      - 0
    .max_flat_workgroup_size: 1024
    .name:           _ZN7rocprim17ROCPRIM_400000_NS6detail17trampoline_kernelINS0_14default_configENS1_25transform_config_selectorIN6thrust23THRUST_200600_302600_NS5tupleIffNS6_9null_typeES8_S8_S8_S8_S8_S8_S8_EELb0EEEZNS1_14transform_implILb0ES3_SA_PS9_NS6_6detail15normal_iteratorINS6_10device_ptrIS9_EEEENS0_8identityIS9_EEEE10hipError_tT2_T3_mT4_P12ihipStream_tbEUlT_E_NS1_11comp_targetILNS1_3genE10ELNS1_11target_archE1201ELNS1_3gpuE5ELNS1_3repE0EEENS1_30default_config_static_selectorELNS0_4arch9wavefront6targetE0EEEvT1_
    .private_segment_fixed_size: 0
    .sgpr_count:     15
    .sgpr_spill_count: 0
    .symbol:         _ZN7rocprim17ROCPRIM_400000_NS6detail17trampoline_kernelINS0_14default_configENS1_25transform_config_selectorIN6thrust23THRUST_200600_302600_NS5tupleIffNS6_9null_typeES8_S8_S8_S8_S8_S8_S8_EELb0EEEZNS1_14transform_implILb0ES3_SA_PS9_NS6_6detail15normal_iteratorINS6_10device_ptrIS9_EEEENS0_8identityIS9_EEEE10hipError_tT2_T3_mT4_P12ihipStream_tbEUlT_E_NS1_11comp_targetILNS1_3genE10ELNS1_11target_archE1201ELNS1_3gpuE5ELNS1_3repE0EEENS1_30default_config_static_selectorELNS0_4arch9wavefront6targetE0EEEvT1_.kd
    .uniform_work_group_size: 1
    .uses_dynamic_stack: false
    .vgpr_count:     8
    .vgpr_spill_count: 0
    .wavefront_size: 32
    .workgroup_processor_mode: 1
  - .args:
      - .offset:         0
        .size:           40
        .value_kind:     by_value
    .group_segment_fixed_size: 0
    .kernarg_segment_align: 8
    .kernarg_segment_size: 40
    .language:       OpenCL C
    .language_version:
      - 2
      - 0
    .max_flat_workgroup_size: 512
    .name:           _ZN7rocprim17ROCPRIM_400000_NS6detail17trampoline_kernelINS0_14default_configENS1_25transform_config_selectorIN6thrust23THRUST_200600_302600_NS5tupleIffNS6_9null_typeES8_S8_S8_S8_S8_S8_S8_EELb0EEEZNS1_14transform_implILb0ES3_SA_PS9_NS6_6detail15normal_iteratorINS6_10device_ptrIS9_EEEENS0_8identityIS9_EEEE10hipError_tT2_T3_mT4_P12ihipStream_tbEUlT_E_NS1_11comp_targetILNS1_3genE10ELNS1_11target_archE1200ELNS1_3gpuE4ELNS1_3repE0EEENS1_30default_config_static_selectorELNS0_4arch9wavefront6targetE0EEEvT1_
    .private_segment_fixed_size: 0
    .sgpr_count:     0
    .sgpr_spill_count: 0
    .symbol:         _ZN7rocprim17ROCPRIM_400000_NS6detail17trampoline_kernelINS0_14default_configENS1_25transform_config_selectorIN6thrust23THRUST_200600_302600_NS5tupleIffNS6_9null_typeES8_S8_S8_S8_S8_S8_S8_EELb0EEEZNS1_14transform_implILb0ES3_SA_PS9_NS6_6detail15normal_iteratorINS6_10device_ptrIS9_EEEENS0_8identityIS9_EEEE10hipError_tT2_T3_mT4_P12ihipStream_tbEUlT_E_NS1_11comp_targetILNS1_3genE10ELNS1_11target_archE1200ELNS1_3gpuE4ELNS1_3repE0EEENS1_30default_config_static_selectorELNS0_4arch9wavefront6targetE0EEEvT1_.kd
    .uniform_work_group_size: 1
    .uses_dynamic_stack: false
    .vgpr_count:     0
    .vgpr_spill_count: 0
    .wavefront_size: 32
    .workgroup_processor_mode: 1
  - .args:
      - .offset:         0
        .size:           40
        .value_kind:     by_value
    .group_segment_fixed_size: 0
    .kernarg_segment_align: 8
    .kernarg_segment_size: 40
    .language:       OpenCL C
    .language_version:
      - 2
      - 0
    .max_flat_workgroup_size: 512
    .name:           _ZN7rocprim17ROCPRIM_400000_NS6detail17trampoline_kernelINS0_14default_configENS1_25transform_config_selectorIN6thrust23THRUST_200600_302600_NS5tupleIffNS6_9null_typeES8_S8_S8_S8_S8_S8_S8_EELb0EEEZNS1_14transform_implILb0ES3_SA_PS9_NS6_6detail15normal_iteratorINS6_10device_ptrIS9_EEEENS0_8identityIS9_EEEE10hipError_tT2_T3_mT4_P12ihipStream_tbEUlT_E_NS1_11comp_targetILNS1_3genE9ELNS1_11target_archE1100ELNS1_3gpuE3ELNS1_3repE0EEENS1_30default_config_static_selectorELNS0_4arch9wavefront6targetE0EEEvT1_
    .private_segment_fixed_size: 0
    .sgpr_count:     0
    .sgpr_spill_count: 0
    .symbol:         _ZN7rocprim17ROCPRIM_400000_NS6detail17trampoline_kernelINS0_14default_configENS1_25transform_config_selectorIN6thrust23THRUST_200600_302600_NS5tupleIffNS6_9null_typeES8_S8_S8_S8_S8_S8_S8_EELb0EEEZNS1_14transform_implILb0ES3_SA_PS9_NS6_6detail15normal_iteratorINS6_10device_ptrIS9_EEEENS0_8identityIS9_EEEE10hipError_tT2_T3_mT4_P12ihipStream_tbEUlT_E_NS1_11comp_targetILNS1_3genE9ELNS1_11target_archE1100ELNS1_3gpuE3ELNS1_3repE0EEENS1_30default_config_static_selectorELNS0_4arch9wavefront6targetE0EEEvT1_.kd
    .uniform_work_group_size: 1
    .uses_dynamic_stack: false
    .vgpr_count:     0
    .vgpr_spill_count: 0
    .wavefront_size: 32
    .workgroup_processor_mode: 1
  - .args:
      - .offset:         0
        .size:           40
        .value_kind:     by_value
    .group_segment_fixed_size: 0
    .kernarg_segment_align: 8
    .kernarg_segment_size: 40
    .language:       OpenCL C
    .language_version:
      - 2
      - 0
    .max_flat_workgroup_size: 512
    .name:           _ZN7rocprim17ROCPRIM_400000_NS6detail17trampoline_kernelINS0_14default_configENS1_25transform_config_selectorIN6thrust23THRUST_200600_302600_NS5tupleIffNS6_9null_typeES8_S8_S8_S8_S8_S8_S8_EELb0EEEZNS1_14transform_implILb0ES3_SA_PS9_NS6_6detail15normal_iteratorINS6_10device_ptrIS9_EEEENS0_8identityIS9_EEEE10hipError_tT2_T3_mT4_P12ihipStream_tbEUlT_E_NS1_11comp_targetILNS1_3genE8ELNS1_11target_archE1030ELNS1_3gpuE2ELNS1_3repE0EEENS1_30default_config_static_selectorELNS0_4arch9wavefront6targetE0EEEvT1_
    .private_segment_fixed_size: 0
    .sgpr_count:     0
    .sgpr_spill_count: 0
    .symbol:         _ZN7rocprim17ROCPRIM_400000_NS6detail17trampoline_kernelINS0_14default_configENS1_25transform_config_selectorIN6thrust23THRUST_200600_302600_NS5tupleIffNS6_9null_typeES8_S8_S8_S8_S8_S8_S8_EELb0EEEZNS1_14transform_implILb0ES3_SA_PS9_NS6_6detail15normal_iteratorINS6_10device_ptrIS9_EEEENS0_8identityIS9_EEEE10hipError_tT2_T3_mT4_P12ihipStream_tbEUlT_E_NS1_11comp_targetILNS1_3genE8ELNS1_11target_archE1030ELNS1_3gpuE2ELNS1_3repE0EEENS1_30default_config_static_selectorELNS0_4arch9wavefront6targetE0EEEvT1_.kd
    .uniform_work_group_size: 1
    .uses_dynamic_stack: false
    .vgpr_count:     0
    .vgpr_spill_count: 0
    .wavefront_size: 32
    .workgroup_processor_mode: 1
  - .args:
      - .offset:         0
        .size:           40
        .value_kind:     by_value
    .group_segment_fixed_size: 0
    .kernarg_segment_align: 8
    .kernarg_segment_size: 40
    .language:       OpenCL C
    .language_version:
      - 2
      - 0
    .max_flat_workgroup_size: 128
    .name:           _ZN7rocprim17ROCPRIM_400000_NS6detail17trampoline_kernelINS0_14default_configENS1_38merge_sort_block_merge_config_selectorIjN6thrust23THRUST_200600_302600_NS5tupleIffNS6_9null_typeES8_S8_S8_S8_S8_S8_S8_EEEEZZNS1_27merge_sort_block_merge_implIS3_NS6_6detail15normal_iteratorINS6_10device_ptrIjEEEENSD_INSE_IS9_EEEEjNS1_19radix_merge_compareILb0ELb1EjNS0_19identity_decomposerEEEEE10hipError_tT0_T1_T2_jT3_P12ihipStream_tbPNSt15iterator_traitsISN_E10value_typeEPNST_ISO_E10value_typeEPSP_NS1_7vsmem_tEENKUlT_SN_SO_SP_E_clIPjSG_PS9_SI_EESM_S12_SN_SO_SP_EUlS12_E_NS1_11comp_targetILNS1_3genE0ELNS1_11target_archE4294967295ELNS1_3gpuE0ELNS1_3repE0EEENS1_48merge_mergepath_partition_config_static_selectorELNS0_4arch9wavefront6targetE0EEEvSO_
    .private_segment_fixed_size: 0
    .sgpr_count:     0
    .sgpr_spill_count: 0
    .symbol:         _ZN7rocprim17ROCPRIM_400000_NS6detail17trampoline_kernelINS0_14default_configENS1_38merge_sort_block_merge_config_selectorIjN6thrust23THRUST_200600_302600_NS5tupleIffNS6_9null_typeES8_S8_S8_S8_S8_S8_S8_EEEEZZNS1_27merge_sort_block_merge_implIS3_NS6_6detail15normal_iteratorINS6_10device_ptrIjEEEENSD_INSE_IS9_EEEEjNS1_19radix_merge_compareILb0ELb1EjNS0_19identity_decomposerEEEEE10hipError_tT0_T1_T2_jT3_P12ihipStream_tbPNSt15iterator_traitsISN_E10value_typeEPNST_ISO_E10value_typeEPSP_NS1_7vsmem_tEENKUlT_SN_SO_SP_E_clIPjSG_PS9_SI_EESM_S12_SN_SO_SP_EUlS12_E_NS1_11comp_targetILNS1_3genE0ELNS1_11target_archE4294967295ELNS1_3gpuE0ELNS1_3repE0EEENS1_48merge_mergepath_partition_config_static_selectorELNS0_4arch9wavefront6targetE0EEEvSO_.kd
    .uniform_work_group_size: 1
    .uses_dynamic_stack: false
    .vgpr_count:     0
    .vgpr_spill_count: 0
    .wavefront_size: 32
    .workgroup_processor_mode: 1
  - .args:
      - .offset:         0
        .size:           40
        .value_kind:     by_value
    .group_segment_fixed_size: 0
    .kernarg_segment_align: 8
    .kernarg_segment_size: 40
    .language:       OpenCL C
    .language_version:
      - 2
      - 0
    .max_flat_workgroup_size: 128
    .name:           _ZN7rocprim17ROCPRIM_400000_NS6detail17trampoline_kernelINS0_14default_configENS1_38merge_sort_block_merge_config_selectorIjN6thrust23THRUST_200600_302600_NS5tupleIffNS6_9null_typeES8_S8_S8_S8_S8_S8_S8_EEEEZZNS1_27merge_sort_block_merge_implIS3_NS6_6detail15normal_iteratorINS6_10device_ptrIjEEEENSD_INSE_IS9_EEEEjNS1_19radix_merge_compareILb0ELb1EjNS0_19identity_decomposerEEEEE10hipError_tT0_T1_T2_jT3_P12ihipStream_tbPNSt15iterator_traitsISN_E10value_typeEPNST_ISO_E10value_typeEPSP_NS1_7vsmem_tEENKUlT_SN_SO_SP_E_clIPjSG_PS9_SI_EESM_S12_SN_SO_SP_EUlS12_E_NS1_11comp_targetILNS1_3genE10ELNS1_11target_archE1201ELNS1_3gpuE5ELNS1_3repE0EEENS1_48merge_mergepath_partition_config_static_selectorELNS0_4arch9wavefront6targetE0EEEvSO_
    .private_segment_fixed_size: 0
    .sgpr_count:     9
    .sgpr_spill_count: 0
    .symbol:         _ZN7rocprim17ROCPRIM_400000_NS6detail17trampoline_kernelINS0_14default_configENS1_38merge_sort_block_merge_config_selectorIjN6thrust23THRUST_200600_302600_NS5tupleIffNS6_9null_typeES8_S8_S8_S8_S8_S8_S8_EEEEZZNS1_27merge_sort_block_merge_implIS3_NS6_6detail15normal_iteratorINS6_10device_ptrIjEEEENSD_INSE_IS9_EEEEjNS1_19radix_merge_compareILb0ELb1EjNS0_19identity_decomposerEEEEE10hipError_tT0_T1_T2_jT3_P12ihipStream_tbPNSt15iterator_traitsISN_E10value_typeEPNST_ISO_E10value_typeEPSP_NS1_7vsmem_tEENKUlT_SN_SO_SP_E_clIPjSG_PS9_SI_EESM_S12_SN_SO_SP_EUlS12_E_NS1_11comp_targetILNS1_3genE10ELNS1_11target_archE1201ELNS1_3gpuE5ELNS1_3repE0EEENS1_48merge_mergepath_partition_config_static_selectorELNS0_4arch9wavefront6targetE0EEEvSO_.kd
    .uniform_work_group_size: 1
    .uses_dynamic_stack: false
    .vgpr_count:     15
    .vgpr_spill_count: 0
    .wavefront_size: 32
    .workgroup_processor_mode: 1
  - .args:
      - .offset:         0
        .size:           40
        .value_kind:     by_value
    .group_segment_fixed_size: 0
    .kernarg_segment_align: 8
    .kernarg_segment_size: 40
    .language:       OpenCL C
    .language_version:
      - 2
      - 0
    .max_flat_workgroup_size: 128
    .name:           _ZN7rocprim17ROCPRIM_400000_NS6detail17trampoline_kernelINS0_14default_configENS1_38merge_sort_block_merge_config_selectorIjN6thrust23THRUST_200600_302600_NS5tupleIffNS6_9null_typeES8_S8_S8_S8_S8_S8_S8_EEEEZZNS1_27merge_sort_block_merge_implIS3_NS6_6detail15normal_iteratorINS6_10device_ptrIjEEEENSD_INSE_IS9_EEEEjNS1_19radix_merge_compareILb0ELb1EjNS0_19identity_decomposerEEEEE10hipError_tT0_T1_T2_jT3_P12ihipStream_tbPNSt15iterator_traitsISN_E10value_typeEPNST_ISO_E10value_typeEPSP_NS1_7vsmem_tEENKUlT_SN_SO_SP_E_clIPjSG_PS9_SI_EESM_S12_SN_SO_SP_EUlS12_E_NS1_11comp_targetILNS1_3genE5ELNS1_11target_archE942ELNS1_3gpuE9ELNS1_3repE0EEENS1_48merge_mergepath_partition_config_static_selectorELNS0_4arch9wavefront6targetE0EEEvSO_
    .private_segment_fixed_size: 0
    .sgpr_count:     0
    .sgpr_spill_count: 0
    .symbol:         _ZN7rocprim17ROCPRIM_400000_NS6detail17trampoline_kernelINS0_14default_configENS1_38merge_sort_block_merge_config_selectorIjN6thrust23THRUST_200600_302600_NS5tupleIffNS6_9null_typeES8_S8_S8_S8_S8_S8_S8_EEEEZZNS1_27merge_sort_block_merge_implIS3_NS6_6detail15normal_iteratorINS6_10device_ptrIjEEEENSD_INSE_IS9_EEEEjNS1_19radix_merge_compareILb0ELb1EjNS0_19identity_decomposerEEEEE10hipError_tT0_T1_T2_jT3_P12ihipStream_tbPNSt15iterator_traitsISN_E10value_typeEPNST_ISO_E10value_typeEPSP_NS1_7vsmem_tEENKUlT_SN_SO_SP_E_clIPjSG_PS9_SI_EESM_S12_SN_SO_SP_EUlS12_E_NS1_11comp_targetILNS1_3genE5ELNS1_11target_archE942ELNS1_3gpuE9ELNS1_3repE0EEENS1_48merge_mergepath_partition_config_static_selectorELNS0_4arch9wavefront6targetE0EEEvSO_.kd
    .uniform_work_group_size: 1
    .uses_dynamic_stack: false
    .vgpr_count:     0
    .vgpr_spill_count: 0
    .wavefront_size: 32
    .workgroup_processor_mode: 1
  - .args:
      - .offset:         0
        .size:           40
        .value_kind:     by_value
    .group_segment_fixed_size: 0
    .kernarg_segment_align: 8
    .kernarg_segment_size: 40
    .language:       OpenCL C
    .language_version:
      - 2
      - 0
    .max_flat_workgroup_size: 128
    .name:           _ZN7rocprim17ROCPRIM_400000_NS6detail17trampoline_kernelINS0_14default_configENS1_38merge_sort_block_merge_config_selectorIjN6thrust23THRUST_200600_302600_NS5tupleIffNS6_9null_typeES8_S8_S8_S8_S8_S8_S8_EEEEZZNS1_27merge_sort_block_merge_implIS3_NS6_6detail15normal_iteratorINS6_10device_ptrIjEEEENSD_INSE_IS9_EEEEjNS1_19radix_merge_compareILb0ELb1EjNS0_19identity_decomposerEEEEE10hipError_tT0_T1_T2_jT3_P12ihipStream_tbPNSt15iterator_traitsISN_E10value_typeEPNST_ISO_E10value_typeEPSP_NS1_7vsmem_tEENKUlT_SN_SO_SP_E_clIPjSG_PS9_SI_EESM_S12_SN_SO_SP_EUlS12_E_NS1_11comp_targetILNS1_3genE4ELNS1_11target_archE910ELNS1_3gpuE8ELNS1_3repE0EEENS1_48merge_mergepath_partition_config_static_selectorELNS0_4arch9wavefront6targetE0EEEvSO_
    .private_segment_fixed_size: 0
    .sgpr_count:     0
    .sgpr_spill_count: 0
    .symbol:         _ZN7rocprim17ROCPRIM_400000_NS6detail17trampoline_kernelINS0_14default_configENS1_38merge_sort_block_merge_config_selectorIjN6thrust23THRUST_200600_302600_NS5tupleIffNS6_9null_typeES8_S8_S8_S8_S8_S8_S8_EEEEZZNS1_27merge_sort_block_merge_implIS3_NS6_6detail15normal_iteratorINS6_10device_ptrIjEEEENSD_INSE_IS9_EEEEjNS1_19radix_merge_compareILb0ELb1EjNS0_19identity_decomposerEEEEE10hipError_tT0_T1_T2_jT3_P12ihipStream_tbPNSt15iterator_traitsISN_E10value_typeEPNST_ISO_E10value_typeEPSP_NS1_7vsmem_tEENKUlT_SN_SO_SP_E_clIPjSG_PS9_SI_EESM_S12_SN_SO_SP_EUlS12_E_NS1_11comp_targetILNS1_3genE4ELNS1_11target_archE910ELNS1_3gpuE8ELNS1_3repE0EEENS1_48merge_mergepath_partition_config_static_selectorELNS0_4arch9wavefront6targetE0EEEvSO_.kd
    .uniform_work_group_size: 1
    .uses_dynamic_stack: false
    .vgpr_count:     0
    .vgpr_spill_count: 0
    .wavefront_size: 32
    .workgroup_processor_mode: 1
  - .args:
      - .offset:         0
        .size:           40
        .value_kind:     by_value
    .group_segment_fixed_size: 0
    .kernarg_segment_align: 8
    .kernarg_segment_size: 40
    .language:       OpenCL C
    .language_version:
      - 2
      - 0
    .max_flat_workgroup_size: 128
    .name:           _ZN7rocprim17ROCPRIM_400000_NS6detail17trampoline_kernelINS0_14default_configENS1_38merge_sort_block_merge_config_selectorIjN6thrust23THRUST_200600_302600_NS5tupleIffNS6_9null_typeES8_S8_S8_S8_S8_S8_S8_EEEEZZNS1_27merge_sort_block_merge_implIS3_NS6_6detail15normal_iteratorINS6_10device_ptrIjEEEENSD_INSE_IS9_EEEEjNS1_19radix_merge_compareILb0ELb1EjNS0_19identity_decomposerEEEEE10hipError_tT0_T1_T2_jT3_P12ihipStream_tbPNSt15iterator_traitsISN_E10value_typeEPNST_ISO_E10value_typeEPSP_NS1_7vsmem_tEENKUlT_SN_SO_SP_E_clIPjSG_PS9_SI_EESM_S12_SN_SO_SP_EUlS12_E_NS1_11comp_targetILNS1_3genE3ELNS1_11target_archE908ELNS1_3gpuE7ELNS1_3repE0EEENS1_48merge_mergepath_partition_config_static_selectorELNS0_4arch9wavefront6targetE0EEEvSO_
    .private_segment_fixed_size: 0
    .sgpr_count:     0
    .sgpr_spill_count: 0
    .symbol:         _ZN7rocprim17ROCPRIM_400000_NS6detail17trampoline_kernelINS0_14default_configENS1_38merge_sort_block_merge_config_selectorIjN6thrust23THRUST_200600_302600_NS5tupleIffNS6_9null_typeES8_S8_S8_S8_S8_S8_S8_EEEEZZNS1_27merge_sort_block_merge_implIS3_NS6_6detail15normal_iteratorINS6_10device_ptrIjEEEENSD_INSE_IS9_EEEEjNS1_19radix_merge_compareILb0ELb1EjNS0_19identity_decomposerEEEEE10hipError_tT0_T1_T2_jT3_P12ihipStream_tbPNSt15iterator_traitsISN_E10value_typeEPNST_ISO_E10value_typeEPSP_NS1_7vsmem_tEENKUlT_SN_SO_SP_E_clIPjSG_PS9_SI_EESM_S12_SN_SO_SP_EUlS12_E_NS1_11comp_targetILNS1_3genE3ELNS1_11target_archE908ELNS1_3gpuE7ELNS1_3repE0EEENS1_48merge_mergepath_partition_config_static_selectorELNS0_4arch9wavefront6targetE0EEEvSO_.kd
    .uniform_work_group_size: 1
    .uses_dynamic_stack: false
    .vgpr_count:     0
    .vgpr_spill_count: 0
    .wavefront_size: 32
    .workgroup_processor_mode: 1
  - .args:
      - .offset:         0
        .size:           40
        .value_kind:     by_value
    .group_segment_fixed_size: 0
    .kernarg_segment_align: 8
    .kernarg_segment_size: 40
    .language:       OpenCL C
    .language_version:
      - 2
      - 0
    .max_flat_workgroup_size: 128
    .name:           _ZN7rocprim17ROCPRIM_400000_NS6detail17trampoline_kernelINS0_14default_configENS1_38merge_sort_block_merge_config_selectorIjN6thrust23THRUST_200600_302600_NS5tupleIffNS6_9null_typeES8_S8_S8_S8_S8_S8_S8_EEEEZZNS1_27merge_sort_block_merge_implIS3_NS6_6detail15normal_iteratorINS6_10device_ptrIjEEEENSD_INSE_IS9_EEEEjNS1_19radix_merge_compareILb0ELb1EjNS0_19identity_decomposerEEEEE10hipError_tT0_T1_T2_jT3_P12ihipStream_tbPNSt15iterator_traitsISN_E10value_typeEPNST_ISO_E10value_typeEPSP_NS1_7vsmem_tEENKUlT_SN_SO_SP_E_clIPjSG_PS9_SI_EESM_S12_SN_SO_SP_EUlS12_E_NS1_11comp_targetILNS1_3genE2ELNS1_11target_archE906ELNS1_3gpuE6ELNS1_3repE0EEENS1_48merge_mergepath_partition_config_static_selectorELNS0_4arch9wavefront6targetE0EEEvSO_
    .private_segment_fixed_size: 0
    .sgpr_count:     0
    .sgpr_spill_count: 0
    .symbol:         _ZN7rocprim17ROCPRIM_400000_NS6detail17trampoline_kernelINS0_14default_configENS1_38merge_sort_block_merge_config_selectorIjN6thrust23THRUST_200600_302600_NS5tupleIffNS6_9null_typeES8_S8_S8_S8_S8_S8_S8_EEEEZZNS1_27merge_sort_block_merge_implIS3_NS6_6detail15normal_iteratorINS6_10device_ptrIjEEEENSD_INSE_IS9_EEEEjNS1_19radix_merge_compareILb0ELb1EjNS0_19identity_decomposerEEEEE10hipError_tT0_T1_T2_jT3_P12ihipStream_tbPNSt15iterator_traitsISN_E10value_typeEPNST_ISO_E10value_typeEPSP_NS1_7vsmem_tEENKUlT_SN_SO_SP_E_clIPjSG_PS9_SI_EESM_S12_SN_SO_SP_EUlS12_E_NS1_11comp_targetILNS1_3genE2ELNS1_11target_archE906ELNS1_3gpuE6ELNS1_3repE0EEENS1_48merge_mergepath_partition_config_static_selectorELNS0_4arch9wavefront6targetE0EEEvSO_.kd
    .uniform_work_group_size: 1
    .uses_dynamic_stack: false
    .vgpr_count:     0
    .vgpr_spill_count: 0
    .wavefront_size: 32
    .workgroup_processor_mode: 1
  - .args:
      - .offset:         0
        .size:           40
        .value_kind:     by_value
    .group_segment_fixed_size: 0
    .kernarg_segment_align: 8
    .kernarg_segment_size: 40
    .language:       OpenCL C
    .language_version:
      - 2
      - 0
    .max_flat_workgroup_size: 128
    .name:           _ZN7rocprim17ROCPRIM_400000_NS6detail17trampoline_kernelINS0_14default_configENS1_38merge_sort_block_merge_config_selectorIjN6thrust23THRUST_200600_302600_NS5tupleIffNS6_9null_typeES8_S8_S8_S8_S8_S8_S8_EEEEZZNS1_27merge_sort_block_merge_implIS3_NS6_6detail15normal_iteratorINS6_10device_ptrIjEEEENSD_INSE_IS9_EEEEjNS1_19radix_merge_compareILb0ELb1EjNS0_19identity_decomposerEEEEE10hipError_tT0_T1_T2_jT3_P12ihipStream_tbPNSt15iterator_traitsISN_E10value_typeEPNST_ISO_E10value_typeEPSP_NS1_7vsmem_tEENKUlT_SN_SO_SP_E_clIPjSG_PS9_SI_EESM_S12_SN_SO_SP_EUlS12_E_NS1_11comp_targetILNS1_3genE9ELNS1_11target_archE1100ELNS1_3gpuE3ELNS1_3repE0EEENS1_48merge_mergepath_partition_config_static_selectorELNS0_4arch9wavefront6targetE0EEEvSO_
    .private_segment_fixed_size: 0
    .sgpr_count:     0
    .sgpr_spill_count: 0
    .symbol:         _ZN7rocprim17ROCPRIM_400000_NS6detail17trampoline_kernelINS0_14default_configENS1_38merge_sort_block_merge_config_selectorIjN6thrust23THRUST_200600_302600_NS5tupleIffNS6_9null_typeES8_S8_S8_S8_S8_S8_S8_EEEEZZNS1_27merge_sort_block_merge_implIS3_NS6_6detail15normal_iteratorINS6_10device_ptrIjEEEENSD_INSE_IS9_EEEEjNS1_19radix_merge_compareILb0ELb1EjNS0_19identity_decomposerEEEEE10hipError_tT0_T1_T2_jT3_P12ihipStream_tbPNSt15iterator_traitsISN_E10value_typeEPNST_ISO_E10value_typeEPSP_NS1_7vsmem_tEENKUlT_SN_SO_SP_E_clIPjSG_PS9_SI_EESM_S12_SN_SO_SP_EUlS12_E_NS1_11comp_targetILNS1_3genE9ELNS1_11target_archE1100ELNS1_3gpuE3ELNS1_3repE0EEENS1_48merge_mergepath_partition_config_static_selectorELNS0_4arch9wavefront6targetE0EEEvSO_.kd
    .uniform_work_group_size: 1
    .uses_dynamic_stack: false
    .vgpr_count:     0
    .vgpr_spill_count: 0
    .wavefront_size: 32
    .workgroup_processor_mode: 1
  - .args:
      - .offset:         0
        .size:           40
        .value_kind:     by_value
    .group_segment_fixed_size: 0
    .kernarg_segment_align: 8
    .kernarg_segment_size: 40
    .language:       OpenCL C
    .language_version:
      - 2
      - 0
    .max_flat_workgroup_size: 128
    .name:           _ZN7rocprim17ROCPRIM_400000_NS6detail17trampoline_kernelINS0_14default_configENS1_38merge_sort_block_merge_config_selectorIjN6thrust23THRUST_200600_302600_NS5tupleIffNS6_9null_typeES8_S8_S8_S8_S8_S8_S8_EEEEZZNS1_27merge_sort_block_merge_implIS3_NS6_6detail15normal_iteratorINS6_10device_ptrIjEEEENSD_INSE_IS9_EEEEjNS1_19radix_merge_compareILb0ELb1EjNS0_19identity_decomposerEEEEE10hipError_tT0_T1_T2_jT3_P12ihipStream_tbPNSt15iterator_traitsISN_E10value_typeEPNST_ISO_E10value_typeEPSP_NS1_7vsmem_tEENKUlT_SN_SO_SP_E_clIPjSG_PS9_SI_EESM_S12_SN_SO_SP_EUlS12_E_NS1_11comp_targetILNS1_3genE8ELNS1_11target_archE1030ELNS1_3gpuE2ELNS1_3repE0EEENS1_48merge_mergepath_partition_config_static_selectorELNS0_4arch9wavefront6targetE0EEEvSO_
    .private_segment_fixed_size: 0
    .sgpr_count:     0
    .sgpr_spill_count: 0
    .symbol:         _ZN7rocprim17ROCPRIM_400000_NS6detail17trampoline_kernelINS0_14default_configENS1_38merge_sort_block_merge_config_selectorIjN6thrust23THRUST_200600_302600_NS5tupleIffNS6_9null_typeES8_S8_S8_S8_S8_S8_S8_EEEEZZNS1_27merge_sort_block_merge_implIS3_NS6_6detail15normal_iteratorINS6_10device_ptrIjEEEENSD_INSE_IS9_EEEEjNS1_19radix_merge_compareILb0ELb1EjNS0_19identity_decomposerEEEEE10hipError_tT0_T1_T2_jT3_P12ihipStream_tbPNSt15iterator_traitsISN_E10value_typeEPNST_ISO_E10value_typeEPSP_NS1_7vsmem_tEENKUlT_SN_SO_SP_E_clIPjSG_PS9_SI_EESM_S12_SN_SO_SP_EUlS12_E_NS1_11comp_targetILNS1_3genE8ELNS1_11target_archE1030ELNS1_3gpuE2ELNS1_3repE0EEENS1_48merge_mergepath_partition_config_static_selectorELNS0_4arch9wavefront6targetE0EEEvSO_.kd
    .uniform_work_group_size: 1
    .uses_dynamic_stack: false
    .vgpr_count:     0
    .vgpr_spill_count: 0
    .wavefront_size: 32
    .workgroup_processor_mode: 1
  - .args:
      - .offset:         0
        .size:           64
        .value_kind:     by_value
    .group_segment_fixed_size: 0
    .kernarg_segment_align: 8
    .kernarg_segment_size: 64
    .language:       OpenCL C
    .language_version:
      - 2
      - 0
    .max_flat_workgroup_size: 512
    .name:           _ZN7rocprim17ROCPRIM_400000_NS6detail17trampoline_kernelINS0_14default_configENS1_38merge_sort_block_merge_config_selectorIjN6thrust23THRUST_200600_302600_NS5tupleIffNS6_9null_typeES8_S8_S8_S8_S8_S8_S8_EEEEZZNS1_27merge_sort_block_merge_implIS3_NS6_6detail15normal_iteratorINS6_10device_ptrIjEEEENSD_INSE_IS9_EEEEjNS1_19radix_merge_compareILb0ELb1EjNS0_19identity_decomposerEEEEE10hipError_tT0_T1_T2_jT3_P12ihipStream_tbPNSt15iterator_traitsISN_E10value_typeEPNST_ISO_E10value_typeEPSP_NS1_7vsmem_tEENKUlT_SN_SO_SP_E_clIPjSG_PS9_SI_EESM_S12_SN_SO_SP_EUlS12_E0_NS1_11comp_targetILNS1_3genE0ELNS1_11target_archE4294967295ELNS1_3gpuE0ELNS1_3repE0EEENS1_38merge_mergepath_config_static_selectorELNS0_4arch9wavefront6targetE0EEEvSO_
    .private_segment_fixed_size: 0
    .sgpr_count:     0
    .sgpr_spill_count: 0
    .symbol:         _ZN7rocprim17ROCPRIM_400000_NS6detail17trampoline_kernelINS0_14default_configENS1_38merge_sort_block_merge_config_selectorIjN6thrust23THRUST_200600_302600_NS5tupleIffNS6_9null_typeES8_S8_S8_S8_S8_S8_S8_EEEEZZNS1_27merge_sort_block_merge_implIS3_NS6_6detail15normal_iteratorINS6_10device_ptrIjEEEENSD_INSE_IS9_EEEEjNS1_19radix_merge_compareILb0ELb1EjNS0_19identity_decomposerEEEEE10hipError_tT0_T1_T2_jT3_P12ihipStream_tbPNSt15iterator_traitsISN_E10value_typeEPNST_ISO_E10value_typeEPSP_NS1_7vsmem_tEENKUlT_SN_SO_SP_E_clIPjSG_PS9_SI_EESM_S12_SN_SO_SP_EUlS12_E0_NS1_11comp_targetILNS1_3genE0ELNS1_11target_archE4294967295ELNS1_3gpuE0ELNS1_3repE0EEENS1_38merge_mergepath_config_static_selectorELNS0_4arch9wavefront6targetE0EEEvSO_.kd
    .uniform_work_group_size: 1
    .uses_dynamic_stack: false
    .vgpr_count:     0
    .vgpr_spill_count: 0
    .wavefront_size: 32
    .workgroup_processor_mode: 1
  - .args:
      - .offset:         0
        .size:           64
        .value_kind:     by_value
      - .offset:         64
        .size:           4
        .value_kind:     hidden_block_count_x
      - .offset:         68
        .size:           4
        .value_kind:     hidden_block_count_y
      - .offset:         72
        .size:           4
        .value_kind:     hidden_block_count_z
      - .offset:         76
        .size:           2
        .value_kind:     hidden_group_size_x
      - .offset:         78
        .size:           2
        .value_kind:     hidden_group_size_y
      - .offset:         80
        .size:           2
        .value_kind:     hidden_group_size_z
      - .offset:         82
        .size:           2
        .value_kind:     hidden_remainder_x
      - .offset:         84
        .size:           2
        .value_kind:     hidden_remainder_y
      - .offset:         86
        .size:           2
        .value_kind:     hidden_remainder_z
      - .offset:         104
        .size:           8
        .value_kind:     hidden_global_offset_x
      - .offset:         112
        .size:           8
        .value_kind:     hidden_global_offset_y
      - .offset:         120
        .size:           8
        .value_kind:     hidden_global_offset_z
      - .offset:         128
        .size:           2
        .value_kind:     hidden_grid_dims
    .group_segment_fixed_size: 8448
    .kernarg_segment_align: 8
    .kernarg_segment_size: 320
    .language:       OpenCL C
    .language_version:
      - 2
      - 0
    .max_flat_workgroup_size: 512
    .name:           _ZN7rocprim17ROCPRIM_400000_NS6detail17trampoline_kernelINS0_14default_configENS1_38merge_sort_block_merge_config_selectorIjN6thrust23THRUST_200600_302600_NS5tupleIffNS6_9null_typeES8_S8_S8_S8_S8_S8_S8_EEEEZZNS1_27merge_sort_block_merge_implIS3_NS6_6detail15normal_iteratorINS6_10device_ptrIjEEEENSD_INSE_IS9_EEEEjNS1_19radix_merge_compareILb0ELb1EjNS0_19identity_decomposerEEEEE10hipError_tT0_T1_T2_jT3_P12ihipStream_tbPNSt15iterator_traitsISN_E10value_typeEPNST_ISO_E10value_typeEPSP_NS1_7vsmem_tEENKUlT_SN_SO_SP_E_clIPjSG_PS9_SI_EESM_S12_SN_SO_SP_EUlS12_E0_NS1_11comp_targetILNS1_3genE10ELNS1_11target_archE1201ELNS1_3gpuE5ELNS1_3repE0EEENS1_38merge_mergepath_config_static_selectorELNS0_4arch9wavefront6targetE0EEEvSO_
    .private_segment_fixed_size: 0
    .sgpr_count:     32
    .sgpr_spill_count: 0
    .symbol:         _ZN7rocprim17ROCPRIM_400000_NS6detail17trampoline_kernelINS0_14default_configENS1_38merge_sort_block_merge_config_selectorIjN6thrust23THRUST_200600_302600_NS5tupleIffNS6_9null_typeES8_S8_S8_S8_S8_S8_S8_EEEEZZNS1_27merge_sort_block_merge_implIS3_NS6_6detail15normal_iteratorINS6_10device_ptrIjEEEENSD_INSE_IS9_EEEEjNS1_19radix_merge_compareILb0ELb1EjNS0_19identity_decomposerEEEEE10hipError_tT0_T1_T2_jT3_P12ihipStream_tbPNSt15iterator_traitsISN_E10value_typeEPNST_ISO_E10value_typeEPSP_NS1_7vsmem_tEENKUlT_SN_SO_SP_E_clIPjSG_PS9_SI_EESM_S12_SN_SO_SP_EUlS12_E0_NS1_11comp_targetILNS1_3genE10ELNS1_11target_archE1201ELNS1_3gpuE5ELNS1_3repE0EEENS1_38merge_mergepath_config_static_selectorELNS0_4arch9wavefront6targetE0EEEvSO_.kd
    .uniform_work_group_size: 1
    .uses_dynamic_stack: false
    .vgpr_count:     18
    .vgpr_spill_count: 0
    .wavefront_size: 32
    .workgroup_processor_mode: 1
  - .args:
      - .offset:         0
        .size:           64
        .value_kind:     by_value
    .group_segment_fixed_size: 0
    .kernarg_segment_align: 8
    .kernarg_segment_size: 64
    .language:       OpenCL C
    .language_version:
      - 2
      - 0
    .max_flat_workgroup_size: 256
    .name:           _ZN7rocprim17ROCPRIM_400000_NS6detail17trampoline_kernelINS0_14default_configENS1_38merge_sort_block_merge_config_selectorIjN6thrust23THRUST_200600_302600_NS5tupleIffNS6_9null_typeES8_S8_S8_S8_S8_S8_S8_EEEEZZNS1_27merge_sort_block_merge_implIS3_NS6_6detail15normal_iteratorINS6_10device_ptrIjEEEENSD_INSE_IS9_EEEEjNS1_19radix_merge_compareILb0ELb1EjNS0_19identity_decomposerEEEEE10hipError_tT0_T1_T2_jT3_P12ihipStream_tbPNSt15iterator_traitsISN_E10value_typeEPNST_ISO_E10value_typeEPSP_NS1_7vsmem_tEENKUlT_SN_SO_SP_E_clIPjSG_PS9_SI_EESM_S12_SN_SO_SP_EUlS12_E0_NS1_11comp_targetILNS1_3genE5ELNS1_11target_archE942ELNS1_3gpuE9ELNS1_3repE0EEENS1_38merge_mergepath_config_static_selectorELNS0_4arch9wavefront6targetE0EEEvSO_
    .private_segment_fixed_size: 0
    .sgpr_count:     0
    .sgpr_spill_count: 0
    .symbol:         _ZN7rocprim17ROCPRIM_400000_NS6detail17trampoline_kernelINS0_14default_configENS1_38merge_sort_block_merge_config_selectorIjN6thrust23THRUST_200600_302600_NS5tupleIffNS6_9null_typeES8_S8_S8_S8_S8_S8_S8_EEEEZZNS1_27merge_sort_block_merge_implIS3_NS6_6detail15normal_iteratorINS6_10device_ptrIjEEEENSD_INSE_IS9_EEEEjNS1_19radix_merge_compareILb0ELb1EjNS0_19identity_decomposerEEEEE10hipError_tT0_T1_T2_jT3_P12ihipStream_tbPNSt15iterator_traitsISN_E10value_typeEPNST_ISO_E10value_typeEPSP_NS1_7vsmem_tEENKUlT_SN_SO_SP_E_clIPjSG_PS9_SI_EESM_S12_SN_SO_SP_EUlS12_E0_NS1_11comp_targetILNS1_3genE5ELNS1_11target_archE942ELNS1_3gpuE9ELNS1_3repE0EEENS1_38merge_mergepath_config_static_selectorELNS0_4arch9wavefront6targetE0EEEvSO_.kd
    .uniform_work_group_size: 1
    .uses_dynamic_stack: false
    .vgpr_count:     0
    .vgpr_spill_count: 0
    .wavefront_size: 32
    .workgroup_processor_mode: 1
  - .args:
      - .offset:         0
        .size:           64
        .value_kind:     by_value
    .group_segment_fixed_size: 0
    .kernarg_segment_align: 8
    .kernarg_segment_size: 64
    .language:       OpenCL C
    .language_version:
      - 2
      - 0
    .max_flat_workgroup_size: 256
    .name:           _ZN7rocprim17ROCPRIM_400000_NS6detail17trampoline_kernelINS0_14default_configENS1_38merge_sort_block_merge_config_selectorIjN6thrust23THRUST_200600_302600_NS5tupleIffNS6_9null_typeES8_S8_S8_S8_S8_S8_S8_EEEEZZNS1_27merge_sort_block_merge_implIS3_NS6_6detail15normal_iteratorINS6_10device_ptrIjEEEENSD_INSE_IS9_EEEEjNS1_19radix_merge_compareILb0ELb1EjNS0_19identity_decomposerEEEEE10hipError_tT0_T1_T2_jT3_P12ihipStream_tbPNSt15iterator_traitsISN_E10value_typeEPNST_ISO_E10value_typeEPSP_NS1_7vsmem_tEENKUlT_SN_SO_SP_E_clIPjSG_PS9_SI_EESM_S12_SN_SO_SP_EUlS12_E0_NS1_11comp_targetILNS1_3genE4ELNS1_11target_archE910ELNS1_3gpuE8ELNS1_3repE0EEENS1_38merge_mergepath_config_static_selectorELNS0_4arch9wavefront6targetE0EEEvSO_
    .private_segment_fixed_size: 0
    .sgpr_count:     0
    .sgpr_spill_count: 0
    .symbol:         _ZN7rocprim17ROCPRIM_400000_NS6detail17trampoline_kernelINS0_14default_configENS1_38merge_sort_block_merge_config_selectorIjN6thrust23THRUST_200600_302600_NS5tupleIffNS6_9null_typeES8_S8_S8_S8_S8_S8_S8_EEEEZZNS1_27merge_sort_block_merge_implIS3_NS6_6detail15normal_iteratorINS6_10device_ptrIjEEEENSD_INSE_IS9_EEEEjNS1_19radix_merge_compareILb0ELb1EjNS0_19identity_decomposerEEEEE10hipError_tT0_T1_T2_jT3_P12ihipStream_tbPNSt15iterator_traitsISN_E10value_typeEPNST_ISO_E10value_typeEPSP_NS1_7vsmem_tEENKUlT_SN_SO_SP_E_clIPjSG_PS9_SI_EESM_S12_SN_SO_SP_EUlS12_E0_NS1_11comp_targetILNS1_3genE4ELNS1_11target_archE910ELNS1_3gpuE8ELNS1_3repE0EEENS1_38merge_mergepath_config_static_selectorELNS0_4arch9wavefront6targetE0EEEvSO_.kd
    .uniform_work_group_size: 1
    .uses_dynamic_stack: false
    .vgpr_count:     0
    .vgpr_spill_count: 0
    .wavefront_size: 32
    .workgroup_processor_mode: 1
  - .args:
      - .offset:         0
        .size:           64
        .value_kind:     by_value
    .group_segment_fixed_size: 0
    .kernarg_segment_align: 8
    .kernarg_segment_size: 64
    .language:       OpenCL C
    .language_version:
      - 2
      - 0
    .max_flat_workgroup_size: 512
    .name:           _ZN7rocprim17ROCPRIM_400000_NS6detail17trampoline_kernelINS0_14default_configENS1_38merge_sort_block_merge_config_selectorIjN6thrust23THRUST_200600_302600_NS5tupleIffNS6_9null_typeES8_S8_S8_S8_S8_S8_S8_EEEEZZNS1_27merge_sort_block_merge_implIS3_NS6_6detail15normal_iteratorINS6_10device_ptrIjEEEENSD_INSE_IS9_EEEEjNS1_19radix_merge_compareILb0ELb1EjNS0_19identity_decomposerEEEEE10hipError_tT0_T1_T2_jT3_P12ihipStream_tbPNSt15iterator_traitsISN_E10value_typeEPNST_ISO_E10value_typeEPSP_NS1_7vsmem_tEENKUlT_SN_SO_SP_E_clIPjSG_PS9_SI_EESM_S12_SN_SO_SP_EUlS12_E0_NS1_11comp_targetILNS1_3genE3ELNS1_11target_archE908ELNS1_3gpuE7ELNS1_3repE0EEENS1_38merge_mergepath_config_static_selectorELNS0_4arch9wavefront6targetE0EEEvSO_
    .private_segment_fixed_size: 0
    .sgpr_count:     0
    .sgpr_spill_count: 0
    .symbol:         _ZN7rocprim17ROCPRIM_400000_NS6detail17trampoline_kernelINS0_14default_configENS1_38merge_sort_block_merge_config_selectorIjN6thrust23THRUST_200600_302600_NS5tupleIffNS6_9null_typeES8_S8_S8_S8_S8_S8_S8_EEEEZZNS1_27merge_sort_block_merge_implIS3_NS6_6detail15normal_iteratorINS6_10device_ptrIjEEEENSD_INSE_IS9_EEEEjNS1_19radix_merge_compareILb0ELb1EjNS0_19identity_decomposerEEEEE10hipError_tT0_T1_T2_jT3_P12ihipStream_tbPNSt15iterator_traitsISN_E10value_typeEPNST_ISO_E10value_typeEPSP_NS1_7vsmem_tEENKUlT_SN_SO_SP_E_clIPjSG_PS9_SI_EESM_S12_SN_SO_SP_EUlS12_E0_NS1_11comp_targetILNS1_3genE3ELNS1_11target_archE908ELNS1_3gpuE7ELNS1_3repE0EEENS1_38merge_mergepath_config_static_selectorELNS0_4arch9wavefront6targetE0EEEvSO_.kd
    .uniform_work_group_size: 1
    .uses_dynamic_stack: false
    .vgpr_count:     0
    .vgpr_spill_count: 0
    .wavefront_size: 32
    .workgroup_processor_mode: 1
  - .args:
      - .offset:         0
        .size:           64
        .value_kind:     by_value
    .group_segment_fixed_size: 0
    .kernarg_segment_align: 8
    .kernarg_segment_size: 64
    .language:       OpenCL C
    .language_version:
      - 2
      - 0
    .max_flat_workgroup_size: 256
    .name:           _ZN7rocprim17ROCPRIM_400000_NS6detail17trampoline_kernelINS0_14default_configENS1_38merge_sort_block_merge_config_selectorIjN6thrust23THRUST_200600_302600_NS5tupleIffNS6_9null_typeES8_S8_S8_S8_S8_S8_S8_EEEEZZNS1_27merge_sort_block_merge_implIS3_NS6_6detail15normal_iteratorINS6_10device_ptrIjEEEENSD_INSE_IS9_EEEEjNS1_19radix_merge_compareILb0ELb1EjNS0_19identity_decomposerEEEEE10hipError_tT0_T1_T2_jT3_P12ihipStream_tbPNSt15iterator_traitsISN_E10value_typeEPNST_ISO_E10value_typeEPSP_NS1_7vsmem_tEENKUlT_SN_SO_SP_E_clIPjSG_PS9_SI_EESM_S12_SN_SO_SP_EUlS12_E0_NS1_11comp_targetILNS1_3genE2ELNS1_11target_archE906ELNS1_3gpuE6ELNS1_3repE0EEENS1_38merge_mergepath_config_static_selectorELNS0_4arch9wavefront6targetE0EEEvSO_
    .private_segment_fixed_size: 0
    .sgpr_count:     0
    .sgpr_spill_count: 0
    .symbol:         _ZN7rocprim17ROCPRIM_400000_NS6detail17trampoline_kernelINS0_14default_configENS1_38merge_sort_block_merge_config_selectorIjN6thrust23THRUST_200600_302600_NS5tupleIffNS6_9null_typeES8_S8_S8_S8_S8_S8_S8_EEEEZZNS1_27merge_sort_block_merge_implIS3_NS6_6detail15normal_iteratorINS6_10device_ptrIjEEEENSD_INSE_IS9_EEEEjNS1_19radix_merge_compareILb0ELb1EjNS0_19identity_decomposerEEEEE10hipError_tT0_T1_T2_jT3_P12ihipStream_tbPNSt15iterator_traitsISN_E10value_typeEPNST_ISO_E10value_typeEPSP_NS1_7vsmem_tEENKUlT_SN_SO_SP_E_clIPjSG_PS9_SI_EESM_S12_SN_SO_SP_EUlS12_E0_NS1_11comp_targetILNS1_3genE2ELNS1_11target_archE906ELNS1_3gpuE6ELNS1_3repE0EEENS1_38merge_mergepath_config_static_selectorELNS0_4arch9wavefront6targetE0EEEvSO_.kd
    .uniform_work_group_size: 1
    .uses_dynamic_stack: false
    .vgpr_count:     0
    .vgpr_spill_count: 0
    .wavefront_size: 32
    .workgroup_processor_mode: 1
  - .args:
      - .offset:         0
        .size:           64
        .value_kind:     by_value
    .group_segment_fixed_size: 0
    .kernarg_segment_align: 8
    .kernarg_segment_size: 64
    .language:       OpenCL C
    .language_version:
      - 2
      - 0
    .max_flat_workgroup_size: 512
    .name:           _ZN7rocprim17ROCPRIM_400000_NS6detail17trampoline_kernelINS0_14default_configENS1_38merge_sort_block_merge_config_selectorIjN6thrust23THRUST_200600_302600_NS5tupleIffNS6_9null_typeES8_S8_S8_S8_S8_S8_S8_EEEEZZNS1_27merge_sort_block_merge_implIS3_NS6_6detail15normal_iteratorINS6_10device_ptrIjEEEENSD_INSE_IS9_EEEEjNS1_19radix_merge_compareILb0ELb1EjNS0_19identity_decomposerEEEEE10hipError_tT0_T1_T2_jT3_P12ihipStream_tbPNSt15iterator_traitsISN_E10value_typeEPNST_ISO_E10value_typeEPSP_NS1_7vsmem_tEENKUlT_SN_SO_SP_E_clIPjSG_PS9_SI_EESM_S12_SN_SO_SP_EUlS12_E0_NS1_11comp_targetILNS1_3genE9ELNS1_11target_archE1100ELNS1_3gpuE3ELNS1_3repE0EEENS1_38merge_mergepath_config_static_selectorELNS0_4arch9wavefront6targetE0EEEvSO_
    .private_segment_fixed_size: 0
    .sgpr_count:     0
    .sgpr_spill_count: 0
    .symbol:         _ZN7rocprim17ROCPRIM_400000_NS6detail17trampoline_kernelINS0_14default_configENS1_38merge_sort_block_merge_config_selectorIjN6thrust23THRUST_200600_302600_NS5tupleIffNS6_9null_typeES8_S8_S8_S8_S8_S8_S8_EEEEZZNS1_27merge_sort_block_merge_implIS3_NS6_6detail15normal_iteratorINS6_10device_ptrIjEEEENSD_INSE_IS9_EEEEjNS1_19radix_merge_compareILb0ELb1EjNS0_19identity_decomposerEEEEE10hipError_tT0_T1_T2_jT3_P12ihipStream_tbPNSt15iterator_traitsISN_E10value_typeEPNST_ISO_E10value_typeEPSP_NS1_7vsmem_tEENKUlT_SN_SO_SP_E_clIPjSG_PS9_SI_EESM_S12_SN_SO_SP_EUlS12_E0_NS1_11comp_targetILNS1_3genE9ELNS1_11target_archE1100ELNS1_3gpuE3ELNS1_3repE0EEENS1_38merge_mergepath_config_static_selectorELNS0_4arch9wavefront6targetE0EEEvSO_.kd
    .uniform_work_group_size: 1
    .uses_dynamic_stack: false
    .vgpr_count:     0
    .vgpr_spill_count: 0
    .wavefront_size: 32
    .workgroup_processor_mode: 1
  - .args:
      - .offset:         0
        .size:           64
        .value_kind:     by_value
    .group_segment_fixed_size: 0
    .kernarg_segment_align: 8
    .kernarg_segment_size: 64
    .language:       OpenCL C
    .language_version:
      - 2
      - 0
    .max_flat_workgroup_size: 1024
    .name:           _ZN7rocprim17ROCPRIM_400000_NS6detail17trampoline_kernelINS0_14default_configENS1_38merge_sort_block_merge_config_selectorIjN6thrust23THRUST_200600_302600_NS5tupleIffNS6_9null_typeES8_S8_S8_S8_S8_S8_S8_EEEEZZNS1_27merge_sort_block_merge_implIS3_NS6_6detail15normal_iteratorINS6_10device_ptrIjEEEENSD_INSE_IS9_EEEEjNS1_19radix_merge_compareILb0ELb1EjNS0_19identity_decomposerEEEEE10hipError_tT0_T1_T2_jT3_P12ihipStream_tbPNSt15iterator_traitsISN_E10value_typeEPNST_ISO_E10value_typeEPSP_NS1_7vsmem_tEENKUlT_SN_SO_SP_E_clIPjSG_PS9_SI_EESM_S12_SN_SO_SP_EUlS12_E0_NS1_11comp_targetILNS1_3genE8ELNS1_11target_archE1030ELNS1_3gpuE2ELNS1_3repE0EEENS1_38merge_mergepath_config_static_selectorELNS0_4arch9wavefront6targetE0EEEvSO_
    .private_segment_fixed_size: 0
    .sgpr_count:     0
    .sgpr_spill_count: 0
    .symbol:         _ZN7rocprim17ROCPRIM_400000_NS6detail17trampoline_kernelINS0_14default_configENS1_38merge_sort_block_merge_config_selectorIjN6thrust23THRUST_200600_302600_NS5tupleIffNS6_9null_typeES8_S8_S8_S8_S8_S8_S8_EEEEZZNS1_27merge_sort_block_merge_implIS3_NS6_6detail15normal_iteratorINS6_10device_ptrIjEEEENSD_INSE_IS9_EEEEjNS1_19radix_merge_compareILb0ELb1EjNS0_19identity_decomposerEEEEE10hipError_tT0_T1_T2_jT3_P12ihipStream_tbPNSt15iterator_traitsISN_E10value_typeEPNST_ISO_E10value_typeEPSP_NS1_7vsmem_tEENKUlT_SN_SO_SP_E_clIPjSG_PS9_SI_EESM_S12_SN_SO_SP_EUlS12_E0_NS1_11comp_targetILNS1_3genE8ELNS1_11target_archE1030ELNS1_3gpuE2ELNS1_3repE0EEENS1_38merge_mergepath_config_static_selectorELNS0_4arch9wavefront6targetE0EEEvSO_.kd
    .uniform_work_group_size: 1
    .uses_dynamic_stack: false
    .vgpr_count:     0
    .vgpr_spill_count: 0
    .wavefront_size: 32
    .workgroup_processor_mode: 1
  - .args:
      - .offset:         0
        .size:           48
        .value_kind:     by_value
    .group_segment_fixed_size: 0
    .kernarg_segment_align: 8
    .kernarg_segment_size: 48
    .language:       OpenCL C
    .language_version:
      - 2
      - 0
    .max_flat_workgroup_size: 256
    .name:           _ZN7rocprim17ROCPRIM_400000_NS6detail17trampoline_kernelINS0_14default_configENS1_38merge_sort_block_merge_config_selectorIjN6thrust23THRUST_200600_302600_NS5tupleIffNS6_9null_typeES8_S8_S8_S8_S8_S8_S8_EEEEZZNS1_27merge_sort_block_merge_implIS3_NS6_6detail15normal_iteratorINS6_10device_ptrIjEEEENSD_INSE_IS9_EEEEjNS1_19radix_merge_compareILb0ELb1EjNS0_19identity_decomposerEEEEE10hipError_tT0_T1_T2_jT3_P12ihipStream_tbPNSt15iterator_traitsISN_E10value_typeEPNST_ISO_E10value_typeEPSP_NS1_7vsmem_tEENKUlT_SN_SO_SP_E_clIPjSG_PS9_SI_EESM_S12_SN_SO_SP_EUlS12_E1_NS1_11comp_targetILNS1_3genE0ELNS1_11target_archE4294967295ELNS1_3gpuE0ELNS1_3repE0EEENS1_36merge_oddeven_config_static_selectorELNS0_4arch9wavefront6targetE0EEEvSO_
    .private_segment_fixed_size: 0
    .sgpr_count:     0
    .sgpr_spill_count: 0
    .symbol:         _ZN7rocprim17ROCPRIM_400000_NS6detail17trampoline_kernelINS0_14default_configENS1_38merge_sort_block_merge_config_selectorIjN6thrust23THRUST_200600_302600_NS5tupleIffNS6_9null_typeES8_S8_S8_S8_S8_S8_S8_EEEEZZNS1_27merge_sort_block_merge_implIS3_NS6_6detail15normal_iteratorINS6_10device_ptrIjEEEENSD_INSE_IS9_EEEEjNS1_19radix_merge_compareILb0ELb1EjNS0_19identity_decomposerEEEEE10hipError_tT0_T1_T2_jT3_P12ihipStream_tbPNSt15iterator_traitsISN_E10value_typeEPNST_ISO_E10value_typeEPSP_NS1_7vsmem_tEENKUlT_SN_SO_SP_E_clIPjSG_PS9_SI_EESM_S12_SN_SO_SP_EUlS12_E1_NS1_11comp_targetILNS1_3genE0ELNS1_11target_archE4294967295ELNS1_3gpuE0ELNS1_3repE0EEENS1_36merge_oddeven_config_static_selectorELNS0_4arch9wavefront6targetE0EEEvSO_.kd
    .uniform_work_group_size: 1
    .uses_dynamic_stack: false
    .vgpr_count:     0
    .vgpr_spill_count: 0
    .wavefront_size: 32
    .workgroup_processor_mode: 1
  - .args:
      - .offset:         0
        .size:           48
        .value_kind:     by_value
    .group_segment_fixed_size: 0
    .kernarg_segment_align: 8
    .kernarg_segment_size: 48
    .language:       OpenCL C
    .language_version:
      - 2
      - 0
    .max_flat_workgroup_size: 256
    .name:           _ZN7rocprim17ROCPRIM_400000_NS6detail17trampoline_kernelINS0_14default_configENS1_38merge_sort_block_merge_config_selectorIjN6thrust23THRUST_200600_302600_NS5tupleIffNS6_9null_typeES8_S8_S8_S8_S8_S8_S8_EEEEZZNS1_27merge_sort_block_merge_implIS3_NS6_6detail15normal_iteratorINS6_10device_ptrIjEEEENSD_INSE_IS9_EEEEjNS1_19radix_merge_compareILb0ELb1EjNS0_19identity_decomposerEEEEE10hipError_tT0_T1_T2_jT3_P12ihipStream_tbPNSt15iterator_traitsISN_E10value_typeEPNST_ISO_E10value_typeEPSP_NS1_7vsmem_tEENKUlT_SN_SO_SP_E_clIPjSG_PS9_SI_EESM_S12_SN_SO_SP_EUlS12_E1_NS1_11comp_targetILNS1_3genE10ELNS1_11target_archE1201ELNS1_3gpuE5ELNS1_3repE0EEENS1_36merge_oddeven_config_static_selectorELNS0_4arch9wavefront6targetE0EEEvSO_
    .private_segment_fixed_size: 0
    .sgpr_count:     22
    .sgpr_spill_count: 0
    .symbol:         _ZN7rocprim17ROCPRIM_400000_NS6detail17trampoline_kernelINS0_14default_configENS1_38merge_sort_block_merge_config_selectorIjN6thrust23THRUST_200600_302600_NS5tupleIffNS6_9null_typeES8_S8_S8_S8_S8_S8_S8_EEEEZZNS1_27merge_sort_block_merge_implIS3_NS6_6detail15normal_iteratorINS6_10device_ptrIjEEEENSD_INSE_IS9_EEEEjNS1_19radix_merge_compareILb0ELb1EjNS0_19identity_decomposerEEEEE10hipError_tT0_T1_T2_jT3_P12ihipStream_tbPNSt15iterator_traitsISN_E10value_typeEPNST_ISO_E10value_typeEPSP_NS1_7vsmem_tEENKUlT_SN_SO_SP_E_clIPjSG_PS9_SI_EESM_S12_SN_SO_SP_EUlS12_E1_NS1_11comp_targetILNS1_3genE10ELNS1_11target_archE1201ELNS1_3gpuE5ELNS1_3repE0EEENS1_36merge_oddeven_config_static_selectorELNS0_4arch9wavefront6targetE0EEEvSO_.kd
    .uniform_work_group_size: 1
    .uses_dynamic_stack: false
    .vgpr_count:     11
    .vgpr_spill_count: 0
    .wavefront_size: 32
    .workgroup_processor_mode: 1
  - .args:
      - .offset:         0
        .size:           48
        .value_kind:     by_value
    .group_segment_fixed_size: 0
    .kernarg_segment_align: 8
    .kernarg_segment_size: 48
    .language:       OpenCL C
    .language_version:
      - 2
      - 0
    .max_flat_workgroup_size: 256
    .name:           _ZN7rocprim17ROCPRIM_400000_NS6detail17trampoline_kernelINS0_14default_configENS1_38merge_sort_block_merge_config_selectorIjN6thrust23THRUST_200600_302600_NS5tupleIffNS6_9null_typeES8_S8_S8_S8_S8_S8_S8_EEEEZZNS1_27merge_sort_block_merge_implIS3_NS6_6detail15normal_iteratorINS6_10device_ptrIjEEEENSD_INSE_IS9_EEEEjNS1_19radix_merge_compareILb0ELb1EjNS0_19identity_decomposerEEEEE10hipError_tT0_T1_T2_jT3_P12ihipStream_tbPNSt15iterator_traitsISN_E10value_typeEPNST_ISO_E10value_typeEPSP_NS1_7vsmem_tEENKUlT_SN_SO_SP_E_clIPjSG_PS9_SI_EESM_S12_SN_SO_SP_EUlS12_E1_NS1_11comp_targetILNS1_3genE5ELNS1_11target_archE942ELNS1_3gpuE9ELNS1_3repE0EEENS1_36merge_oddeven_config_static_selectorELNS0_4arch9wavefront6targetE0EEEvSO_
    .private_segment_fixed_size: 0
    .sgpr_count:     0
    .sgpr_spill_count: 0
    .symbol:         _ZN7rocprim17ROCPRIM_400000_NS6detail17trampoline_kernelINS0_14default_configENS1_38merge_sort_block_merge_config_selectorIjN6thrust23THRUST_200600_302600_NS5tupleIffNS6_9null_typeES8_S8_S8_S8_S8_S8_S8_EEEEZZNS1_27merge_sort_block_merge_implIS3_NS6_6detail15normal_iteratorINS6_10device_ptrIjEEEENSD_INSE_IS9_EEEEjNS1_19radix_merge_compareILb0ELb1EjNS0_19identity_decomposerEEEEE10hipError_tT0_T1_T2_jT3_P12ihipStream_tbPNSt15iterator_traitsISN_E10value_typeEPNST_ISO_E10value_typeEPSP_NS1_7vsmem_tEENKUlT_SN_SO_SP_E_clIPjSG_PS9_SI_EESM_S12_SN_SO_SP_EUlS12_E1_NS1_11comp_targetILNS1_3genE5ELNS1_11target_archE942ELNS1_3gpuE9ELNS1_3repE0EEENS1_36merge_oddeven_config_static_selectorELNS0_4arch9wavefront6targetE0EEEvSO_.kd
    .uniform_work_group_size: 1
    .uses_dynamic_stack: false
    .vgpr_count:     0
    .vgpr_spill_count: 0
    .wavefront_size: 32
    .workgroup_processor_mode: 1
  - .args:
      - .offset:         0
        .size:           48
        .value_kind:     by_value
    .group_segment_fixed_size: 0
    .kernarg_segment_align: 8
    .kernarg_segment_size: 48
    .language:       OpenCL C
    .language_version:
      - 2
      - 0
    .max_flat_workgroup_size: 256
    .name:           _ZN7rocprim17ROCPRIM_400000_NS6detail17trampoline_kernelINS0_14default_configENS1_38merge_sort_block_merge_config_selectorIjN6thrust23THRUST_200600_302600_NS5tupleIffNS6_9null_typeES8_S8_S8_S8_S8_S8_S8_EEEEZZNS1_27merge_sort_block_merge_implIS3_NS6_6detail15normal_iteratorINS6_10device_ptrIjEEEENSD_INSE_IS9_EEEEjNS1_19radix_merge_compareILb0ELb1EjNS0_19identity_decomposerEEEEE10hipError_tT0_T1_T2_jT3_P12ihipStream_tbPNSt15iterator_traitsISN_E10value_typeEPNST_ISO_E10value_typeEPSP_NS1_7vsmem_tEENKUlT_SN_SO_SP_E_clIPjSG_PS9_SI_EESM_S12_SN_SO_SP_EUlS12_E1_NS1_11comp_targetILNS1_3genE4ELNS1_11target_archE910ELNS1_3gpuE8ELNS1_3repE0EEENS1_36merge_oddeven_config_static_selectorELNS0_4arch9wavefront6targetE0EEEvSO_
    .private_segment_fixed_size: 0
    .sgpr_count:     0
    .sgpr_spill_count: 0
    .symbol:         _ZN7rocprim17ROCPRIM_400000_NS6detail17trampoline_kernelINS0_14default_configENS1_38merge_sort_block_merge_config_selectorIjN6thrust23THRUST_200600_302600_NS5tupleIffNS6_9null_typeES8_S8_S8_S8_S8_S8_S8_EEEEZZNS1_27merge_sort_block_merge_implIS3_NS6_6detail15normal_iteratorINS6_10device_ptrIjEEEENSD_INSE_IS9_EEEEjNS1_19radix_merge_compareILb0ELb1EjNS0_19identity_decomposerEEEEE10hipError_tT0_T1_T2_jT3_P12ihipStream_tbPNSt15iterator_traitsISN_E10value_typeEPNST_ISO_E10value_typeEPSP_NS1_7vsmem_tEENKUlT_SN_SO_SP_E_clIPjSG_PS9_SI_EESM_S12_SN_SO_SP_EUlS12_E1_NS1_11comp_targetILNS1_3genE4ELNS1_11target_archE910ELNS1_3gpuE8ELNS1_3repE0EEENS1_36merge_oddeven_config_static_selectorELNS0_4arch9wavefront6targetE0EEEvSO_.kd
    .uniform_work_group_size: 1
    .uses_dynamic_stack: false
    .vgpr_count:     0
    .vgpr_spill_count: 0
    .wavefront_size: 32
    .workgroup_processor_mode: 1
  - .args:
      - .offset:         0
        .size:           48
        .value_kind:     by_value
    .group_segment_fixed_size: 0
    .kernarg_segment_align: 8
    .kernarg_segment_size: 48
    .language:       OpenCL C
    .language_version:
      - 2
      - 0
    .max_flat_workgroup_size: 256
    .name:           _ZN7rocprim17ROCPRIM_400000_NS6detail17trampoline_kernelINS0_14default_configENS1_38merge_sort_block_merge_config_selectorIjN6thrust23THRUST_200600_302600_NS5tupleIffNS6_9null_typeES8_S8_S8_S8_S8_S8_S8_EEEEZZNS1_27merge_sort_block_merge_implIS3_NS6_6detail15normal_iteratorINS6_10device_ptrIjEEEENSD_INSE_IS9_EEEEjNS1_19radix_merge_compareILb0ELb1EjNS0_19identity_decomposerEEEEE10hipError_tT0_T1_T2_jT3_P12ihipStream_tbPNSt15iterator_traitsISN_E10value_typeEPNST_ISO_E10value_typeEPSP_NS1_7vsmem_tEENKUlT_SN_SO_SP_E_clIPjSG_PS9_SI_EESM_S12_SN_SO_SP_EUlS12_E1_NS1_11comp_targetILNS1_3genE3ELNS1_11target_archE908ELNS1_3gpuE7ELNS1_3repE0EEENS1_36merge_oddeven_config_static_selectorELNS0_4arch9wavefront6targetE0EEEvSO_
    .private_segment_fixed_size: 0
    .sgpr_count:     0
    .sgpr_spill_count: 0
    .symbol:         _ZN7rocprim17ROCPRIM_400000_NS6detail17trampoline_kernelINS0_14default_configENS1_38merge_sort_block_merge_config_selectorIjN6thrust23THRUST_200600_302600_NS5tupleIffNS6_9null_typeES8_S8_S8_S8_S8_S8_S8_EEEEZZNS1_27merge_sort_block_merge_implIS3_NS6_6detail15normal_iteratorINS6_10device_ptrIjEEEENSD_INSE_IS9_EEEEjNS1_19radix_merge_compareILb0ELb1EjNS0_19identity_decomposerEEEEE10hipError_tT0_T1_T2_jT3_P12ihipStream_tbPNSt15iterator_traitsISN_E10value_typeEPNST_ISO_E10value_typeEPSP_NS1_7vsmem_tEENKUlT_SN_SO_SP_E_clIPjSG_PS9_SI_EESM_S12_SN_SO_SP_EUlS12_E1_NS1_11comp_targetILNS1_3genE3ELNS1_11target_archE908ELNS1_3gpuE7ELNS1_3repE0EEENS1_36merge_oddeven_config_static_selectorELNS0_4arch9wavefront6targetE0EEEvSO_.kd
    .uniform_work_group_size: 1
    .uses_dynamic_stack: false
    .vgpr_count:     0
    .vgpr_spill_count: 0
    .wavefront_size: 32
    .workgroup_processor_mode: 1
  - .args:
      - .offset:         0
        .size:           48
        .value_kind:     by_value
    .group_segment_fixed_size: 0
    .kernarg_segment_align: 8
    .kernarg_segment_size: 48
    .language:       OpenCL C
    .language_version:
      - 2
      - 0
    .max_flat_workgroup_size: 256
    .name:           _ZN7rocprim17ROCPRIM_400000_NS6detail17trampoline_kernelINS0_14default_configENS1_38merge_sort_block_merge_config_selectorIjN6thrust23THRUST_200600_302600_NS5tupleIffNS6_9null_typeES8_S8_S8_S8_S8_S8_S8_EEEEZZNS1_27merge_sort_block_merge_implIS3_NS6_6detail15normal_iteratorINS6_10device_ptrIjEEEENSD_INSE_IS9_EEEEjNS1_19radix_merge_compareILb0ELb1EjNS0_19identity_decomposerEEEEE10hipError_tT0_T1_T2_jT3_P12ihipStream_tbPNSt15iterator_traitsISN_E10value_typeEPNST_ISO_E10value_typeEPSP_NS1_7vsmem_tEENKUlT_SN_SO_SP_E_clIPjSG_PS9_SI_EESM_S12_SN_SO_SP_EUlS12_E1_NS1_11comp_targetILNS1_3genE2ELNS1_11target_archE906ELNS1_3gpuE6ELNS1_3repE0EEENS1_36merge_oddeven_config_static_selectorELNS0_4arch9wavefront6targetE0EEEvSO_
    .private_segment_fixed_size: 0
    .sgpr_count:     0
    .sgpr_spill_count: 0
    .symbol:         _ZN7rocprim17ROCPRIM_400000_NS6detail17trampoline_kernelINS0_14default_configENS1_38merge_sort_block_merge_config_selectorIjN6thrust23THRUST_200600_302600_NS5tupleIffNS6_9null_typeES8_S8_S8_S8_S8_S8_S8_EEEEZZNS1_27merge_sort_block_merge_implIS3_NS6_6detail15normal_iteratorINS6_10device_ptrIjEEEENSD_INSE_IS9_EEEEjNS1_19radix_merge_compareILb0ELb1EjNS0_19identity_decomposerEEEEE10hipError_tT0_T1_T2_jT3_P12ihipStream_tbPNSt15iterator_traitsISN_E10value_typeEPNST_ISO_E10value_typeEPSP_NS1_7vsmem_tEENKUlT_SN_SO_SP_E_clIPjSG_PS9_SI_EESM_S12_SN_SO_SP_EUlS12_E1_NS1_11comp_targetILNS1_3genE2ELNS1_11target_archE906ELNS1_3gpuE6ELNS1_3repE0EEENS1_36merge_oddeven_config_static_selectorELNS0_4arch9wavefront6targetE0EEEvSO_.kd
    .uniform_work_group_size: 1
    .uses_dynamic_stack: false
    .vgpr_count:     0
    .vgpr_spill_count: 0
    .wavefront_size: 32
    .workgroup_processor_mode: 1
  - .args:
      - .offset:         0
        .size:           48
        .value_kind:     by_value
    .group_segment_fixed_size: 0
    .kernarg_segment_align: 8
    .kernarg_segment_size: 48
    .language:       OpenCL C
    .language_version:
      - 2
      - 0
    .max_flat_workgroup_size: 256
    .name:           _ZN7rocprim17ROCPRIM_400000_NS6detail17trampoline_kernelINS0_14default_configENS1_38merge_sort_block_merge_config_selectorIjN6thrust23THRUST_200600_302600_NS5tupleIffNS6_9null_typeES8_S8_S8_S8_S8_S8_S8_EEEEZZNS1_27merge_sort_block_merge_implIS3_NS6_6detail15normal_iteratorINS6_10device_ptrIjEEEENSD_INSE_IS9_EEEEjNS1_19radix_merge_compareILb0ELb1EjNS0_19identity_decomposerEEEEE10hipError_tT0_T1_T2_jT3_P12ihipStream_tbPNSt15iterator_traitsISN_E10value_typeEPNST_ISO_E10value_typeEPSP_NS1_7vsmem_tEENKUlT_SN_SO_SP_E_clIPjSG_PS9_SI_EESM_S12_SN_SO_SP_EUlS12_E1_NS1_11comp_targetILNS1_3genE9ELNS1_11target_archE1100ELNS1_3gpuE3ELNS1_3repE0EEENS1_36merge_oddeven_config_static_selectorELNS0_4arch9wavefront6targetE0EEEvSO_
    .private_segment_fixed_size: 0
    .sgpr_count:     0
    .sgpr_spill_count: 0
    .symbol:         _ZN7rocprim17ROCPRIM_400000_NS6detail17trampoline_kernelINS0_14default_configENS1_38merge_sort_block_merge_config_selectorIjN6thrust23THRUST_200600_302600_NS5tupleIffNS6_9null_typeES8_S8_S8_S8_S8_S8_S8_EEEEZZNS1_27merge_sort_block_merge_implIS3_NS6_6detail15normal_iteratorINS6_10device_ptrIjEEEENSD_INSE_IS9_EEEEjNS1_19radix_merge_compareILb0ELb1EjNS0_19identity_decomposerEEEEE10hipError_tT0_T1_T2_jT3_P12ihipStream_tbPNSt15iterator_traitsISN_E10value_typeEPNST_ISO_E10value_typeEPSP_NS1_7vsmem_tEENKUlT_SN_SO_SP_E_clIPjSG_PS9_SI_EESM_S12_SN_SO_SP_EUlS12_E1_NS1_11comp_targetILNS1_3genE9ELNS1_11target_archE1100ELNS1_3gpuE3ELNS1_3repE0EEENS1_36merge_oddeven_config_static_selectorELNS0_4arch9wavefront6targetE0EEEvSO_.kd
    .uniform_work_group_size: 1
    .uses_dynamic_stack: false
    .vgpr_count:     0
    .vgpr_spill_count: 0
    .wavefront_size: 32
    .workgroup_processor_mode: 1
  - .args:
      - .offset:         0
        .size:           48
        .value_kind:     by_value
    .group_segment_fixed_size: 0
    .kernarg_segment_align: 8
    .kernarg_segment_size: 48
    .language:       OpenCL C
    .language_version:
      - 2
      - 0
    .max_flat_workgroup_size: 256
    .name:           _ZN7rocprim17ROCPRIM_400000_NS6detail17trampoline_kernelINS0_14default_configENS1_38merge_sort_block_merge_config_selectorIjN6thrust23THRUST_200600_302600_NS5tupleIffNS6_9null_typeES8_S8_S8_S8_S8_S8_S8_EEEEZZNS1_27merge_sort_block_merge_implIS3_NS6_6detail15normal_iteratorINS6_10device_ptrIjEEEENSD_INSE_IS9_EEEEjNS1_19radix_merge_compareILb0ELb1EjNS0_19identity_decomposerEEEEE10hipError_tT0_T1_T2_jT3_P12ihipStream_tbPNSt15iterator_traitsISN_E10value_typeEPNST_ISO_E10value_typeEPSP_NS1_7vsmem_tEENKUlT_SN_SO_SP_E_clIPjSG_PS9_SI_EESM_S12_SN_SO_SP_EUlS12_E1_NS1_11comp_targetILNS1_3genE8ELNS1_11target_archE1030ELNS1_3gpuE2ELNS1_3repE0EEENS1_36merge_oddeven_config_static_selectorELNS0_4arch9wavefront6targetE0EEEvSO_
    .private_segment_fixed_size: 0
    .sgpr_count:     0
    .sgpr_spill_count: 0
    .symbol:         _ZN7rocprim17ROCPRIM_400000_NS6detail17trampoline_kernelINS0_14default_configENS1_38merge_sort_block_merge_config_selectorIjN6thrust23THRUST_200600_302600_NS5tupleIffNS6_9null_typeES8_S8_S8_S8_S8_S8_S8_EEEEZZNS1_27merge_sort_block_merge_implIS3_NS6_6detail15normal_iteratorINS6_10device_ptrIjEEEENSD_INSE_IS9_EEEEjNS1_19radix_merge_compareILb0ELb1EjNS0_19identity_decomposerEEEEE10hipError_tT0_T1_T2_jT3_P12ihipStream_tbPNSt15iterator_traitsISN_E10value_typeEPNST_ISO_E10value_typeEPSP_NS1_7vsmem_tEENKUlT_SN_SO_SP_E_clIPjSG_PS9_SI_EESM_S12_SN_SO_SP_EUlS12_E1_NS1_11comp_targetILNS1_3genE8ELNS1_11target_archE1030ELNS1_3gpuE2ELNS1_3repE0EEENS1_36merge_oddeven_config_static_selectorELNS0_4arch9wavefront6targetE0EEEvSO_.kd
    .uniform_work_group_size: 1
    .uses_dynamic_stack: false
    .vgpr_count:     0
    .vgpr_spill_count: 0
    .wavefront_size: 32
    .workgroup_processor_mode: 1
  - .args:
      - .offset:         0
        .size:           40
        .value_kind:     by_value
    .group_segment_fixed_size: 0
    .kernarg_segment_align: 8
    .kernarg_segment_size: 40
    .language:       OpenCL C
    .language_version:
      - 2
      - 0
    .max_flat_workgroup_size: 128
    .name:           _ZN7rocprim17ROCPRIM_400000_NS6detail17trampoline_kernelINS0_14default_configENS1_38merge_sort_block_merge_config_selectorIjN6thrust23THRUST_200600_302600_NS5tupleIffNS6_9null_typeES8_S8_S8_S8_S8_S8_S8_EEEEZZNS1_27merge_sort_block_merge_implIS3_NS6_6detail15normal_iteratorINS6_10device_ptrIjEEEENSD_INSE_IS9_EEEEjNS1_19radix_merge_compareILb0ELb1EjNS0_19identity_decomposerEEEEE10hipError_tT0_T1_T2_jT3_P12ihipStream_tbPNSt15iterator_traitsISN_E10value_typeEPNST_ISO_E10value_typeEPSP_NS1_7vsmem_tEENKUlT_SN_SO_SP_E_clISG_PjSI_PS9_EESM_S12_SN_SO_SP_EUlS12_E_NS1_11comp_targetILNS1_3genE0ELNS1_11target_archE4294967295ELNS1_3gpuE0ELNS1_3repE0EEENS1_48merge_mergepath_partition_config_static_selectorELNS0_4arch9wavefront6targetE0EEEvSO_
    .private_segment_fixed_size: 0
    .sgpr_count:     0
    .sgpr_spill_count: 0
    .symbol:         _ZN7rocprim17ROCPRIM_400000_NS6detail17trampoline_kernelINS0_14default_configENS1_38merge_sort_block_merge_config_selectorIjN6thrust23THRUST_200600_302600_NS5tupleIffNS6_9null_typeES8_S8_S8_S8_S8_S8_S8_EEEEZZNS1_27merge_sort_block_merge_implIS3_NS6_6detail15normal_iteratorINS6_10device_ptrIjEEEENSD_INSE_IS9_EEEEjNS1_19radix_merge_compareILb0ELb1EjNS0_19identity_decomposerEEEEE10hipError_tT0_T1_T2_jT3_P12ihipStream_tbPNSt15iterator_traitsISN_E10value_typeEPNST_ISO_E10value_typeEPSP_NS1_7vsmem_tEENKUlT_SN_SO_SP_E_clISG_PjSI_PS9_EESM_S12_SN_SO_SP_EUlS12_E_NS1_11comp_targetILNS1_3genE0ELNS1_11target_archE4294967295ELNS1_3gpuE0ELNS1_3repE0EEENS1_48merge_mergepath_partition_config_static_selectorELNS0_4arch9wavefront6targetE0EEEvSO_.kd
    .uniform_work_group_size: 1
    .uses_dynamic_stack: false
    .vgpr_count:     0
    .vgpr_spill_count: 0
    .wavefront_size: 32
    .workgroup_processor_mode: 1
  - .args:
      - .offset:         0
        .size:           40
        .value_kind:     by_value
    .group_segment_fixed_size: 0
    .kernarg_segment_align: 8
    .kernarg_segment_size: 40
    .language:       OpenCL C
    .language_version:
      - 2
      - 0
    .max_flat_workgroup_size: 128
    .name:           _ZN7rocprim17ROCPRIM_400000_NS6detail17trampoline_kernelINS0_14default_configENS1_38merge_sort_block_merge_config_selectorIjN6thrust23THRUST_200600_302600_NS5tupleIffNS6_9null_typeES8_S8_S8_S8_S8_S8_S8_EEEEZZNS1_27merge_sort_block_merge_implIS3_NS6_6detail15normal_iteratorINS6_10device_ptrIjEEEENSD_INSE_IS9_EEEEjNS1_19radix_merge_compareILb0ELb1EjNS0_19identity_decomposerEEEEE10hipError_tT0_T1_T2_jT3_P12ihipStream_tbPNSt15iterator_traitsISN_E10value_typeEPNST_ISO_E10value_typeEPSP_NS1_7vsmem_tEENKUlT_SN_SO_SP_E_clISG_PjSI_PS9_EESM_S12_SN_SO_SP_EUlS12_E_NS1_11comp_targetILNS1_3genE10ELNS1_11target_archE1201ELNS1_3gpuE5ELNS1_3repE0EEENS1_48merge_mergepath_partition_config_static_selectorELNS0_4arch9wavefront6targetE0EEEvSO_
    .private_segment_fixed_size: 0
    .sgpr_count:     9
    .sgpr_spill_count: 0
    .symbol:         _ZN7rocprim17ROCPRIM_400000_NS6detail17trampoline_kernelINS0_14default_configENS1_38merge_sort_block_merge_config_selectorIjN6thrust23THRUST_200600_302600_NS5tupleIffNS6_9null_typeES8_S8_S8_S8_S8_S8_S8_EEEEZZNS1_27merge_sort_block_merge_implIS3_NS6_6detail15normal_iteratorINS6_10device_ptrIjEEEENSD_INSE_IS9_EEEEjNS1_19radix_merge_compareILb0ELb1EjNS0_19identity_decomposerEEEEE10hipError_tT0_T1_T2_jT3_P12ihipStream_tbPNSt15iterator_traitsISN_E10value_typeEPNST_ISO_E10value_typeEPSP_NS1_7vsmem_tEENKUlT_SN_SO_SP_E_clISG_PjSI_PS9_EESM_S12_SN_SO_SP_EUlS12_E_NS1_11comp_targetILNS1_3genE10ELNS1_11target_archE1201ELNS1_3gpuE5ELNS1_3repE0EEENS1_48merge_mergepath_partition_config_static_selectorELNS0_4arch9wavefront6targetE0EEEvSO_.kd
    .uniform_work_group_size: 1
    .uses_dynamic_stack: false
    .vgpr_count:     15
    .vgpr_spill_count: 0
    .wavefront_size: 32
    .workgroup_processor_mode: 1
  - .args:
      - .offset:         0
        .size:           40
        .value_kind:     by_value
    .group_segment_fixed_size: 0
    .kernarg_segment_align: 8
    .kernarg_segment_size: 40
    .language:       OpenCL C
    .language_version:
      - 2
      - 0
    .max_flat_workgroup_size: 128
    .name:           _ZN7rocprim17ROCPRIM_400000_NS6detail17trampoline_kernelINS0_14default_configENS1_38merge_sort_block_merge_config_selectorIjN6thrust23THRUST_200600_302600_NS5tupleIffNS6_9null_typeES8_S8_S8_S8_S8_S8_S8_EEEEZZNS1_27merge_sort_block_merge_implIS3_NS6_6detail15normal_iteratorINS6_10device_ptrIjEEEENSD_INSE_IS9_EEEEjNS1_19radix_merge_compareILb0ELb1EjNS0_19identity_decomposerEEEEE10hipError_tT0_T1_T2_jT3_P12ihipStream_tbPNSt15iterator_traitsISN_E10value_typeEPNST_ISO_E10value_typeEPSP_NS1_7vsmem_tEENKUlT_SN_SO_SP_E_clISG_PjSI_PS9_EESM_S12_SN_SO_SP_EUlS12_E_NS1_11comp_targetILNS1_3genE5ELNS1_11target_archE942ELNS1_3gpuE9ELNS1_3repE0EEENS1_48merge_mergepath_partition_config_static_selectorELNS0_4arch9wavefront6targetE0EEEvSO_
    .private_segment_fixed_size: 0
    .sgpr_count:     0
    .sgpr_spill_count: 0
    .symbol:         _ZN7rocprim17ROCPRIM_400000_NS6detail17trampoline_kernelINS0_14default_configENS1_38merge_sort_block_merge_config_selectorIjN6thrust23THRUST_200600_302600_NS5tupleIffNS6_9null_typeES8_S8_S8_S8_S8_S8_S8_EEEEZZNS1_27merge_sort_block_merge_implIS3_NS6_6detail15normal_iteratorINS6_10device_ptrIjEEEENSD_INSE_IS9_EEEEjNS1_19radix_merge_compareILb0ELb1EjNS0_19identity_decomposerEEEEE10hipError_tT0_T1_T2_jT3_P12ihipStream_tbPNSt15iterator_traitsISN_E10value_typeEPNST_ISO_E10value_typeEPSP_NS1_7vsmem_tEENKUlT_SN_SO_SP_E_clISG_PjSI_PS9_EESM_S12_SN_SO_SP_EUlS12_E_NS1_11comp_targetILNS1_3genE5ELNS1_11target_archE942ELNS1_3gpuE9ELNS1_3repE0EEENS1_48merge_mergepath_partition_config_static_selectorELNS0_4arch9wavefront6targetE0EEEvSO_.kd
    .uniform_work_group_size: 1
    .uses_dynamic_stack: false
    .vgpr_count:     0
    .vgpr_spill_count: 0
    .wavefront_size: 32
    .workgroup_processor_mode: 1
  - .args:
      - .offset:         0
        .size:           40
        .value_kind:     by_value
    .group_segment_fixed_size: 0
    .kernarg_segment_align: 8
    .kernarg_segment_size: 40
    .language:       OpenCL C
    .language_version:
      - 2
      - 0
    .max_flat_workgroup_size: 128
    .name:           _ZN7rocprim17ROCPRIM_400000_NS6detail17trampoline_kernelINS0_14default_configENS1_38merge_sort_block_merge_config_selectorIjN6thrust23THRUST_200600_302600_NS5tupleIffNS6_9null_typeES8_S8_S8_S8_S8_S8_S8_EEEEZZNS1_27merge_sort_block_merge_implIS3_NS6_6detail15normal_iteratorINS6_10device_ptrIjEEEENSD_INSE_IS9_EEEEjNS1_19radix_merge_compareILb0ELb1EjNS0_19identity_decomposerEEEEE10hipError_tT0_T1_T2_jT3_P12ihipStream_tbPNSt15iterator_traitsISN_E10value_typeEPNST_ISO_E10value_typeEPSP_NS1_7vsmem_tEENKUlT_SN_SO_SP_E_clISG_PjSI_PS9_EESM_S12_SN_SO_SP_EUlS12_E_NS1_11comp_targetILNS1_3genE4ELNS1_11target_archE910ELNS1_3gpuE8ELNS1_3repE0EEENS1_48merge_mergepath_partition_config_static_selectorELNS0_4arch9wavefront6targetE0EEEvSO_
    .private_segment_fixed_size: 0
    .sgpr_count:     0
    .sgpr_spill_count: 0
    .symbol:         _ZN7rocprim17ROCPRIM_400000_NS6detail17trampoline_kernelINS0_14default_configENS1_38merge_sort_block_merge_config_selectorIjN6thrust23THRUST_200600_302600_NS5tupleIffNS6_9null_typeES8_S8_S8_S8_S8_S8_S8_EEEEZZNS1_27merge_sort_block_merge_implIS3_NS6_6detail15normal_iteratorINS6_10device_ptrIjEEEENSD_INSE_IS9_EEEEjNS1_19radix_merge_compareILb0ELb1EjNS0_19identity_decomposerEEEEE10hipError_tT0_T1_T2_jT3_P12ihipStream_tbPNSt15iterator_traitsISN_E10value_typeEPNST_ISO_E10value_typeEPSP_NS1_7vsmem_tEENKUlT_SN_SO_SP_E_clISG_PjSI_PS9_EESM_S12_SN_SO_SP_EUlS12_E_NS1_11comp_targetILNS1_3genE4ELNS1_11target_archE910ELNS1_3gpuE8ELNS1_3repE0EEENS1_48merge_mergepath_partition_config_static_selectorELNS0_4arch9wavefront6targetE0EEEvSO_.kd
    .uniform_work_group_size: 1
    .uses_dynamic_stack: false
    .vgpr_count:     0
    .vgpr_spill_count: 0
    .wavefront_size: 32
    .workgroup_processor_mode: 1
  - .args:
      - .offset:         0
        .size:           40
        .value_kind:     by_value
    .group_segment_fixed_size: 0
    .kernarg_segment_align: 8
    .kernarg_segment_size: 40
    .language:       OpenCL C
    .language_version:
      - 2
      - 0
    .max_flat_workgroup_size: 128
    .name:           _ZN7rocprim17ROCPRIM_400000_NS6detail17trampoline_kernelINS0_14default_configENS1_38merge_sort_block_merge_config_selectorIjN6thrust23THRUST_200600_302600_NS5tupleIffNS6_9null_typeES8_S8_S8_S8_S8_S8_S8_EEEEZZNS1_27merge_sort_block_merge_implIS3_NS6_6detail15normal_iteratorINS6_10device_ptrIjEEEENSD_INSE_IS9_EEEEjNS1_19radix_merge_compareILb0ELb1EjNS0_19identity_decomposerEEEEE10hipError_tT0_T1_T2_jT3_P12ihipStream_tbPNSt15iterator_traitsISN_E10value_typeEPNST_ISO_E10value_typeEPSP_NS1_7vsmem_tEENKUlT_SN_SO_SP_E_clISG_PjSI_PS9_EESM_S12_SN_SO_SP_EUlS12_E_NS1_11comp_targetILNS1_3genE3ELNS1_11target_archE908ELNS1_3gpuE7ELNS1_3repE0EEENS1_48merge_mergepath_partition_config_static_selectorELNS0_4arch9wavefront6targetE0EEEvSO_
    .private_segment_fixed_size: 0
    .sgpr_count:     0
    .sgpr_spill_count: 0
    .symbol:         _ZN7rocprim17ROCPRIM_400000_NS6detail17trampoline_kernelINS0_14default_configENS1_38merge_sort_block_merge_config_selectorIjN6thrust23THRUST_200600_302600_NS5tupleIffNS6_9null_typeES8_S8_S8_S8_S8_S8_S8_EEEEZZNS1_27merge_sort_block_merge_implIS3_NS6_6detail15normal_iteratorINS6_10device_ptrIjEEEENSD_INSE_IS9_EEEEjNS1_19radix_merge_compareILb0ELb1EjNS0_19identity_decomposerEEEEE10hipError_tT0_T1_T2_jT3_P12ihipStream_tbPNSt15iterator_traitsISN_E10value_typeEPNST_ISO_E10value_typeEPSP_NS1_7vsmem_tEENKUlT_SN_SO_SP_E_clISG_PjSI_PS9_EESM_S12_SN_SO_SP_EUlS12_E_NS1_11comp_targetILNS1_3genE3ELNS1_11target_archE908ELNS1_3gpuE7ELNS1_3repE0EEENS1_48merge_mergepath_partition_config_static_selectorELNS0_4arch9wavefront6targetE0EEEvSO_.kd
    .uniform_work_group_size: 1
    .uses_dynamic_stack: false
    .vgpr_count:     0
    .vgpr_spill_count: 0
    .wavefront_size: 32
    .workgroup_processor_mode: 1
  - .args:
      - .offset:         0
        .size:           40
        .value_kind:     by_value
    .group_segment_fixed_size: 0
    .kernarg_segment_align: 8
    .kernarg_segment_size: 40
    .language:       OpenCL C
    .language_version:
      - 2
      - 0
    .max_flat_workgroup_size: 128
    .name:           _ZN7rocprim17ROCPRIM_400000_NS6detail17trampoline_kernelINS0_14default_configENS1_38merge_sort_block_merge_config_selectorIjN6thrust23THRUST_200600_302600_NS5tupleIffNS6_9null_typeES8_S8_S8_S8_S8_S8_S8_EEEEZZNS1_27merge_sort_block_merge_implIS3_NS6_6detail15normal_iteratorINS6_10device_ptrIjEEEENSD_INSE_IS9_EEEEjNS1_19radix_merge_compareILb0ELb1EjNS0_19identity_decomposerEEEEE10hipError_tT0_T1_T2_jT3_P12ihipStream_tbPNSt15iterator_traitsISN_E10value_typeEPNST_ISO_E10value_typeEPSP_NS1_7vsmem_tEENKUlT_SN_SO_SP_E_clISG_PjSI_PS9_EESM_S12_SN_SO_SP_EUlS12_E_NS1_11comp_targetILNS1_3genE2ELNS1_11target_archE906ELNS1_3gpuE6ELNS1_3repE0EEENS1_48merge_mergepath_partition_config_static_selectorELNS0_4arch9wavefront6targetE0EEEvSO_
    .private_segment_fixed_size: 0
    .sgpr_count:     0
    .sgpr_spill_count: 0
    .symbol:         _ZN7rocprim17ROCPRIM_400000_NS6detail17trampoline_kernelINS0_14default_configENS1_38merge_sort_block_merge_config_selectorIjN6thrust23THRUST_200600_302600_NS5tupleIffNS6_9null_typeES8_S8_S8_S8_S8_S8_S8_EEEEZZNS1_27merge_sort_block_merge_implIS3_NS6_6detail15normal_iteratorINS6_10device_ptrIjEEEENSD_INSE_IS9_EEEEjNS1_19radix_merge_compareILb0ELb1EjNS0_19identity_decomposerEEEEE10hipError_tT0_T1_T2_jT3_P12ihipStream_tbPNSt15iterator_traitsISN_E10value_typeEPNST_ISO_E10value_typeEPSP_NS1_7vsmem_tEENKUlT_SN_SO_SP_E_clISG_PjSI_PS9_EESM_S12_SN_SO_SP_EUlS12_E_NS1_11comp_targetILNS1_3genE2ELNS1_11target_archE906ELNS1_3gpuE6ELNS1_3repE0EEENS1_48merge_mergepath_partition_config_static_selectorELNS0_4arch9wavefront6targetE0EEEvSO_.kd
    .uniform_work_group_size: 1
    .uses_dynamic_stack: false
    .vgpr_count:     0
    .vgpr_spill_count: 0
    .wavefront_size: 32
    .workgroup_processor_mode: 1
  - .args:
      - .offset:         0
        .size:           40
        .value_kind:     by_value
    .group_segment_fixed_size: 0
    .kernarg_segment_align: 8
    .kernarg_segment_size: 40
    .language:       OpenCL C
    .language_version:
      - 2
      - 0
    .max_flat_workgroup_size: 128
    .name:           _ZN7rocprim17ROCPRIM_400000_NS6detail17trampoline_kernelINS0_14default_configENS1_38merge_sort_block_merge_config_selectorIjN6thrust23THRUST_200600_302600_NS5tupleIffNS6_9null_typeES8_S8_S8_S8_S8_S8_S8_EEEEZZNS1_27merge_sort_block_merge_implIS3_NS6_6detail15normal_iteratorINS6_10device_ptrIjEEEENSD_INSE_IS9_EEEEjNS1_19radix_merge_compareILb0ELb1EjNS0_19identity_decomposerEEEEE10hipError_tT0_T1_T2_jT3_P12ihipStream_tbPNSt15iterator_traitsISN_E10value_typeEPNST_ISO_E10value_typeEPSP_NS1_7vsmem_tEENKUlT_SN_SO_SP_E_clISG_PjSI_PS9_EESM_S12_SN_SO_SP_EUlS12_E_NS1_11comp_targetILNS1_3genE9ELNS1_11target_archE1100ELNS1_3gpuE3ELNS1_3repE0EEENS1_48merge_mergepath_partition_config_static_selectorELNS0_4arch9wavefront6targetE0EEEvSO_
    .private_segment_fixed_size: 0
    .sgpr_count:     0
    .sgpr_spill_count: 0
    .symbol:         _ZN7rocprim17ROCPRIM_400000_NS6detail17trampoline_kernelINS0_14default_configENS1_38merge_sort_block_merge_config_selectorIjN6thrust23THRUST_200600_302600_NS5tupleIffNS6_9null_typeES8_S8_S8_S8_S8_S8_S8_EEEEZZNS1_27merge_sort_block_merge_implIS3_NS6_6detail15normal_iteratorINS6_10device_ptrIjEEEENSD_INSE_IS9_EEEEjNS1_19radix_merge_compareILb0ELb1EjNS0_19identity_decomposerEEEEE10hipError_tT0_T1_T2_jT3_P12ihipStream_tbPNSt15iterator_traitsISN_E10value_typeEPNST_ISO_E10value_typeEPSP_NS1_7vsmem_tEENKUlT_SN_SO_SP_E_clISG_PjSI_PS9_EESM_S12_SN_SO_SP_EUlS12_E_NS1_11comp_targetILNS1_3genE9ELNS1_11target_archE1100ELNS1_3gpuE3ELNS1_3repE0EEENS1_48merge_mergepath_partition_config_static_selectorELNS0_4arch9wavefront6targetE0EEEvSO_.kd
    .uniform_work_group_size: 1
    .uses_dynamic_stack: false
    .vgpr_count:     0
    .vgpr_spill_count: 0
    .wavefront_size: 32
    .workgroup_processor_mode: 1
  - .args:
      - .offset:         0
        .size:           40
        .value_kind:     by_value
    .group_segment_fixed_size: 0
    .kernarg_segment_align: 8
    .kernarg_segment_size: 40
    .language:       OpenCL C
    .language_version:
      - 2
      - 0
    .max_flat_workgroup_size: 128
    .name:           _ZN7rocprim17ROCPRIM_400000_NS6detail17trampoline_kernelINS0_14default_configENS1_38merge_sort_block_merge_config_selectorIjN6thrust23THRUST_200600_302600_NS5tupleIffNS6_9null_typeES8_S8_S8_S8_S8_S8_S8_EEEEZZNS1_27merge_sort_block_merge_implIS3_NS6_6detail15normal_iteratorINS6_10device_ptrIjEEEENSD_INSE_IS9_EEEEjNS1_19radix_merge_compareILb0ELb1EjNS0_19identity_decomposerEEEEE10hipError_tT0_T1_T2_jT3_P12ihipStream_tbPNSt15iterator_traitsISN_E10value_typeEPNST_ISO_E10value_typeEPSP_NS1_7vsmem_tEENKUlT_SN_SO_SP_E_clISG_PjSI_PS9_EESM_S12_SN_SO_SP_EUlS12_E_NS1_11comp_targetILNS1_3genE8ELNS1_11target_archE1030ELNS1_3gpuE2ELNS1_3repE0EEENS1_48merge_mergepath_partition_config_static_selectorELNS0_4arch9wavefront6targetE0EEEvSO_
    .private_segment_fixed_size: 0
    .sgpr_count:     0
    .sgpr_spill_count: 0
    .symbol:         _ZN7rocprim17ROCPRIM_400000_NS6detail17trampoline_kernelINS0_14default_configENS1_38merge_sort_block_merge_config_selectorIjN6thrust23THRUST_200600_302600_NS5tupleIffNS6_9null_typeES8_S8_S8_S8_S8_S8_S8_EEEEZZNS1_27merge_sort_block_merge_implIS3_NS6_6detail15normal_iteratorINS6_10device_ptrIjEEEENSD_INSE_IS9_EEEEjNS1_19radix_merge_compareILb0ELb1EjNS0_19identity_decomposerEEEEE10hipError_tT0_T1_T2_jT3_P12ihipStream_tbPNSt15iterator_traitsISN_E10value_typeEPNST_ISO_E10value_typeEPSP_NS1_7vsmem_tEENKUlT_SN_SO_SP_E_clISG_PjSI_PS9_EESM_S12_SN_SO_SP_EUlS12_E_NS1_11comp_targetILNS1_3genE8ELNS1_11target_archE1030ELNS1_3gpuE2ELNS1_3repE0EEENS1_48merge_mergepath_partition_config_static_selectorELNS0_4arch9wavefront6targetE0EEEvSO_.kd
    .uniform_work_group_size: 1
    .uses_dynamic_stack: false
    .vgpr_count:     0
    .vgpr_spill_count: 0
    .wavefront_size: 32
    .workgroup_processor_mode: 1
  - .args:
      - .offset:         0
        .size:           64
        .value_kind:     by_value
    .group_segment_fixed_size: 0
    .kernarg_segment_align: 8
    .kernarg_segment_size: 64
    .language:       OpenCL C
    .language_version:
      - 2
      - 0
    .max_flat_workgroup_size: 512
    .name:           _ZN7rocprim17ROCPRIM_400000_NS6detail17trampoline_kernelINS0_14default_configENS1_38merge_sort_block_merge_config_selectorIjN6thrust23THRUST_200600_302600_NS5tupleIffNS6_9null_typeES8_S8_S8_S8_S8_S8_S8_EEEEZZNS1_27merge_sort_block_merge_implIS3_NS6_6detail15normal_iteratorINS6_10device_ptrIjEEEENSD_INSE_IS9_EEEEjNS1_19radix_merge_compareILb0ELb1EjNS0_19identity_decomposerEEEEE10hipError_tT0_T1_T2_jT3_P12ihipStream_tbPNSt15iterator_traitsISN_E10value_typeEPNST_ISO_E10value_typeEPSP_NS1_7vsmem_tEENKUlT_SN_SO_SP_E_clISG_PjSI_PS9_EESM_S12_SN_SO_SP_EUlS12_E0_NS1_11comp_targetILNS1_3genE0ELNS1_11target_archE4294967295ELNS1_3gpuE0ELNS1_3repE0EEENS1_38merge_mergepath_config_static_selectorELNS0_4arch9wavefront6targetE0EEEvSO_
    .private_segment_fixed_size: 0
    .sgpr_count:     0
    .sgpr_spill_count: 0
    .symbol:         _ZN7rocprim17ROCPRIM_400000_NS6detail17trampoline_kernelINS0_14default_configENS1_38merge_sort_block_merge_config_selectorIjN6thrust23THRUST_200600_302600_NS5tupleIffNS6_9null_typeES8_S8_S8_S8_S8_S8_S8_EEEEZZNS1_27merge_sort_block_merge_implIS3_NS6_6detail15normal_iteratorINS6_10device_ptrIjEEEENSD_INSE_IS9_EEEEjNS1_19radix_merge_compareILb0ELb1EjNS0_19identity_decomposerEEEEE10hipError_tT0_T1_T2_jT3_P12ihipStream_tbPNSt15iterator_traitsISN_E10value_typeEPNST_ISO_E10value_typeEPSP_NS1_7vsmem_tEENKUlT_SN_SO_SP_E_clISG_PjSI_PS9_EESM_S12_SN_SO_SP_EUlS12_E0_NS1_11comp_targetILNS1_3genE0ELNS1_11target_archE4294967295ELNS1_3gpuE0ELNS1_3repE0EEENS1_38merge_mergepath_config_static_selectorELNS0_4arch9wavefront6targetE0EEEvSO_.kd
    .uniform_work_group_size: 1
    .uses_dynamic_stack: false
    .vgpr_count:     0
    .vgpr_spill_count: 0
    .wavefront_size: 32
    .workgroup_processor_mode: 1
  - .args:
      - .offset:         0
        .size:           64
        .value_kind:     by_value
      - .offset:         64
        .size:           4
        .value_kind:     hidden_block_count_x
      - .offset:         68
        .size:           4
        .value_kind:     hidden_block_count_y
      - .offset:         72
        .size:           4
        .value_kind:     hidden_block_count_z
      - .offset:         76
        .size:           2
        .value_kind:     hidden_group_size_x
      - .offset:         78
        .size:           2
        .value_kind:     hidden_group_size_y
      - .offset:         80
        .size:           2
        .value_kind:     hidden_group_size_z
      - .offset:         82
        .size:           2
        .value_kind:     hidden_remainder_x
      - .offset:         84
        .size:           2
        .value_kind:     hidden_remainder_y
      - .offset:         86
        .size:           2
        .value_kind:     hidden_remainder_z
      - .offset:         104
        .size:           8
        .value_kind:     hidden_global_offset_x
      - .offset:         112
        .size:           8
        .value_kind:     hidden_global_offset_y
      - .offset:         120
        .size:           8
        .value_kind:     hidden_global_offset_z
      - .offset:         128
        .size:           2
        .value_kind:     hidden_grid_dims
    .group_segment_fixed_size: 8448
    .kernarg_segment_align: 8
    .kernarg_segment_size: 320
    .language:       OpenCL C
    .language_version:
      - 2
      - 0
    .max_flat_workgroup_size: 512
    .name:           _ZN7rocprim17ROCPRIM_400000_NS6detail17trampoline_kernelINS0_14default_configENS1_38merge_sort_block_merge_config_selectorIjN6thrust23THRUST_200600_302600_NS5tupleIffNS6_9null_typeES8_S8_S8_S8_S8_S8_S8_EEEEZZNS1_27merge_sort_block_merge_implIS3_NS6_6detail15normal_iteratorINS6_10device_ptrIjEEEENSD_INSE_IS9_EEEEjNS1_19radix_merge_compareILb0ELb1EjNS0_19identity_decomposerEEEEE10hipError_tT0_T1_T2_jT3_P12ihipStream_tbPNSt15iterator_traitsISN_E10value_typeEPNST_ISO_E10value_typeEPSP_NS1_7vsmem_tEENKUlT_SN_SO_SP_E_clISG_PjSI_PS9_EESM_S12_SN_SO_SP_EUlS12_E0_NS1_11comp_targetILNS1_3genE10ELNS1_11target_archE1201ELNS1_3gpuE5ELNS1_3repE0EEENS1_38merge_mergepath_config_static_selectorELNS0_4arch9wavefront6targetE0EEEvSO_
    .private_segment_fixed_size: 0
    .sgpr_count:     32
    .sgpr_spill_count: 0
    .symbol:         _ZN7rocprim17ROCPRIM_400000_NS6detail17trampoline_kernelINS0_14default_configENS1_38merge_sort_block_merge_config_selectorIjN6thrust23THRUST_200600_302600_NS5tupleIffNS6_9null_typeES8_S8_S8_S8_S8_S8_S8_EEEEZZNS1_27merge_sort_block_merge_implIS3_NS6_6detail15normal_iteratorINS6_10device_ptrIjEEEENSD_INSE_IS9_EEEEjNS1_19radix_merge_compareILb0ELb1EjNS0_19identity_decomposerEEEEE10hipError_tT0_T1_T2_jT3_P12ihipStream_tbPNSt15iterator_traitsISN_E10value_typeEPNST_ISO_E10value_typeEPSP_NS1_7vsmem_tEENKUlT_SN_SO_SP_E_clISG_PjSI_PS9_EESM_S12_SN_SO_SP_EUlS12_E0_NS1_11comp_targetILNS1_3genE10ELNS1_11target_archE1201ELNS1_3gpuE5ELNS1_3repE0EEENS1_38merge_mergepath_config_static_selectorELNS0_4arch9wavefront6targetE0EEEvSO_.kd
    .uniform_work_group_size: 1
    .uses_dynamic_stack: false
    .vgpr_count:     19
    .vgpr_spill_count: 0
    .wavefront_size: 32
    .workgroup_processor_mode: 1
  - .args:
      - .offset:         0
        .size:           64
        .value_kind:     by_value
    .group_segment_fixed_size: 0
    .kernarg_segment_align: 8
    .kernarg_segment_size: 64
    .language:       OpenCL C
    .language_version:
      - 2
      - 0
    .max_flat_workgroup_size: 256
    .name:           _ZN7rocprim17ROCPRIM_400000_NS6detail17trampoline_kernelINS0_14default_configENS1_38merge_sort_block_merge_config_selectorIjN6thrust23THRUST_200600_302600_NS5tupleIffNS6_9null_typeES8_S8_S8_S8_S8_S8_S8_EEEEZZNS1_27merge_sort_block_merge_implIS3_NS6_6detail15normal_iteratorINS6_10device_ptrIjEEEENSD_INSE_IS9_EEEEjNS1_19radix_merge_compareILb0ELb1EjNS0_19identity_decomposerEEEEE10hipError_tT0_T1_T2_jT3_P12ihipStream_tbPNSt15iterator_traitsISN_E10value_typeEPNST_ISO_E10value_typeEPSP_NS1_7vsmem_tEENKUlT_SN_SO_SP_E_clISG_PjSI_PS9_EESM_S12_SN_SO_SP_EUlS12_E0_NS1_11comp_targetILNS1_3genE5ELNS1_11target_archE942ELNS1_3gpuE9ELNS1_3repE0EEENS1_38merge_mergepath_config_static_selectorELNS0_4arch9wavefront6targetE0EEEvSO_
    .private_segment_fixed_size: 0
    .sgpr_count:     0
    .sgpr_spill_count: 0
    .symbol:         _ZN7rocprim17ROCPRIM_400000_NS6detail17trampoline_kernelINS0_14default_configENS1_38merge_sort_block_merge_config_selectorIjN6thrust23THRUST_200600_302600_NS5tupleIffNS6_9null_typeES8_S8_S8_S8_S8_S8_S8_EEEEZZNS1_27merge_sort_block_merge_implIS3_NS6_6detail15normal_iteratorINS6_10device_ptrIjEEEENSD_INSE_IS9_EEEEjNS1_19radix_merge_compareILb0ELb1EjNS0_19identity_decomposerEEEEE10hipError_tT0_T1_T2_jT3_P12ihipStream_tbPNSt15iterator_traitsISN_E10value_typeEPNST_ISO_E10value_typeEPSP_NS1_7vsmem_tEENKUlT_SN_SO_SP_E_clISG_PjSI_PS9_EESM_S12_SN_SO_SP_EUlS12_E0_NS1_11comp_targetILNS1_3genE5ELNS1_11target_archE942ELNS1_3gpuE9ELNS1_3repE0EEENS1_38merge_mergepath_config_static_selectorELNS0_4arch9wavefront6targetE0EEEvSO_.kd
    .uniform_work_group_size: 1
    .uses_dynamic_stack: false
    .vgpr_count:     0
    .vgpr_spill_count: 0
    .wavefront_size: 32
    .workgroup_processor_mode: 1
  - .args:
      - .offset:         0
        .size:           64
        .value_kind:     by_value
    .group_segment_fixed_size: 0
    .kernarg_segment_align: 8
    .kernarg_segment_size: 64
    .language:       OpenCL C
    .language_version:
      - 2
      - 0
    .max_flat_workgroup_size: 256
    .name:           _ZN7rocprim17ROCPRIM_400000_NS6detail17trampoline_kernelINS0_14default_configENS1_38merge_sort_block_merge_config_selectorIjN6thrust23THRUST_200600_302600_NS5tupleIffNS6_9null_typeES8_S8_S8_S8_S8_S8_S8_EEEEZZNS1_27merge_sort_block_merge_implIS3_NS6_6detail15normal_iteratorINS6_10device_ptrIjEEEENSD_INSE_IS9_EEEEjNS1_19radix_merge_compareILb0ELb1EjNS0_19identity_decomposerEEEEE10hipError_tT0_T1_T2_jT3_P12ihipStream_tbPNSt15iterator_traitsISN_E10value_typeEPNST_ISO_E10value_typeEPSP_NS1_7vsmem_tEENKUlT_SN_SO_SP_E_clISG_PjSI_PS9_EESM_S12_SN_SO_SP_EUlS12_E0_NS1_11comp_targetILNS1_3genE4ELNS1_11target_archE910ELNS1_3gpuE8ELNS1_3repE0EEENS1_38merge_mergepath_config_static_selectorELNS0_4arch9wavefront6targetE0EEEvSO_
    .private_segment_fixed_size: 0
    .sgpr_count:     0
    .sgpr_spill_count: 0
    .symbol:         _ZN7rocprim17ROCPRIM_400000_NS6detail17trampoline_kernelINS0_14default_configENS1_38merge_sort_block_merge_config_selectorIjN6thrust23THRUST_200600_302600_NS5tupleIffNS6_9null_typeES8_S8_S8_S8_S8_S8_S8_EEEEZZNS1_27merge_sort_block_merge_implIS3_NS6_6detail15normal_iteratorINS6_10device_ptrIjEEEENSD_INSE_IS9_EEEEjNS1_19radix_merge_compareILb0ELb1EjNS0_19identity_decomposerEEEEE10hipError_tT0_T1_T2_jT3_P12ihipStream_tbPNSt15iterator_traitsISN_E10value_typeEPNST_ISO_E10value_typeEPSP_NS1_7vsmem_tEENKUlT_SN_SO_SP_E_clISG_PjSI_PS9_EESM_S12_SN_SO_SP_EUlS12_E0_NS1_11comp_targetILNS1_3genE4ELNS1_11target_archE910ELNS1_3gpuE8ELNS1_3repE0EEENS1_38merge_mergepath_config_static_selectorELNS0_4arch9wavefront6targetE0EEEvSO_.kd
    .uniform_work_group_size: 1
    .uses_dynamic_stack: false
    .vgpr_count:     0
    .vgpr_spill_count: 0
    .wavefront_size: 32
    .workgroup_processor_mode: 1
  - .args:
      - .offset:         0
        .size:           64
        .value_kind:     by_value
    .group_segment_fixed_size: 0
    .kernarg_segment_align: 8
    .kernarg_segment_size: 64
    .language:       OpenCL C
    .language_version:
      - 2
      - 0
    .max_flat_workgroup_size: 512
    .name:           _ZN7rocprim17ROCPRIM_400000_NS6detail17trampoline_kernelINS0_14default_configENS1_38merge_sort_block_merge_config_selectorIjN6thrust23THRUST_200600_302600_NS5tupleIffNS6_9null_typeES8_S8_S8_S8_S8_S8_S8_EEEEZZNS1_27merge_sort_block_merge_implIS3_NS6_6detail15normal_iteratorINS6_10device_ptrIjEEEENSD_INSE_IS9_EEEEjNS1_19radix_merge_compareILb0ELb1EjNS0_19identity_decomposerEEEEE10hipError_tT0_T1_T2_jT3_P12ihipStream_tbPNSt15iterator_traitsISN_E10value_typeEPNST_ISO_E10value_typeEPSP_NS1_7vsmem_tEENKUlT_SN_SO_SP_E_clISG_PjSI_PS9_EESM_S12_SN_SO_SP_EUlS12_E0_NS1_11comp_targetILNS1_3genE3ELNS1_11target_archE908ELNS1_3gpuE7ELNS1_3repE0EEENS1_38merge_mergepath_config_static_selectorELNS0_4arch9wavefront6targetE0EEEvSO_
    .private_segment_fixed_size: 0
    .sgpr_count:     0
    .sgpr_spill_count: 0
    .symbol:         _ZN7rocprim17ROCPRIM_400000_NS6detail17trampoline_kernelINS0_14default_configENS1_38merge_sort_block_merge_config_selectorIjN6thrust23THRUST_200600_302600_NS5tupleIffNS6_9null_typeES8_S8_S8_S8_S8_S8_S8_EEEEZZNS1_27merge_sort_block_merge_implIS3_NS6_6detail15normal_iteratorINS6_10device_ptrIjEEEENSD_INSE_IS9_EEEEjNS1_19radix_merge_compareILb0ELb1EjNS0_19identity_decomposerEEEEE10hipError_tT0_T1_T2_jT3_P12ihipStream_tbPNSt15iterator_traitsISN_E10value_typeEPNST_ISO_E10value_typeEPSP_NS1_7vsmem_tEENKUlT_SN_SO_SP_E_clISG_PjSI_PS9_EESM_S12_SN_SO_SP_EUlS12_E0_NS1_11comp_targetILNS1_3genE3ELNS1_11target_archE908ELNS1_3gpuE7ELNS1_3repE0EEENS1_38merge_mergepath_config_static_selectorELNS0_4arch9wavefront6targetE0EEEvSO_.kd
    .uniform_work_group_size: 1
    .uses_dynamic_stack: false
    .vgpr_count:     0
    .vgpr_spill_count: 0
    .wavefront_size: 32
    .workgroup_processor_mode: 1
  - .args:
      - .offset:         0
        .size:           64
        .value_kind:     by_value
    .group_segment_fixed_size: 0
    .kernarg_segment_align: 8
    .kernarg_segment_size: 64
    .language:       OpenCL C
    .language_version:
      - 2
      - 0
    .max_flat_workgroup_size: 256
    .name:           _ZN7rocprim17ROCPRIM_400000_NS6detail17trampoline_kernelINS0_14default_configENS1_38merge_sort_block_merge_config_selectorIjN6thrust23THRUST_200600_302600_NS5tupleIffNS6_9null_typeES8_S8_S8_S8_S8_S8_S8_EEEEZZNS1_27merge_sort_block_merge_implIS3_NS6_6detail15normal_iteratorINS6_10device_ptrIjEEEENSD_INSE_IS9_EEEEjNS1_19radix_merge_compareILb0ELb1EjNS0_19identity_decomposerEEEEE10hipError_tT0_T1_T2_jT3_P12ihipStream_tbPNSt15iterator_traitsISN_E10value_typeEPNST_ISO_E10value_typeEPSP_NS1_7vsmem_tEENKUlT_SN_SO_SP_E_clISG_PjSI_PS9_EESM_S12_SN_SO_SP_EUlS12_E0_NS1_11comp_targetILNS1_3genE2ELNS1_11target_archE906ELNS1_3gpuE6ELNS1_3repE0EEENS1_38merge_mergepath_config_static_selectorELNS0_4arch9wavefront6targetE0EEEvSO_
    .private_segment_fixed_size: 0
    .sgpr_count:     0
    .sgpr_spill_count: 0
    .symbol:         _ZN7rocprim17ROCPRIM_400000_NS6detail17trampoline_kernelINS0_14default_configENS1_38merge_sort_block_merge_config_selectorIjN6thrust23THRUST_200600_302600_NS5tupleIffNS6_9null_typeES8_S8_S8_S8_S8_S8_S8_EEEEZZNS1_27merge_sort_block_merge_implIS3_NS6_6detail15normal_iteratorINS6_10device_ptrIjEEEENSD_INSE_IS9_EEEEjNS1_19radix_merge_compareILb0ELb1EjNS0_19identity_decomposerEEEEE10hipError_tT0_T1_T2_jT3_P12ihipStream_tbPNSt15iterator_traitsISN_E10value_typeEPNST_ISO_E10value_typeEPSP_NS1_7vsmem_tEENKUlT_SN_SO_SP_E_clISG_PjSI_PS9_EESM_S12_SN_SO_SP_EUlS12_E0_NS1_11comp_targetILNS1_3genE2ELNS1_11target_archE906ELNS1_3gpuE6ELNS1_3repE0EEENS1_38merge_mergepath_config_static_selectorELNS0_4arch9wavefront6targetE0EEEvSO_.kd
    .uniform_work_group_size: 1
    .uses_dynamic_stack: false
    .vgpr_count:     0
    .vgpr_spill_count: 0
    .wavefront_size: 32
    .workgroup_processor_mode: 1
  - .args:
      - .offset:         0
        .size:           64
        .value_kind:     by_value
    .group_segment_fixed_size: 0
    .kernarg_segment_align: 8
    .kernarg_segment_size: 64
    .language:       OpenCL C
    .language_version:
      - 2
      - 0
    .max_flat_workgroup_size: 512
    .name:           _ZN7rocprim17ROCPRIM_400000_NS6detail17trampoline_kernelINS0_14default_configENS1_38merge_sort_block_merge_config_selectorIjN6thrust23THRUST_200600_302600_NS5tupleIffNS6_9null_typeES8_S8_S8_S8_S8_S8_S8_EEEEZZNS1_27merge_sort_block_merge_implIS3_NS6_6detail15normal_iteratorINS6_10device_ptrIjEEEENSD_INSE_IS9_EEEEjNS1_19radix_merge_compareILb0ELb1EjNS0_19identity_decomposerEEEEE10hipError_tT0_T1_T2_jT3_P12ihipStream_tbPNSt15iterator_traitsISN_E10value_typeEPNST_ISO_E10value_typeEPSP_NS1_7vsmem_tEENKUlT_SN_SO_SP_E_clISG_PjSI_PS9_EESM_S12_SN_SO_SP_EUlS12_E0_NS1_11comp_targetILNS1_3genE9ELNS1_11target_archE1100ELNS1_3gpuE3ELNS1_3repE0EEENS1_38merge_mergepath_config_static_selectorELNS0_4arch9wavefront6targetE0EEEvSO_
    .private_segment_fixed_size: 0
    .sgpr_count:     0
    .sgpr_spill_count: 0
    .symbol:         _ZN7rocprim17ROCPRIM_400000_NS6detail17trampoline_kernelINS0_14default_configENS1_38merge_sort_block_merge_config_selectorIjN6thrust23THRUST_200600_302600_NS5tupleIffNS6_9null_typeES8_S8_S8_S8_S8_S8_S8_EEEEZZNS1_27merge_sort_block_merge_implIS3_NS6_6detail15normal_iteratorINS6_10device_ptrIjEEEENSD_INSE_IS9_EEEEjNS1_19radix_merge_compareILb0ELb1EjNS0_19identity_decomposerEEEEE10hipError_tT0_T1_T2_jT3_P12ihipStream_tbPNSt15iterator_traitsISN_E10value_typeEPNST_ISO_E10value_typeEPSP_NS1_7vsmem_tEENKUlT_SN_SO_SP_E_clISG_PjSI_PS9_EESM_S12_SN_SO_SP_EUlS12_E0_NS1_11comp_targetILNS1_3genE9ELNS1_11target_archE1100ELNS1_3gpuE3ELNS1_3repE0EEENS1_38merge_mergepath_config_static_selectorELNS0_4arch9wavefront6targetE0EEEvSO_.kd
    .uniform_work_group_size: 1
    .uses_dynamic_stack: false
    .vgpr_count:     0
    .vgpr_spill_count: 0
    .wavefront_size: 32
    .workgroup_processor_mode: 1
  - .args:
      - .offset:         0
        .size:           64
        .value_kind:     by_value
    .group_segment_fixed_size: 0
    .kernarg_segment_align: 8
    .kernarg_segment_size: 64
    .language:       OpenCL C
    .language_version:
      - 2
      - 0
    .max_flat_workgroup_size: 1024
    .name:           _ZN7rocprim17ROCPRIM_400000_NS6detail17trampoline_kernelINS0_14default_configENS1_38merge_sort_block_merge_config_selectorIjN6thrust23THRUST_200600_302600_NS5tupleIffNS6_9null_typeES8_S8_S8_S8_S8_S8_S8_EEEEZZNS1_27merge_sort_block_merge_implIS3_NS6_6detail15normal_iteratorINS6_10device_ptrIjEEEENSD_INSE_IS9_EEEEjNS1_19radix_merge_compareILb0ELb1EjNS0_19identity_decomposerEEEEE10hipError_tT0_T1_T2_jT3_P12ihipStream_tbPNSt15iterator_traitsISN_E10value_typeEPNST_ISO_E10value_typeEPSP_NS1_7vsmem_tEENKUlT_SN_SO_SP_E_clISG_PjSI_PS9_EESM_S12_SN_SO_SP_EUlS12_E0_NS1_11comp_targetILNS1_3genE8ELNS1_11target_archE1030ELNS1_3gpuE2ELNS1_3repE0EEENS1_38merge_mergepath_config_static_selectorELNS0_4arch9wavefront6targetE0EEEvSO_
    .private_segment_fixed_size: 0
    .sgpr_count:     0
    .sgpr_spill_count: 0
    .symbol:         _ZN7rocprim17ROCPRIM_400000_NS6detail17trampoline_kernelINS0_14default_configENS1_38merge_sort_block_merge_config_selectorIjN6thrust23THRUST_200600_302600_NS5tupleIffNS6_9null_typeES8_S8_S8_S8_S8_S8_S8_EEEEZZNS1_27merge_sort_block_merge_implIS3_NS6_6detail15normal_iteratorINS6_10device_ptrIjEEEENSD_INSE_IS9_EEEEjNS1_19radix_merge_compareILb0ELb1EjNS0_19identity_decomposerEEEEE10hipError_tT0_T1_T2_jT3_P12ihipStream_tbPNSt15iterator_traitsISN_E10value_typeEPNST_ISO_E10value_typeEPSP_NS1_7vsmem_tEENKUlT_SN_SO_SP_E_clISG_PjSI_PS9_EESM_S12_SN_SO_SP_EUlS12_E0_NS1_11comp_targetILNS1_3genE8ELNS1_11target_archE1030ELNS1_3gpuE2ELNS1_3repE0EEENS1_38merge_mergepath_config_static_selectorELNS0_4arch9wavefront6targetE0EEEvSO_.kd
    .uniform_work_group_size: 1
    .uses_dynamic_stack: false
    .vgpr_count:     0
    .vgpr_spill_count: 0
    .wavefront_size: 32
    .workgroup_processor_mode: 1
  - .args:
      - .offset:         0
        .size:           48
        .value_kind:     by_value
    .group_segment_fixed_size: 0
    .kernarg_segment_align: 8
    .kernarg_segment_size: 48
    .language:       OpenCL C
    .language_version:
      - 2
      - 0
    .max_flat_workgroup_size: 256
    .name:           _ZN7rocprim17ROCPRIM_400000_NS6detail17trampoline_kernelINS0_14default_configENS1_38merge_sort_block_merge_config_selectorIjN6thrust23THRUST_200600_302600_NS5tupleIffNS6_9null_typeES8_S8_S8_S8_S8_S8_S8_EEEEZZNS1_27merge_sort_block_merge_implIS3_NS6_6detail15normal_iteratorINS6_10device_ptrIjEEEENSD_INSE_IS9_EEEEjNS1_19radix_merge_compareILb0ELb1EjNS0_19identity_decomposerEEEEE10hipError_tT0_T1_T2_jT3_P12ihipStream_tbPNSt15iterator_traitsISN_E10value_typeEPNST_ISO_E10value_typeEPSP_NS1_7vsmem_tEENKUlT_SN_SO_SP_E_clISG_PjSI_PS9_EESM_S12_SN_SO_SP_EUlS12_E1_NS1_11comp_targetILNS1_3genE0ELNS1_11target_archE4294967295ELNS1_3gpuE0ELNS1_3repE0EEENS1_36merge_oddeven_config_static_selectorELNS0_4arch9wavefront6targetE0EEEvSO_
    .private_segment_fixed_size: 0
    .sgpr_count:     0
    .sgpr_spill_count: 0
    .symbol:         _ZN7rocprim17ROCPRIM_400000_NS6detail17trampoline_kernelINS0_14default_configENS1_38merge_sort_block_merge_config_selectorIjN6thrust23THRUST_200600_302600_NS5tupleIffNS6_9null_typeES8_S8_S8_S8_S8_S8_S8_EEEEZZNS1_27merge_sort_block_merge_implIS3_NS6_6detail15normal_iteratorINS6_10device_ptrIjEEEENSD_INSE_IS9_EEEEjNS1_19radix_merge_compareILb0ELb1EjNS0_19identity_decomposerEEEEE10hipError_tT0_T1_T2_jT3_P12ihipStream_tbPNSt15iterator_traitsISN_E10value_typeEPNST_ISO_E10value_typeEPSP_NS1_7vsmem_tEENKUlT_SN_SO_SP_E_clISG_PjSI_PS9_EESM_S12_SN_SO_SP_EUlS12_E1_NS1_11comp_targetILNS1_3genE0ELNS1_11target_archE4294967295ELNS1_3gpuE0ELNS1_3repE0EEENS1_36merge_oddeven_config_static_selectorELNS0_4arch9wavefront6targetE0EEEvSO_.kd
    .uniform_work_group_size: 1
    .uses_dynamic_stack: false
    .vgpr_count:     0
    .vgpr_spill_count: 0
    .wavefront_size: 32
    .workgroup_processor_mode: 1
  - .args:
      - .offset:         0
        .size:           48
        .value_kind:     by_value
    .group_segment_fixed_size: 0
    .kernarg_segment_align: 8
    .kernarg_segment_size: 48
    .language:       OpenCL C
    .language_version:
      - 2
      - 0
    .max_flat_workgroup_size: 256
    .name:           _ZN7rocprim17ROCPRIM_400000_NS6detail17trampoline_kernelINS0_14default_configENS1_38merge_sort_block_merge_config_selectorIjN6thrust23THRUST_200600_302600_NS5tupleIffNS6_9null_typeES8_S8_S8_S8_S8_S8_S8_EEEEZZNS1_27merge_sort_block_merge_implIS3_NS6_6detail15normal_iteratorINS6_10device_ptrIjEEEENSD_INSE_IS9_EEEEjNS1_19radix_merge_compareILb0ELb1EjNS0_19identity_decomposerEEEEE10hipError_tT0_T1_T2_jT3_P12ihipStream_tbPNSt15iterator_traitsISN_E10value_typeEPNST_ISO_E10value_typeEPSP_NS1_7vsmem_tEENKUlT_SN_SO_SP_E_clISG_PjSI_PS9_EESM_S12_SN_SO_SP_EUlS12_E1_NS1_11comp_targetILNS1_3genE10ELNS1_11target_archE1201ELNS1_3gpuE5ELNS1_3repE0EEENS1_36merge_oddeven_config_static_selectorELNS0_4arch9wavefront6targetE0EEEvSO_
    .private_segment_fixed_size: 0
    .sgpr_count:     22
    .sgpr_spill_count: 0
    .symbol:         _ZN7rocprim17ROCPRIM_400000_NS6detail17trampoline_kernelINS0_14default_configENS1_38merge_sort_block_merge_config_selectorIjN6thrust23THRUST_200600_302600_NS5tupleIffNS6_9null_typeES8_S8_S8_S8_S8_S8_S8_EEEEZZNS1_27merge_sort_block_merge_implIS3_NS6_6detail15normal_iteratorINS6_10device_ptrIjEEEENSD_INSE_IS9_EEEEjNS1_19radix_merge_compareILb0ELb1EjNS0_19identity_decomposerEEEEE10hipError_tT0_T1_T2_jT3_P12ihipStream_tbPNSt15iterator_traitsISN_E10value_typeEPNST_ISO_E10value_typeEPSP_NS1_7vsmem_tEENKUlT_SN_SO_SP_E_clISG_PjSI_PS9_EESM_S12_SN_SO_SP_EUlS12_E1_NS1_11comp_targetILNS1_3genE10ELNS1_11target_archE1201ELNS1_3gpuE5ELNS1_3repE0EEENS1_36merge_oddeven_config_static_selectorELNS0_4arch9wavefront6targetE0EEEvSO_.kd
    .uniform_work_group_size: 1
    .uses_dynamic_stack: false
    .vgpr_count:     11
    .vgpr_spill_count: 0
    .wavefront_size: 32
    .workgroup_processor_mode: 1
  - .args:
      - .offset:         0
        .size:           48
        .value_kind:     by_value
    .group_segment_fixed_size: 0
    .kernarg_segment_align: 8
    .kernarg_segment_size: 48
    .language:       OpenCL C
    .language_version:
      - 2
      - 0
    .max_flat_workgroup_size: 256
    .name:           _ZN7rocprim17ROCPRIM_400000_NS6detail17trampoline_kernelINS0_14default_configENS1_38merge_sort_block_merge_config_selectorIjN6thrust23THRUST_200600_302600_NS5tupleIffNS6_9null_typeES8_S8_S8_S8_S8_S8_S8_EEEEZZNS1_27merge_sort_block_merge_implIS3_NS6_6detail15normal_iteratorINS6_10device_ptrIjEEEENSD_INSE_IS9_EEEEjNS1_19radix_merge_compareILb0ELb1EjNS0_19identity_decomposerEEEEE10hipError_tT0_T1_T2_jT3_P12ihipStream_tbPNSt15iterator_traitsISN_E10value_typeEPNST_ISO_E10value_typeEPSP_NS1_7vsmem_tEENKUlT_SN_SO_SP_E_clISG_PjSI_PS9_EESM_S12_SN_SO_SP_EUlS12_E1_NS1_11comp_targetILNS1_3genE5ELNS1_11target_archE942ELNS1_3gpuE9ELNS1_3repE0EEENS1_36merge_oddeven_config_static_selectorELNS0_4arch9wavefront6targetE0EEEvSO_
    .private_segment_fixed_size: 0
    .sgpr_count:     0
    .sgpr_spill_count: 0
    .symbol:         _ZN7rocprim17ROCPRIM_400000_NS6detail17trampoline_kernelINS0_14default_configENS1_38merge_sort_block_merge_config_selectorIjN6thrust23THRUST_200600_302600_NS5tupleIffNS6_9null_typeES8_S8_S8_S8_S8_S8_S8_EEEEZZNS1_27merge_sort_block_merge_implIS3_NS6_6detail15normal_iteratorINS6_10device_ptrIjEEEENSD_INSE_IS9_EEEEjNS1_19radix_merge_compareILb0ELb1EjNS0_19identity_decomposerEEEEE10hipError_tT0_T1_T2_jT3_P12ihipStream_tbPNSt15iterator_traitsISN_E10value_typeEPNST_ISO_E10value_typeEPSP_NS1_7vsmem_tEENKUlT_SN_SO_SP_E_clISG_PjSI_PS9_EESM_S12_SN_SO_SP_EUlS12_E1_NS1_11comp_targetILNS1_3genE5ELNS1_11target_archE942ELNS1_3gpuE9ELNS1_3repE0EEENS1_36merge_oddeven_config_static_selectorELNS0_4arch9wavefront6targetE0EEEvSO_.kd
    .uniform_work_group_size: 1
    .uses_dynamic_stack: false
    .vgpr_count:     0
    .vgpr_spill_count: 0
    .wavefront_size: 32
    .workgroup_processor_mode: 1
  - .args:
      - .offset:         0
        .size:           48
        .value_kind:     by_value
    .group_segment_fixed_size: 0
    .kernarg_segment_align: 8
    .kernarg_segment_size: 48
    .language:       OpenCL C
    .language_version:
      - 2
      - 0
    .max_flat_workgroup_size: 256
    .name:           _ZN7rocprim17ROCPRIM_400000_NS6detail17trampoline_kernelINS0_14default_configENS1_38merge_sort_block_merge_config_selectorIjN6thrust23THRUST_200600_302600_NS5tupleIffNS6_9null_typeES8_S8_S8_S8_S8_S8_S8_EEEEZZNS1_27merge_sort_block_merge_implIS3_NS6_6detail15normal_iteratorINS6_10device_ptrIjEEEENSD_INSE_IS9_EEEEjNS1_19radix_merge_compareILb0ELb1EjNS0_19identity_decomposerEEEEE10hipError_tT0_T1_T2_jT3_P12ihipStream_tbPNSt15iterator_traitsISN_E10value_typeEPNST_ISO_E10value_typeEPSP_NS1_7vsmem_tEENKUlT_SN_SO_SP_E_clISG_PjSI_PS9_EESM_S12_SN_SO_SP_EUlS12_E1_NS1_11comp_targetILNS1_3genE4ELNS1_11target_archE910ELNS1_3gpuE8ELNS1_3repE0EEENS1_36merge_oddeven_config_static_selectorELNS0_4arch9wavefront6targetE0EEEvSO_
    .private_segment_fixed_size: 0
    .sgpr_count:     0
    .sgpr_spill_count: 0
    .symbol:         _ZN7rocprim17ROCPRIM_400000_NS6detail17trampoline_kernelINS0_14default_configENS1_38merge_sort_block_merge_config_selectorIjN6thrust23THRUST_200600_302600_NS5tupleIffNS6_9null_typeES8_S8_S8_S8_S8_S8_S8_EEEEZZNS1_27merge_sort_block_merge_implIS3_NS6_6detail15normal_iteratorINS6_10device_ptrIjEEEENSD_INSE_IS9_EEEEjNS1_19radix_merge_compareILb0ELb1EjNS0_19identity_decomposerEEEEE10hipError_tT0_T1_T2_jT3_P12ihipStream_tbPNSt15iterator_traitsISN_E10value_typeEPNST_ISO_E10value_typeEPSP_NS1_7vsmem_tEENKUlT_SN_SO_SP_E_clISG_PjSI_PS9_EESM_S12_SN_SO_SP_EUlS12_E1_NS1_11comp_targetILNS1_3genE4ELNS1_11target_archE910ELNS1_3gpuE8ELNS1_3repE0EEENS1_36merge_oddeven_config_static_selectorELNS0_4arch9wavefront6targetE0EEEvSO_.kd
    .uniform_work_group_size: 1
    .uses_dynamic_stack: false
    .vgpr_count:     0
    .vgpr_spill_count: 0
    .wavefront_size: 32
    .workgroup_processor_mode: 1
  - .args:
      - .offset:         0
        .size:           48
        .value_kind:     by_value
    .group_segment_fixed_size: 0
    .kernarg_segment_align: 8
    .kernarg_segment_size: 48
    .language:       OpenCL C
    .language_version:
      - 2
      - 0
    .max_flat_workgroup_size: 256
    .name:           _ZN7rocprim17ROCPRIM_400000_NS6detail17trampoline_kernelINS0_14default_configENS1_38merge_sort_block_merge_config_selectorIjN6thrust23THRUST_200600_302600_NS5tupleIffNS6_9null_typeES8_S8_S8_S8_S8_S8_S8_EEEEZZNS1_27merge_sort_block_merge_implIS3_NS6_6detail15normal_iteratorINS6_10device_ptrIjEEEENSD_INSE_IS9_EEEEjNS1_19radix_merge_compareILb0ELb1EjNS0_19identity_decomposerEEEEE10hipError_tT0_T1_T2_jT3_P12ihipStream_tbPNSt15iterator_traitsISN_E10value_typeEPNST_ISO_E10value_typeEPSP_NS1_7vsmem_tEENKUlT_SN_SO_SP_E_clISG_PjSI_PS9_EESM_S12_SN_SO_SP_EUlS12_E1_NS1_11comp_targetILNS1_3genE3ELNS1_11target_archE908ELNS1_3gpuE7ELNS1_3repE0EEENS1_36merge_oddeven_config_static_selectorELNS0_4arch9wavefront6targetE0EEEvSO_
    .private_segment_fixed_size: 0
    .sgpr_count:     0
    .sgpr_spill_count: 0
    .symbol:         _ZN7rocprim17ROCPRIM_400000_NS6detail17trampoline_kernelINS0_14default_configENS1_38merge_sort_block_merge_config_selectorIjN6thrust23THRUST_200600_302600_NS5tupleIffNS6_9null_typeES8_S8_S8_S8_S8_S8_S8_EEEEZZNS1_27merge_sort_block_merge_implIS3_NS6_6detail15normal_iteratorINS6_10device_ptrIjEEEENSD_INSE_IS9_EEEEjNS1_19radix_merge_compareILb0ELb1EjNS0_19identity_decomposerEEEEE10hipError_tT0_T1_T2_jT3_P12ihipStream_tbPNSt15iterator_traitsISN_E10value_typeEPNST_ISO_E10value_typeEPSP_NS1_7vsmem_tEENKUlT_SN_SO_SP_E_clISG_PjSI_PS9_EESM_S12_SN_SO_SP_EUlS12_E1_NS1_11comp_targetILNS1_3genE3ELNS1_11target_archE908ELNS1_3gpuE7ELNS1_3repE0EEENS1_36merge_oddeven_config_static_selectorELNS0_4arch9wavefront6targetE0EEEvSO_.kd
    .uniform_work_group_size: 1
    .uses_dynamic_stack: false
    .vgpr_count:     0
    .vgpr_spill_count: 0
    .wavefront_size: 32
    .workgroup_processor_mode: 1
  - .args:
      - .offset:         0
        .size:           48
        .value_kind:     by_value
    .group_segment_fixed_size: 0
    .kernarg_segment_align: 8
    .kernarg_segment_size: 48
    .language:       OpenCL C
    .language_version:
      - 2
      - 0
    .max_flat_workgroup_size: 256
    .name:           _ZN7rocprim17ROCPRIM_400000_NS6detail17trampoline_kernelINS0_14default_configENS1_38merge_sort_block_merge_config_selectorIjN6thrust23THRUST_200600_302600_NS5tupleIffNS6_9null_typeES8_S8_S8_S8_S8_S8_S8_EEEEZZNS1_27merge_sort_block_merge_implIS3_NS6_6detail15normal_iteratorINS6_10device_ptrIjEEEENSD_INSE_IS9_EEEEjNS1_19radix_merge_compareILb0ELb1EjNS0_19identity_decomposerEEEEE10hipError_tT0_T1_T2_jT3_P12ihipStream_tbPNSt15iterator_traitsISN_E10value_typeEPNST_ISO_E10value_typeEPSP_NS1_7vsmem_tEENKUlT_SN_SO_SP_E_clISG_PjSI_PS9_EESM_S12_SN_SO_SP_EUlS12_E1_NS1_11comp_targetILNS1_3genE2ELNS1_11target_archE906ELNS1_3gpuE6ELNS1_3repE0EEENS1_36merge_oddeven_config_static_selectorELNS0_4arch9wavefront6targetE0EEEvSO_
    .private_segment_fixed_size: 0
    .sgpr_count:     0
    .sgpr_spill_count: 0
    .symbol:         _ZN7rocprim17ROCPRIM_400000_NS6detail17trampoline_kernelINS0_14default_configENS1_38merge_sort_block_merge_config_selectorIjN6thrust23THRUST_200600_302600_NS5tupleIffNS6_9null_typeES8_S8_S8_S8_S8_S8_S8_EEEEZZNS1_27merge_sort_block_merge_implIS3_NS6_6detail15normal_iteratorINS6_10device_ptrIjEEEENSD_INSE_IS9_EEEEjNS1_19radix_merge_compareILb0ELb1EjNS0_19identity_decomposerEEEEE10hipError_tT0_T1_T2_jT3_P12ihipStream_tbPNSt15iterator_traitsISN_E10value_typeEPNST_ISO_E10value_typeEPSP_NS1_7vsmem_tEENKUlT_SN_SO_SP_E_clISG_PjSI_PS9_EESM_S12_SN_SO_SP_EUlS12_E1_NS1_11comp_targetILNS1_3genE2ELNS1_11target_archE906ELNS1_3gpuE6ELNS1_3repE0EEENS1_36merge_oddeven_config_static_selectorELNS0_4arch9wavefront6targetE0EEEvSO_.kd
    .uniform_work_group_size: 1
    .uses_dynamic_stack: false
    .vgpr_count:     0
    .vgpr_spill_count: 0
    .wavefront_size: 32
    .workgroup_processor_mode: 1
  - .args:
      - .offset:         0
        .size:           48
        .value_kind:     by_value
    .group_segment_fixed_size: 0
    .kernarg_segment_align: 8
    .kernarg_segment_size: 48
    .language:       OpenCL C
    .language_version:
      - 2
      - 0
    .max_flat_workgroup_size: 256
    .name:           _ZN7rocprim17ROCPRIM_400000_NS6detail17trampoline_kernelINS0_14default_configENS1_38merge_sort_block_merge_config_selectorIjN6thrust23THRUST_200600_302600_NS5tupleIffNS6_9null_typeES8_S8_S8_S8_S8_S8_S8_EEEEZZNS1_27merge_sort_block_merge_implIS3_NS6_6detail15normal_iteratorINS6_10device_ptrIjEEEENSD_INSE_IS9_EEEEjNS1_19radix_merge_compareILb0ELb1EjNS0_19identity_decomposerEEEEE10hipError_tT0_T1_T2_jT3_P12ihipStream_tbPNSt15iterator_traitsISN_E10value_typeEPNST_ISO_E10value_typeEPSP_NS1_7vsmem_tEENKUlT_SN_SO_SP_E_clISG_PjSI_PS9_EESM_S12_SN_SO_SP_EUlS12_E1_NS1_11comp_targetILNS1_3genE9ELNS1_11target_archE1100ELNS1_3gpuE3ELNS1_3repE0EEENS1_36merge_oddeven_config_static_selectorELNS0_4arch9wavefront6targetE0EEEvSO_
    .private_segment_fixed_size: 0
    .sgpr_count:     0
    .sgpr_spill_count: 0
    .symbol:         _ZN7rocprim17ROCPRIM_400000_NS6detail17trampoline_kernelINS0_14default_configENS1_38merge_sort_block_merge_config_selectorIjN6thrust23THRUST_200600_302600_NS5tupleIffNS6_9null_typeES8_S8_S8_S8_S8_S8_S8_EEEEZZNS1_27merge_sort_block_merge_implIS3_NS6_6detail15normal_iteratorINS6_10device_ptrIjEEEENSD_INSE_IS9_EEEEjNS1_19radix_merge_compareILb0ELb1EjNS0_19identity_decomposerEEEEE10hipError_tT0_T1_T2_jT3_P12ihipStream_tbPNSt15iterator_traitsISN_E10value_typeEPNST_ISO_E10value_typeEPSP_NS1_7vsmem_tEENKUlT_SN_SO_SP_E_clISG_PjSI_PS9_EESM_S12_SN_SO_SP_EUlS12_E1_NS1_11comp_targetILNS1_3genE9ELNS1_11target_archE1100ELNS1_3gpuE3ELNS1_3repE0EEENS1_36merge_oddeven_config_static_selectorELNS0_4arch9wavefront6targetE0EEEvSO_.kd
    .uniform_work_group_size: 1
    .uses_dynamic_stack: false
    .vgpr_count:     0
    .vgpr_spill_count: 0
    .wavefront_size: 32
    .workgroup_processor_mode: 1
  - .args:
      - .offset:         0
        .size:           48
        .value_kind:     by_value
    .group_segment_fixed_size: 0
    .kernarg_segment_align: 8
    .kernarg_segment_size: 48
    .language:       OpenCL C
    .language_version:
      - 2
      - 0
    .max_flat_workgroup_size: 256
    .name:           _ZN7rocprim17ROCPRIM_400000_NS6detail17trampoline_kernelINS0_14default_configENS1_38merge_sort_block_merge_config_selectorIjN6thrust23THRUST_200600_302600_NS5tupleIffNS6_9null_typeES8_S8_S8_S8_S8_S8_S8_EEEEZZNS1_27merge_sort_block_merge_implIS3_NS6_6detail15normal_iteratorINS6_10device_ptrIjEEEENSD_INSE_IS9_EEEEjNS1_19radix_merge_compareILb0ELb1EjNS0_19identity_decomposerEEEEE10hipError_tT0_T1_T2_jT3_P12ihipStream_tbPNSt15iterator_traitsISN_E10value_typeEPNST_ISO_E10value_typeEPSP_NS1_7vsmem_tEENKUlT_SN_SO_SP_E_clISG_PjSI_PS9_EESM_S12_SN_SO_SP_EUlS12_E1_NS1_11comp_targetILNS1_3genE8ELNS1_11target_archE1030ELNS1_3gpuE2ELNS1_3repE0EEENS1_36merge_oddeven_config_static_selectorELNS0_4arch9wavefront6targetE0EEEvSO_
    .private_segment_fixed_size: 0
    .sgpr_count:     0
    .sgpr_spill_count: 0
    .symbol:         _ZN7rocprim17ROCPRIM_400000_NS6detail17trampoline_kernelINS0_14default_configENS1_38merge_sort_block_merge_config_selectorIjN6thrust23THRUST_200600_302600_NS5tupleIffNS6_9null_typeES8_S8_S8_S8_S8_S8_S8_EEEEZZNS1_27merge_sort_block_merge_implIS3_NS6_6detail15normal_iteratorINS6_10device_ptrIjEEEENSD_INSE_IS9_EEEEjNS1_19radix_merge_compareILb0ELb1EjNS0_19identity_decomposerEEEEE10hipError_tT0_T1_T2_jT3_P12ihipStream_tbPNSt15iterator_traitsISN_E10value_typeEPNST_ISO_E10value_typeEPSP_NS1_7vsmem_tEENKUlT_SN_SO_SP_E_clISG_PjSI_PS9_EESM_S12_SN_SO_SP_EUlS12_E1_NS1_11comp_targetILNS1_3genE8ELNS1_11target_archE1030ELNS1_3gpuE2ELNS1_3repE0EEENS1_36merge_oddeven_config_static_selectorELNS0_4arch9wavefront6targetE0EEEvSO_.kd
    .uniform_work_group_size: 1
    .uses_dynamic_stack: false
    .vgpr_count:     0
    .vgpr_spill_count: 0
    .wavefront_size: 32
    .workgroup_processor_mode: 1
  - .args:
      - .offset:         0
        .size:           40
        .value_kind:     by_value
    .group_segment_fixed_size: 0
    .kernarg_segment_align: 8
    .kernarg_segment_size: 40
    .language:       OpenCL C
    .language_version:
      - 2
      - 0
    .max_flat_workgroup_size: 512
    .name:           _ZN7rocprim17ROCPRIM_400000_NS6detail17trampoline_kernelINS0_14default_configENS1_35radix_sort_onesweep_config_selectorIjN6thrust23THRUST_200600_302600_NS5tupleIffNS6_9null_typeES8_S8_S8_S8_S8_S8_S8_EEEEZNS1_34radix_sort_onesweep_global_offsetsIS3_Lb0ENS6_6detail15normal_iteratorINS6_10device_ptrIjEEEENSD_INSE_IS9_EEEEjNS0_19identity_decomposerEEE10hipError_tT1_T2_PT3_SN_jT4_jjP12ihipStream_tbEUlT_E_NS1_11comp_targetILNS1_3genE0ELNS1_11target_archE4294967295ELNS1_3gpuE0ELNS1_3repE0EEENS1_52radix_sort_onesweep_histogram_config_static_selectorELNS0_4arch9wavefront6targetE0EEEvSL_
    .private_segment_fixed_size: 0
    .sgpr_count:     0
    .sgpr_spill_count: 0
    .symbol:         _ZN7rocprim17ROCPRIM_400000_NS6detail17trampoline_kernelINS0_14default_configENS1_35radix_sort_onesweep_config_selectorIjN6thrust23THRUST_200600_302600_NS5tupleIffNS6_9null_typeES8_S8_S8_S8_S8_S8_S8_EEEEZNS1_34radix_sort_onesweep_global_offsetsIS3_Lb0ENS6_6detail15normal_iteratorINS6_10device_ptrIjEEEENSD_INSE_IS9_EEEEjNS0_19identity_decomposerEEE10hipError_tT1_T2_PT3_SN_jT4_jjP12ihipStream_tbEUlT_E_NS1_11comp_targetILNS1_3genE0ELNS1_11target_archE4294967295ELNS1_3gpuE0ELNS1_3repE0EEENS1_52radix_sort_onesweep_histogram_config_static_selectorELNS0_4arch9wavefront6targetE0EEEvSL_.kd
    .uniform_work_group_size: 1
    .uses_dynamic_stack: false
    .vgpr_count:     0
    .vgpr_spill_count: 0
    .wavefront_size: 32
    .workgroup_processor_mode: 1
  - .args:
      - .offset:         0
        .size:           40
        .value_kind:     by_value
    .group_segment_fixed_size: 0
    .kernarg_segment_align: 8
    .kernarg_segment_size: 40
    .language:       OpenCL C
    .language_version:
      - 2
      - 0
    .max_flat_workgroup_size: 1024
    .name:           _ZN7rocprim17ROCPRIM_400000_NS6detail17trampoline_kernelINS0_14default_configENS1_35radix_sort_onesweep_config_selectorIjN6thrust23THRUST_200600_302600_NS5tupleIffNS6_9null_typeES8_S8_S8_S8_S8_S8_S8_EEEEZNS1_34radix_sort_onesweep_global_offsetsIS3_Lb0ENS6_6detail15normal_iteratorINS6_10device_ptrIjEEEENSD_INSE_IS9_EEEEjNS0_19identity_decomposerEEE10hipError_tT1_T2_PT3_SN_jT4_jjP12ihipStream_tbEUlT_E_NS1_11comp_targetILNS1_3genE6ELNS1_11target_archE950ELNS1_3gpuE13ELNS1_3repE0EEENS1_52radix_sort_onesweep_histogram_config_static_selectorELNS0_4arch9wavefront6targetE0EEEvSL_
    .private_segment_fixed_size: 0
    .sgpr_count:     0
    .sgpr_spill_count: 0
    .symbol:         _ZN7rocprim17ROCPRIM_400000_NS6detail17trampoline_kernelINS0_14default_configENS1_35radix_sort_onesweep_config_selectorIjN6thrust23THRUST_200600_302600_NS5tupleIffNS6_9null_typeES8_S8_S8_S8_S8_S8_S8_EEEEZNS1_34radix_sort_onesweep_global_offsetsIS3_Lb0ENS6_6detail15normal_iteratorINS6_10device_ptrIjEEEENSD_INSE_IS9_EEEEjNS0_19identity_decomposerEEE10hipError_tT1_T2_PT3_SN_jT4_jjP12ihipStream_tbEUlT_E_NS1_11comp_targetILNS1_3genE6ELNS1_11target_archE950ELNS1_3gpuE13ELNS1_3repE0EEENS1_52radix_sort_onesweep_histogram_config_static_selectorELNS0_4arch9wavefront6targetE0EEEvSL_.kd
    .uniform_work_group_size: 1
    .uses_dynamic_stack: false
    .vgpr_count:     0
    .vgpr_spill_count: 0
    .wavefront_size: 32
    .workgroup_processor_mode: 1
  - .args:
      - .offset:         0
        .size:           40
        .value_kind:     by_value
    .group_segment_fixed_size: 0
    .kernarg_segment_align: 8
    .kernarg_segment_size: 40
    .language:       OpenCL C
    .language_version:
      - 2
      - 0
    .max_flat_workgroup_size: 1024
    .name:           _ZN7rocprim17ROCPRIM_400000_NS6detail17trampoline_kernelINS0_14default_configENS1_35radix_sort_onesweep_config_selectorIjN6thrust23THRUST_200600_302600_NS5tupleIffNS6_9null_typeES8_S8_S8_S8_S8_S8_S8_EEEEZNS1_34radix_sort_onesweep_global_offsetsIS3_Lb0ENS6_6detail15normal_iteratorINS6_10device_ptrIjEEEENSD_INSE_IS9_EEEEjNS0_19identity_decomposerEEE10hipError_tT1_T2_PT3_SN_jT4_jjP12ihipStream_tbEUlT_E_NS1_11comp_targetILNS1_3genE5ELNS1_11target_archE942ELNS1_3gpuE9ELNS1_3repE0EEENS1_52radix_sort_onesweep_histogram_config_static_selectorELNS0_4arch9wavefront6targetE0EEEvSL_
    .private_segment_fixed_size: 0
    .sgpr_count:     0
    .sgpr_spill_count: 0
    .symbol:         _ZN7rocprim17ROCPRIM_400000_NS6detail17trampoline_kernelINS0_14default_configENS1_35radix_sort_onesweep_config_selectorIjN6thrust23THRUST_200600_302600_NS5tupleIffNS6_9null_typeES8_S8_S8_S8_S8_S8_S8_EEEEZNS1_34radix_sort_onesweep_global_offsetsIS3_Lb0ENS6_6detail15normal_iteratorINS6_10device_ptrIjEEEENSD_INSE_IS9_EEEEjNS0_19identity_decomposerEEE10hipError_tT1_T2_PT3_SN_jT4_jjP12ihipStream_tbEUlT_E_NS1_11comp_targetILNS1_3genE5ELNS1_11target_archE942ELNS1_3gpuE9ELNS1_3repE0EEENS1_52radix_sort_onesweep_histogram_config_static_selectorELNS0_4arch9wavefront6targetE0EEEvSL_.kd
    .uniform_work_group_size: 1
    .uses_dynamic_stack: false
    .vgpr_count:     0
    .vgpr_spill_count: 0
    .wavefront_size: 32
    .workgroup_processor_mode: 1
  - .args:
      - .offset:         0
        .size:           40
        .value_kind:     by_value
    .group_segment_fixed_size: 0
    .kernarg_segment_align: 8
    .kernarg_segment_size: 40
    .language:       OpenCL C
    .language_version:
      - 2
      - 0
    .max_flat_workgroup_size: 512
    .name:           _ZN7rocprim17ROCPRIM_400000_NS6detail17trampoline_kernelINS0_14default_configENS1_35radix_sort_onesweep_config_selectorIjN6thrust23THRUST_200600_302600_NS5tupleIffNS6_9null_typeES8_S8_S8_S8_S8_S8_S8_EEEEZNS1_34radix_sort_onesweep_global_offsetsIS3_Lb0ENS6_6detail15normal_iteratorINS6_10device_ptrIjEEEENSD_INSE_IS9_EEEEjNS0_19identity_decomposerEEE10hipError_tT1_T2_PT3_SN_jT4_jjP12ihipStream_tbEUlT_E_NS1_11comp_targetILNS1_3genE2ELNS1_11target_archE906ELNS1_3gpuE6ELNS1_3repE0EEENS1_52radix_sort_onesweep_histogram_config_static_selectorELNS0_4arch9wavefront6targetE0EEEvSL_
    .private_segment_fixed_size: 0
    .sgpr_count:     0
    .sgpr_spill_count: 0
    .symbol:         _ZN7rocprim17ROCPRIM_400000_NS6detail17trampoline_kernelINS0_14default_configENS1_35radix_sort_onesweep_config_selectorIjN6thrust23THRUST_200600_302600_NS5tupleIffNS6_9null_typeES8_S8_S8_S8_S8_S8_S8_EEEEZNS1_34radix_sort_onesweep_global_offsetsIS3_Lb0ENS6_6detail15normal_iteratorINS6_10device_ptrIjEEEENSD_INSE_IS9_EEEEjNS0_19identity_decomposerEEE10hipError_tT1_T2_PT3_SN_jT4_jjP12ihipStream_tbEUlT_E_NS1_11comp_targetILNS1_3genE2ELNS1_11target_archE906ELNS1_3gpuE6ELNS1_3repE0EEENS1_52radix_sort_onesweep_histogram_config_static_selectorELNS0_4arch9wavefront6targetE0EEEvSL_.kd
    .uniform_work_group_size: 1
    .uses_dynamic_stack: false
    .vgpr_count:     0
    .vgpr_spill_count: 0
    .wavefront_size: 32
    .workgroup_processor_mode: 1
  - .args:
      - .offset:         0
        .size:           40
        .value_kind:     by_value
    .group_segment_fixed_size: 0
    .kernarg_segment_align: 8
    .kernarg_segment_size: 40
    .language:       OpenCL C
    .language_version:
      - 2
      - 0
    .max_flat_workgroup_size: 512
    .name:           _ZN7rocprim17ROCPRIM_400000_NS6detail17trampoline_kernelINS0_14default_configENS1_35radix_sort_onesweep_config_selectorIjN6thrust23THRUST_200600_302600_NS5tupleIffNS6_9null_typeES8_S8_S8_S8_S8_S8_S8_EEEEZNS1_34radix_sort_onesweep_global_offsetsIS3_Lb0ENS6_6detail15normal_iteratorINS6_10device_ptrIjEEEENSD_INSE_IS9_EEEEjNS0_19identity_decomposerEEE10hipError_tT1_T2_PT3_SN_jT4_jjP12ihipStream_tbEUlT_E_NS1_11comp_targetILNS1_3genE4ELNS1_11target_archE910ELNS1_3gpuE8ELNS1_3repE0EEENS1_52radix_sort_onesweep_histogram_config_static_selectorELNS0_4arch9wavefront6targetE0EEEvSL_
    .private_segment_fixed_size: 0
    .sgpr_count:     0
    .sgpr_spill_count: 0
    .symbol:         _ZN7rocprim17ROCPRIM_400000_NS6detail17trampoline_kernelINS0_14default_configENS1_35radix_sort_onesweep_config_selectorIjN6thrust23THRUST_200600_302600_NS5tupleIffNS6_9null_typeES8_S8_S8_S8_S8_S8_S8_EEEEZNS1_34radix_sort_onesweep_global_offsetsIS3_Lb0ENS6_6detail15normal_iteratorINS6_10device_ptrIjEEEENSD_INSE_IS9_EEEEjNS0_19identity_decomposerEEE10hipError_tT1_T2_PT3_SN_jT4_jjP12ihipStream_tbEUlT_E_NS1_11comp_targetILNS1_3genE4ELNS1_11target_archE910ELNS1_3gpuE8ELNS1_3repE0EEENS1_52radix_sort_onesweep_histogram_config_static_selectorELNS0_4arch9wavefront6targetE0EEEvSL_.kd
    .uniform_work_group_size: 1
    .uses_dynamic_stack: false
    .vgpr_count:     0
    .vgpr_spill_count: 0
    .wavefront_size: 32
    .workgroup_processor_mode: 1
  - .args:
      - .offset:         0
        .size:           40
        .value_kind:     by_value
    .group_segment_fixed_size: 0
    .kernarg_segment_align: 8
    .kernarg_segment_size: 40
    .language:       OpenCL C
    .language_version:
      - 2
      - 0
    .max_flat_workgroup_size: 512
    .name:           _ZN7rocprim17ROCPRIM_400000_NS6detail17trampoline_kernelINS0_14default_configENS1_35radix_sort_onesweep_config_selectorIjN6thrust23THRUST_200600_302600_NS5tupleIffNS6_9null_typeES8_S8_S8_S8_S8_S8_S8_EEEEZNS1_34radix_sort_onesweep_global_offsetsIS3_Lb0ENS6_6detail15normal_iteratorINS6_10device_ptrIjEEEENSD_INSE_IS9_EEEEjNS0_19identity_decomposerEEE10hipError_tT1_T2_PT3_SN_jT4_jjP12ihipStream_tbEUlT_E_NS1_11comp_targetILNS1_3genE3ELNS1_11target_archE908ELNS1_3gpuE7ELNS1_3repE0EEENS1_52radix_sort_onesweep_histogram_config_static_selectorELNS0_4arch9wavefront6targetE0EEEvSL_
    .private_segment_fixed_size: 0
    .sgpr_count:     0
    .sgpr_spill_count: 0
    .symbol:         _ZN7rocprim17ROCPRIM_400000_NS6detail17trampoline_kernelINS0_14default_configENS1_35radix_sort_onesweep_config_selectorIjN6thrust23THRUST_200600_302600_NS5tupleIffNS6_9null_typeES8_S8_S8_S8_S8_S8_S8_EEEEZNS1_34radix_sort_onesweep_global_offsetsIS3_Lb0ENS6_6detail15normal_iteratorINS6_10device_ptrIjEEEENSD_INSE_IS9_EEEEjNS0_19identity_decomposerEEE10hipError_tT1_T2_PT3_SN_jT4_jjP12ihipStream_tbEUlT_E_NS1_11comp_targetILNS1_3genE3ELNS1_11target_archE908ELNS1_3gpuE7ELNS1_3repE0EEENS1_52radix_sort_onesweep_histogram_config_static_selectorELNS0_4arch9wavefront6targetE0EEEvSL_.kd
    .uniform_work_group_size: 1
    .uses_dynamic_stack: false
    .vgpr_count:     0
    .vgpr_spill_count: 0
    .wavefront_size: 32
    .workgroup_processor_mode: 1
  - .args:
      - .offset:         0
        .size:           40
        .value_kind:     by_value
    .group_segment_fixed_size: 16384
    .kernarg_segment_align: 8
    .kernarg_segment_size: 40
    .language:       OpenCL C
    .language_version:
      - 2
      - 0
    .max_flat_workgroup_size: 1024
    .name:           _ZN7rocprim17ROCPRIM_400000_NS6detail17trampoline_kernelINS0_14default_configENS1_35radix_sort_onesweep_config_selectorIjN6thrust23THRUST_200600_302600_NS5tupleIffNS6_9null_typeES8_S8_S8_S8_S8_S8_S8_EEEEZNS1_34radix_sort_onesweep_global_offsetsIS3_Lb0ENS6_6detail15normal_iteratorINS6_10device_ptrIjEEEENSD_INSE_IS9_EEEEjNS0_19identity_decomposerEEE10hipError_tT1_T2_PT3_SN_jT4_jjP12ihipStream_tbEUlT_E_NS1_11comp_targetILNS1_3genE10ELNS1_11target_archE1201ELNS1_3gpuE5ELNS1_3repE0EEENS1_52radix_sort_onesweep_histogram_config_static_selectorELNS0_4arch9wavefront6targetE0EEEvSL_
    .private_segment_fixed_size: 0
    .sgpr_count:     16
    .sgpr_spill_count: 0
    .symbol:         _ZN7rocprim17ROCPRIM_400000_NS6detail17trampoline_kernelINS0_14default_configENS1_35radix_sort_onesweep_config_selectorIjN6thrust23THRUST_200600_302600_NS5tupleIffNS6_9null_typeES8_S8_S8_S8_S8_S8_S8_EEEEZNS1_34radix_sort_onesweep_global_offsetsIS3_Lb0ENS6_6detail15normal_iteratorINS6_10device_ptrIjEEEENSD_INSE_IS9_EEEEjNS0_19identity_decomposerEEE10hipError_tT1_T2_PT3_SN_jT4_jjP12ihipStream_tbEUlT_E_NS1_11comp_targetILNS1_3genE10ELNS1_11target_archE1201ELNS1_3gpuE5ELNS1_3repE0EEENS1_52radix_sort_onesweep_histogram_config_static_selectorELNS0_4arch9wavefront6targetE0EEEvSL_.kd
    .uniform_work_group_size: 1
    .uses_dynamic_stack: false
    .vgpr_count:     35
    .vgpr_spill_count: 0
    .wavefront_size: 32
    .workgroup_processor_mode: 1
  - .args:
      - .offset:         0
        .size:           40
        .value_kind:     by_value
    .group_segment_fixed_size: 0
    .kernarg_segment_align: 8
    .kernarg_segment_size: 40
    .language:       OpenCL C
    .language_version:
      - 2
      - 0
    .max_flat_workgroup_size: 1024
    .name:           _ZN7rocprim17ROCPRIM_400000_NS6detail17trampoline_kernelINS0_14default_configENS1_35radix_sort_onesweep_config_selectorIjN6thrust23THRUST_200600_302600_NS5tupleIffNS6_9null_typeES8_S8_S8_S8_S8_S8_S8_EEEEZNS1_34radix_sort_onesweep_global_offsetsIS3_Lb0ENS6_6detail15normal_iteratorINS6_10device_ptrIjEEEENSD_INSE_IS9_EEEEjNS0_19identity_decomposerEEE10hipError_tT1_T2_PT3_SN_jT4_jjP12ihipStream_tbEUlT_E_NS1_11comp_targetILNS1_3genE9ELNS1_11target_archE1100ELNS1_3gpuE3ELNS1_3repE0EEENS1_52radix_sort_onesweep_histogram_config_static_selectorELNS0_4arch9wavefront6targetE0EEEvSL_
    .private_segment_fixed_size: 0
    .sgpr_count:     0
    .sgpr_spill_count: 0
    .symbol:         _ZN7rocprim17ROCPRIM_400000_NS6detail17trampoline_kernelINS0_14default_configENS1_35radix_sort_onesweep_config_selectorIjN6thrust23THRUST_200600_302600_NS5tupleIffNS6_9null_typeES8_S8_S8_S8_S8_S8_S8_EEEEZNS1_34radix_sort_onesweep_global_offsetsIS3_Lb0ENS6_6detail15normal_iteratorINS6_10device_ptrIjEEEENSD_INSE_IS9_EEEEjNS0_19identity_decomposerEEE10hipError_tT1_T2_PT3_SN_jT4_jjP12ihipStream_tbEUlT_E_NS1_11comp_targetILNS1_3genE9ELNS1_11target_archE1100ELNS1_3gpuE3ELNS1_3repE0EEENS1_52radix_sort_onesweep_histogram_config_static_selectorELNS0_4arch9wavefront6targetE0EEEvSL_.kd
    .uniform_work_group_size: 1
    .uses_dynamic_stack: false
    .vgpr_count:     0
    .vgpr_spill_count: 0
    .wavefront_size: 32
    .workgroup_processor_mode: 1
  - .args:
      - .offset:         0
        .size:           40
        .value_kind:     by_value
    .group_segment_fixed_size: 0
    .kernarg_segment_align: 8
    .kernarg_segment_size: 40
    .language:       OpenCL C
    .language_version:
      - 2
      - 0
    .max_flat_workgroup_size: 1024
    .name:           _ZN7rocprim17ROCPRIM_400000_NS6detail17trampoline_kernelINS0_14default_configENS1_35radix_sort_onesweep_config_selectorIjN6thrust23THRUST_200600_302600_NS5tupleIffNS6_9null_typeES8_S8_S8_S8_S8_S8_S8_EEEEZNS1_34radix_sort_onesweep_global_offsetsIS3_Lb0ENS6_6detail15normal_iteratorINS6_10device_ptrIjEEEENSD_INSE_IS9_EEEEjNS0_19identity_decomposerEEE10hipError_tT1_T2_PT3_SN_jT4_jjP12ihipStream_tbEUlT_E_NS1_11comp_targetILNS1_3genE8ELNS1_11target_archE1030ELNS1_3gpuE2ELNS1_3repE0EEENS1_52radix_sort_onesweep_histogram_config_static_selectorELNS0_4arch9wavefront6targetE0EEEvSL_
    .private_segment_fixed_size: 0
    .sgpr_count:     0
    .sgpr_spill_count: 0
    .symbol:         _ZN7rocprim17ROCPRIM_400000_NS6detail17trampoline_kernelINS0_14default_configENS1_35radix_sort_onesweep_config_selectorIjN6thrust23THRUST_200600_302600_NS5tupleIffNS6_9null_typeES8_S8_S8_S8_S8_S8_S8_EEEEZNS1_34radix_sort_onesweep_global_offsetsIS3_Lb0ENS6_6detail15normal_iteratorINS6_10device_ptrIjEEEENSD_INSE_IS9_EEEEjNS0_19identity_decomposerEEE10hipError_tT1_T2_PT3_SN_jT4_jjP12ihipStream_tbEUlT_E_NS1_11comp_targetILNS1_3genE8ELNS1_11target_archE1030ELNS1_3gpuE2ELNS1_3repE0EEENS1_52radix_sort_onesweep_histogram_config_static_selectorELNS0_4arch9wavefront6targetE0EEEvSL_.kd
    .uniform_work_group_size: 1
    .uses_dynamic_stack: false
    .vgpr_count:     0
    .vgpr_spill_count: 0
    .wavefront_size: 32
    .workgroup_processor_mode: 1
  - .args:
      - .address_space:  global
        .offset:         0
        .size:           8
        .value_kind:     global_buffer
    .group_segment_fixed_size: 0
    .kernarg_segment_align: 8
    .kernarg_segment_size: 8
    .language:       OpenCL C
    .language_version:
      - 2
      - 0
    .max_flat_workgroup_size: 512
    .name:           _ZN7rocprim17ROCPRIM_400000_NS6detail17trampoline_kernelINS0_14default_configENS1_35radix_sort_onesweep_config_selectorIjN6thrust23THRUST_200600_302600_NS5tupleIffNS6_9null_typeES8_S8_S8_S8_S8_S8_S8_EEEEZNS1_34radix_sort_onesweep_global_offsetsIS3_Lb0ENS6_6detail15normal_iteratorINS6_10device_ptrIjEEEENSD_INSE_IS9_EEEEjNS0_19identity_decomposerEEE10hipError_tT1_T2_PT3_SN_jT4_jjP12ihipStream_tbEUlT_E0_NS1_11comp_targetILNS1_3genE0ELNS1_11target_archE4294967295ELNS1_3gpuE0ELNS1_3repE0EEENS1_52radix_sort_onesweep_histogram_config_static_selectorELNS0_4arch9wavefront6targetE0EEEvSL_
    .private_segment_fixed_size: 0
    .sgpr_count:     0
    .sgpr_spill_count: 0
    .symbol:         _ZN7rocprim17ROCPRIM_400000_NS6detail17trampoline_kernelINS0_14default_configENS1_35radix_sort_onesweep_config_selectorIjN6thrust23THRUST_200600_302600_NS5tupleIffNS6_9null_typeES8_S8_S8_S8_S8_S8_S8_EEEEZNS1_34radix_sort_onesweep_global_offsetsIS3_Lb0ENS6_6detail15normal_iteratorINS6_10device_ptrIjEEEENSD_INSE_IS9_EEEEjNS0_19identity_decomposerEEE10hipError_tT1_T2_PT3_SN_jT4_jjP12ihipStream_tbEUlT_E0_NS1_11comp_targetILNS1_3genE0ELNS1_11target_archE4294967295ELNS1_3gpuE0ELNS1_3repE0EEENS1_52radix_sort_onesweep_histogram_config_static_selectorELNS0_4arch9wavefront6targetE0EEEvSL_.kd
    .uniform_work_group_size: 1
    .uses_dynamic_stack: false
    .vgpr_count:     0
    .vgpr_spill_count: 0
    .wavefront_size: 32
    .workgroup_processor_mode: 1
  - .args:
      - .address_space:  global
        .offset:         0
        .size:           8
        .value_kind:     global_buffer
    .group_segment_fixed_size: 0
    .kernarg_segment_align: 8
    .kernarg_segment_size: 8
    .language:       OpenCL C
    .language_version:
      - 2
      - 0
    .max_flat_workgroup_size: 1024
    .name:           _ZN7rocprim17ROCPRIM_400000_NS6detail17trampoline_kernelINS0_14default_configENS1_35radix_sort_onesweep_config_selectorIjN6thrust23THRUST_200600_302600_NS5tupleIffNS6_9null_typeES8_S8_S8_S8_S8_S8_S8_EEEEZNS1_34radix_sort_onesweep_global_offsetsIS3_Lb0ENS6_6detail15normal_iteratorINS6_10device_ptrIjEEEENSD_INSE_IS9_EEEEjNS0_19identity_decomposerEEE10hipError_tT1_T2_PT3_SN_jT4_jjP12ihipStream_tbEUlT_E0_NS1_11comp_targetILNS1_3genE6ELNS1_11target_archE950ELNS1_3gpuE13ELNS1_3repE0EEENS1_52radix_sort_onesweep_histogram_config_static_selectorELNS0_4arch9wavefront6targetE0EEEvSL_
    .private_segment_fixed_size: 0
    .sgpr_count:     0
    .sgpr_spill_count: 0
    .symbol:         _ZN7rocprim17ROCPRIM_400000_NS6detail17trampoline_kernelINS0_14default_configENS1_35radix_sort_onesweep_config_selectorIjN6thrust23THRUST_200600_302600_NS5tupleIffNS6_9null_typeES8_S8_S8_S8_S8_S8_S8_EEEEZNS1_34radix_sort_onesweep_global_offsetsIS3_Lb0ENS6_6detail15normal_iteratorINS6_10device_ptrIjEEEENSD_INSE_IS9_EEEEjNS0_19identity_decomposerEEE10hipError_tT1_T2_PT3_SN_jT4_jjP12ihipStream_tbEUlT_E0_NS1_11comp_targetILNS1_3genE6ELNS1_11target_archE950ELNS1_3gpuE13ELNS1_3repE0EEENS1_52radix_sort_onesweep_histogram_config_static_selectorELNS0_4arch9wavefront6targetE0EEEvSL_.kd
    .uniform_work_group_size: 1
    .uses_dynamic_stack: false
    .vgpr_count:     0
    .vgpr_spill_count: 0
    .wavefront_size: 32
    .workgroup_processor_mode: 1
  - .args:
      - .address_space:  global
        .offset:         0
        .size:           8
        .value_kind:     global_buffer
    .group_segment_fixed_size: 0
    .kernarg_segment_align: 8
    .kernarg_segment_size: 8
    .language:       OpenCL C
    .language_version:
      - 2
      - 0
    .max_flat_workgroup_size: 1024
    .name:           _ZN7rocprim17ROCPRIM_400000_NS6detail17trampoline_kernelINS0_14default_configENS1_35radix_sort_onesweep_config_selectorIjN6thrust23THRUST_200600_302600_NS5tupleIffNS6_9null_typeES8_S8_S8_S8_S8_S8_S8_EEEEZNS1_34radix_sort_onesweep_global_offsetsIS3_Lb0ENS6_6detail15normal_iteratorINS6_10device_ptrIjEEEENSD_INSE_IS9_EEEEjNS0_19identity_decomposerEEE10hipError_tT1_T2_PT3_SN_jT4_jjP12ihipStream_tbEUlT_E0_NS1_11comp_targetILNS1_3genE5ELNS1_11target_archE942ELNS1_3gpuE9ELNS1_3repE0EEENS1_52radix_sort_onesweep_histogram_config_static_selectorELNS0_4arch9wavefront6targetE0EEEvSL_
    .private_segment_fixed_size: 0
    .sgpr_count:     0
    .sgpr_spill_count: 0
    .symbol:         _ZN7rocprim17ROCPRIM_400000_NS6detail17trampoline_kernelINS0_14default_configENS1_35radix_sort_onesweep_config_selectorIjN6thrust23THRUST_200600_302600_NS5tupleIffNS6_9null_typeES8_S8_S8_S8_S8_S8_S8_EEEEZNS1_34radix_sort_onesweep_global_offsetsIS3_Lb0ENS6_6detail15normal_iteratorINS6_10device_ptrIjEEEENSD_INSE_IS9_EEEEjNS0_19identity_decomposerEEE10hipError_tT1_T2_PT3_SN_jT4_jjP12ihipStream_tbEUlT_E0_NS1_11comp_targetILNS1_3genE5ELNS1_11target_archE942ELNS1_3gpuE9ELNS1_3repE0EEENS1_52radix_sort_onesweep_histogram_config_static_selectorELNS0_4arch9wavefront6targetE0EEEvSL_.kd
    .uniform_work_group_size: 1
    .uses_dynamic_stack: false
    .vgpr_count:     0
    .vgpr_spill_count: 0
    .wavefront_size: 32
    .workgroup_processor_mode: 1
  - .args:
      - .address_space:  global
        .offset:         0
        .size:           8
        .value_kind:     global_buffer
    .group_segment_fixed_size: 0
    .kernarg_segment_align: 8
    .kernarg_segment_size: 8
    .language:       OpenCL C
    .language_version:
      - 2
      - 0
    .max_flat_workgroup_size: 512
    .name:           _ZN7rocprim17ROCPRIM_400000_NS6detail17trampoline_kernelINS0_14default_configENS1_35radix_sort_onesweep_config_selectorIjN6thrust23THRUST_200600_302600_NS5tupleIffNS6_9null_typeES8_S8_S8_S8_S8_S8_S8_EEEEZNS1_34radix_sort_onesweep_global_offsetsIS3_Lb0ENS6_6detail15normal_iteratorINS6_10device_ptrIjEEEENSD_INSE_IS9_EEEEjNS0_19identity_decomposerEEE10hipError_tT1_T2_PT3_SN_jT4_jjP12ihipStream_tbEUlT_E0_NS1_11comp_targetILNS1_3genE2ELNS1_11target_archE906ELNS1_3gpuE6ELNS1_3repE0EEENS1_52radix_sort_onesweep_histogram_config_static_selectorELNS0_4arch9wavefront6targetE0EEEvSL_
    .private_segment_fixed_size: 0
    .sgpr_count:     0
    .sgpr_spill_count: 0
    .symbol:         _ZN7rocprim17ROCPRIM_400000_NS6detail17trampoline_kernelINS0_14default_configENS1_35radix_sort_onesweep_config_selectorIjN6thrust23THRUST_200600_302600_NS5tupleIffNS6_9null_typeES8_S8_S8_S8_S8_S8_S8_EEEEZNS1_34radix_sort_onesweep_global_offsetsIS3_Lb0ENS6_6detail15normal_iteratorINS6_10device_ptrIjEEEENSD_INSE_IS9_EEEEjNS0_19identity_decomposerEEE10hipError_tT1_T2_PT3_SN_jT4_jjP12ihipStream_tbEUlT_E0_NS1_11comp_targetILNS1_3genE2ELNS1_11target_archE906ELNS1_3gpuE6ELNS1_3repE0EEENS1_52radix_sort_onesweep_histogram_config_static_selectorELNS0_4arch9wavefront6targetE0EEEvSL_.kd
    .uniform_work_group_size: 1
    .uses_dynamic_stack: false
    .vgpr_count:     0
    .vgpr_spill_count: 0
    .wavefront_size: 32
    .workgroup_processor_mode: 1
  - .args:
      - .address_space:  global
        .offset:         0
        .size:           8
        .value_kind:     global_buffer
    .group_segment_fixed_size: 0
    .kernarg_segment_align: 8
    .kernarg_segment_size: 8
    .language:       OpenCL C
    .language_version:
      - 2
      - 0
    .max_flat_workgroup_size: 512
    .name:           _ZN7rocprim17ROCPRIM_400000_NS6detail17trampoline_kernelINS0_14default_configENS1_35radix_sort_onesweep_config_selectorIjN6thrust23THRUST_200600_302600_NS5tupleIffNS6_9null_typeES8_S8_S8_S8_S8_S8_S8_EEEEZNS1_34radix_sort_onesweep_global_offsetsIS3_Lb0ENS6_6detail15normal_iteratorINS6_10device_ptrIjEEEENSD_INSE_IS9_EEEEjNS0_19identity_decomposerEEE10hipError_tT1_T2_PT3_SN_jT4_jjP12ihipStream_tbEUlT_E0_NS1_11comp_targetILNS1_3genE4ELNS1_11target_archE910ELNS1_3gpuE8ELNS1_3repE0EEENS1_52radix_sort_onesweep_histogram_config_static_selectorELNS0_4arch9wavefront6targetE0EEEvSL_
    .private_segment_fixed_size: 0
    .sgpr_count:     0
    .sgpr_spill_count: 0
    .symbol:         _ZN7rocprim17ROCPRIM_400000_NS6detail17trampoline_kernelINS0_14default_configENS1_35radix_sort_onesweep_config_selectorIjN6thrust23THRUST_200600_302600_NS5tupleIffNS6_9null_typeES8_S8_S8_S8_S8_S8_S8_EEEEZNS1_34radix_sort_onesweep_global_offsetsIS3_Lb0ENS6_6detail15normal_iteratorINS6_10device_ptrIjEEEENSD_INSE_IS9_EEEEjNS0_19identity_decomposerEEE10hipError_tT1_T2_PT3_SN_jT4_jjP12ihipStream_tbEUlT_E0_NS1_11comp_targetILNS1_3genE4ELNS1_11target_archE910ELNS1_3gpuE8ELNS1_3repE0EEENS1_52radix_sort_onesweep_histogram_config_static_selectorELNS0_4arch9wavefront6targetE0EEEvSL_.kd
    .uniform_work_group_size: 1
    .uses_dynamic_stack: false
    .vgpr_count:     0
    .vgpr_spill_count: 0
    .wavefront_size: 32
    .workgroup_processor_mode: 1
  - .args:
      - .address_space:  global
        .offset:         0
        .size:           8
        .value_kind:     global_buffer
    .group_segment_fixed_size: 0
    .kernarg_segment_align: 8
    .kernarg_segment_size: 8
    .language:       OpenCL C
    .language_version:
      - 2
      - 0
    .max_flat_workgroup_size: 512
    .name:           _ZN7rocprim17ROCPRIM_400000_NS6detail17trampoline_kernelINS0_14default_configENS1_35radix_sort_onesweep_config_selectorIjN6thrust23THRUST_200600_302600_NS5tupleIffNS6_9null_typeES8_S8_S8_S8_S8_S8_S8_EEEEZNS1_34radix_sort_onesweep_global_offsetsIS3_Lb0ENS6_6detail15normal_iteratorINS6_10device_ptrIjEEEENSD_INSE_IS9_EEEEjNS0_19identity_decomposerEEE10hipError_tT1_T2_PT3_SN_jT4_jjP12ihipStream_tbEUlT_E0_NS1_11comp_targetILNS1_3genE3ELNS1_11target_archE908ELNS1_3gpuE7ELNS1_3repE0EEENS1_52radix_sort_onesweep_histogram_config_static_selectorELNS0_4arch9wavefront6targetE0EEEvSL_
    .private_segment_fixed_size: 0
    .sgpr_count:     0
    .sgpr_spill_count: 0
    .symbol:         _ZN7rocprim17ROCPRIM_400000_NS6detail17trampoline_kernelINS0_14default_configENS1_35radix_sort_onesweep_config_selectorIjN6thrust23THRUST_200600_302600_NS5tupleIffNS6_9null_typeES8_S8_S8_S8_S8_S8_S8_EEEEZNS1_34radix_sort_onesweep_global_offsetsIS3_Lb0ENS6_6detail15normal_iteratorINS6_10device_ptrIjEEEENSD_INSE_IS9_EEEEjNS0_19identity_decomposerEEE10hipError_tT1_T2_PT3_SN_jT4_jjP12ihipStream_tbEUlT_E0_NS1_11comp_targetILNS1_3genE3ELNS1_11target_archE908ELNS1_3gpuE7ELNS1_3repE0EEENS1_52radix_sort_onesweep_histogram_config_static_selectorELNS0_4arch9wavefront6targetE0EEEvSL_.kd
    .uniform_work_group_size: 1
    .uses_dynamic_stack: false
    .vgpr_count:     0
    .vgpr_spill_count: 0
    .wavefront_size: 32
    .workgroup_processor_mode: 1
  - .args:
      - .address_space:  global
        .offset:         0
        .size:           8
        .value_kind:     global_buffer
    .group_segment_fixed_size: 128
    .kernarg_segment_align: 8
    .kernarg_segment_size: 8
    .language:       OpenCL C
    .language_version:
      - 2
      - 0
    .max_flat_workgroup_size: 1024
    .name:           _ZN7rocprim17ROCPRIM_400000_NS6detail17trampoline_kernelINS0_14default_configENS1_35radix_sort_onesweep_config_selectorIjN6thrust23THRUST_200600_302600_NS5tupleIffNS6_9null_typeES8_S8_S8_S8_S8_S8_S8_EEEEZNS1_34radix_sort_onesweep_global_offsetsIS3_Lb0ENS6_6detail15normal_iteratorINS6_10device_ptrIjEEEENSD_INSE_IS9_EEEEjNS0_19identity_decomposerEEE10hipError_tT1_T2_PT3_SN_jT4_jjP12ihipStream_tbEUlT_E0_NS1_11comp_targetILNS1_3genE10ELNS1_11target_archE1201ELNS1_3gpuE5ELNS1_3repE0EEENS1_52radix_sort_onesweep_histogram_config_static_selectorELNS0_4arch9wavefront6targetE0EEEvSL_
    .private_segment_fixed_size: 0
    .sgpr_count:     12
    .sgpr_spill_count: 0
    .symbol:         _ZN7rocprim17ROCPRIM_400000_NS6detail17trampoline_kernelINS0_14default_configENS1_35radix_sort_onesweep_config_selectorIjN6thrust23THRUST_200600_302600_NS5tupleIffNS6_9null_typeES8_S8_S8_S8_S8_S8_S8_EEEEZNS1_34radix_sort_onesweep_global_offsetsIS3_Lb0ENS6_6detail15normal_iteratorINS6_10device_ptrIjEEEENSD_INSE_IS9_EEEEjNS0_19identity_decomposerEEE10hipError_tT1_T2_PT3_SN_jT4_jjP12ihipStream_tbEUlT_E0_NS1_11comp_targetILNS1_3genE10ELNS1_11target_archE1201ELNS1_3gpuE5ELNS1_3repE0EEENS1_52radix_sort_onesweep_histogram_config_static_selectorELNS0_4arch9wavefront6targetE0EEEvSL_.kd
    .uniform_work_group_size: 1
    .uses_dynamic_stack: false
    .vgpr_count:     8
    .vgpr_spill_count: 0
    .wavefront_size: 32
    .workgroup_processor_mode: 1
  - .args:
      - .address_space:  global
        .offset:         0
        .size:           8
        .value_kind:     global_buffer
    .group_segment_fixed_size: 0
    .kernarg_segment_align: 8
    .kernarg_segment_size: 8
    .language:       OpenCL C
    .language_version:
      - 2
      - 0
    .max_flat_workgroup_size: 1024
    .name:           _ZN7rocprim17ROCPRIM_400000_NS6detail17trampoline_kernelINS0_14default_configENS1_35radix_sort_onesweep_config_selectorIjN6thrust23THRUST_200600_302600_NS5tupleIffNS6_9null_typeES8_S8_S8_S8_S8_S8_S8_EEEEZNS1_34radix_sort_onesweep_global_offsetsIS3_Lb0ENS6_6detail15normal_iteratorINS6_10device_ptrIjEEEENSD_INSE_IS9_EEEEjNS0_19identity_decomposerEEE10hipError_tT1_T2_PT3_SN_jT4_jjP12ihipStream_tbEUlT_E0_NS1_11comp_targetILNS1_3genE9ELNS1_11target_archE1100ELNS1_3gpuE3ELNS1_3repE0EEENS1_52radix_sort_onesweep_histogram_config_static_selectorELNS0_4arch9wavefront6targetE0EEEvSL_
    .private_segment_fixed_size: 0
    .sgpr_count:     0
    .sgpr_spill_count: 0
    .symbol:         _ZN7rocprim17ROCPRIM_400000_NS6detail17trampoline_kernelINS0_14default_configENS1_35radix_sort_onesweep_config_selectorIjN6thrust23THRUST_200600_302600_NS5tupleIffNS6_9null_typeES8_S8_S8_S8_S8_S8_S8_EEEEZNS1_34radix_sort_onesweep_global_offsetsIS3_Lb0ENS6_6detail15normal_iteratorINS6_10device_ptrIjEEEENSD_INSE_IS9_EEEEjNS0_19identity_decomposerEEE10hipError_tT1_T2_PT3_SN_jT4_jjP12ihipStream_tbEUlT_E0_NS1_11comp_targetILNS1_3genE9ELNS1_11target_archE1100ELNS1_3gpuE3ELNS1_3repE0EEENS1_52radix_sort_onesweep_histogram_config_static_selectorELNS0_4arch9wavefront6targetE0EEEvSL_.kd
    .uniform_work_group_size: 1
    .uses_dynamic_stack: false
    .vgpr_count:     0
    .vgpr_spill_count: 0
    .wavefront_size: 32
    .workgroup_processor_mode: 1
  - .args:
      - .address_space:  global
        .offset:         0
        .size:           8
        .value_kind:     global_buffer
    .group_segment_fixed_size: 0
    .kernarg_segment_align: 8
    .kernarg_segment_size: 8
    .language:       OpenCL C
    .language_version:
      - 2
      - 0
    .max_flat_workgroup_size: 1024
    .name:           _ZN7rocprim17ROCPRIM_400000_NS6detail17trampoline_kernelINS0_14default_configENS1_35radix_sort_onesweep_config_selectorIjN6thrust23THRUST_200600_302600_NS5tupleIffNS6_9null_typeES8_S8_S8_S8_S8_S8_S8_EEEEZNS1_34radix_sort_onesweep_global_offsetsIS3_Lb0ENS6_6detail15normal_iteratorINS6_10device_ptrIjEEEENSD_INSE_IS9_EEEEjNS0_19identity_decomposerEEE10hipError_tT1_T2_PT3_SN_jT4_jjP12ihipStream_tbEUlT_E0_NS1_11comp_targetILNS1_3genE8ELNS1_11target_archE1030ELNS1_3gpuE2ELNS1_3repE0EEENS1_52radix_sort_onesweep_histogram_config_static_selectorELNS0_4arch9wavefront6targetE0EEEvSL_
    .private_segment_fixed_size: 0
    .sgpr_count:     0
    .sgpr_spill_count: 0
    .symbol:         _ZN7rocprim17ROCPRIM_400000_NS6detail17trampoline_kernelINS0_14default_configENS1_35radix_sort_onesweep_config_selectorIjN6thrust23THRUST_200600_302600_NS5tupleIffNS6_9null_typeES8_S8_S8_S8_S8_S8_S8_EEEEZNS1_34radix_sort_onesweep_global_offsetsIS3_Lb0ENS6_6detail15normal_iteratorINS6_10device_ptrIjEEEENSD_INSE_IS9_EEEEjNS0_19identity_decomposerEEE10hipError_tT1_T2_PT3_SN_jT4_jjP12ihipStream_tbEUlT_E0_NS1_11comp_targetILNS1_3genE8ELNS1_11target_archE1030ELNS1_3gpuE2ELNS1_3repE0EEENS1_52radix_sort_onesweep_histogram_config_static_selectorELNS0_4arch9wavefront6targetE0EEEvSL_.kd
    .uniform_work_group_size: 1
    .uses_dynamic_stack: false
    .vgpr_count:     0
    .vgpr_spill_count: 0
    .wavefront_size: 32
    .workgroup_processor_mode: 1
  - .args:
      - .offset:         0
        .size:           40
        .value_kind:     by_value
    .group_segment_fixed_size: 0
    .kernarg_segment_align: 8
    .kernarg_segment_size: 40
    .language:       OpenCL C
    .language_version:
      - 2
      - 0
    .max_flat_workgroup_size: 128
    .name:           _ZN7rocprim17ROCPRIM_400000_NS6detail17trampoline_kernelINS0_14default_configENS1_25transform_config_selectorIjLb0EEEZNS1_14transform_implILb0ES3_S5_N6thrust23THRUST_200600_302600_NS6detail15normal_iteratorINS8_10device_ptrIjEEEEPjNS0_8identityIjEEEE10hipError_tT2_T3_mT4_P12ihipStream_tbEUlT_E_NS1_11comp_targetILNS1_3genE0ELNS1_11target_archE4294967295ELNS1_3gpuE0ELNS1_3repE0EEENS1_30default_config_static_selectorELNS0_4arch9wavefront6targetE0EEEvT1_
    .private_segment_fixed_size: 0
    .sgpr_count:     0
    .sgpr_spill_count: 0
    .symbol:         _ZN7rocprim17ROCPRIM_400000_NS6detail17trampoline_kernelINS0_14default_configENS1_25transform_config_selectorIjLb0EEEZNS1_14transform_implILb0ES3_S5_N6thrust23THRUST_200600_302600_NS6detail15normal_iteratorINS8_10device_ptrIjEEEEPjNS0_8identityIjEEEE10hipError_tT2_T3_mT4_P12ihipStream_tbEUlT_E_NS1_11comp_targetILNS1_3genE0ELNS1_11target_archE4294967295ELNS1_3gpuE0ELNS1_3repE0EEENS1_30default_config_static_selectorELNS0_4arch9wavefront6targetE0EEEvT1_.kd
    .uniform_work_group_size: 1
    .uses_dynamic_stack: false
    .vgpr_count:     0
    .vgpr_spill_count: 0
    .wavefront_size: 32
    .workgroup_processor_mode: 1
  - .args:
      - .offset:         0
        .size:           40
        .value_kind:     by_value
    .group_segment_fixed_size: 0
    .kernarg_segment_align: 8
    .kernarg_segment_size: 40
    .language:       OpenCL C
    .language_version:
      - 2
      - 0
    .max_flat_workgroup_size: 512
    .name:           _ZN7rocprim17ROCPRIM_400000_NS6detail17trampoline_kernelINS0_14default_configENS1_25transform_config_selectorIjLb0EEEZNS1_14transform_implILb0ES3_S5_N6thrust23THRUST_200600_302600_NS6detail15normal_iteratorINS8_10device_ptrIjEEEEPjNS0_8identityIjEEEE10hipError_tT2_T3_mT4_P12ihipStream_tbEUlT_E_NS1_11comp_targetILNS1_3genE5ELNS1_11target_archE942ELNS1_3gpuE9ELNS1_3repE0EEENS1_30default_config_static_selectorELNS0_4arch9wavefront6targetE0EEEvT1_
    .private_segment_fixed_size: 0
    .sgpr_count:     0
    .sgpr_spill_count: 0
    .symbol:         _ZN7rocprim17ROCPRIM_400000_NS6detail17trampoline_kernelINS0_14default_configENS1_25transform_config_selectorIjLb0EEEZNS1_14transform_implILb0ES3_S5_N6thrust23THRUST_200600_302600_NS6detail15normal_iteratorINS8_10device_ptrIjEEEEPjNS0_8identityIjEEEE10hipError_tT2_T3_mT4_P12ihipStream_tbEUlT_E_NS1_11comp_targetILNS1_3genE5ELNS1_11target_archE942ELNS1_3gpuE9ELNS1_3repE0EEENS1_30default_config_static_selectorELNS0_4arch9wavefront6targetE0EEEvT1_.kd
    .uniform_work_group_size: 1
    .uses_dynamic_stack: false
    .vgpr_count:     0
    .vgpr_spill_count: 0
    .wavefront_size: 32
    .workgroup_processor_mode: 1
  - .args:
      - .offset:         0
        .size:           40
        .value_kind:     by_value
    .group_segment_fixed_size: 0
    .kernarg_segment_align: 8
    .kernarg_segment_size: 40
    .language:       OpenCL C
    .language_version:
      - 2
      - 0
    .max_flat_workgroup_size: 1024
    .name:           _ZN7rocprim17ROCPRIM_400000_NS6detail17trampoline_kernelINS0_14default_configENS1_25transform_config_selectorIjLb0EEEZNS1_14transform_implILb0ES3_S5_N6thrust23THRUST_200600_302600_NS6detail15normal_iteratorINS8_10device_ptrIjEEEEPjNS0_8identityIjEEEE10hipError_tT2_T3_mT4_P12ihipStream_tbEUlT_E_NS1_11comp_targetILNS1_3genE4ELNS1_11target_archE910ELNS1_3gpuE8ELNS1_3repE0EEENS1_30default_config_static_selectorELNS0_4arch9wavefront6targetE0EEEvT1_
    .private_segment_fixed_size: 0
    .sgpr_count:     0
    .sgpr_spill_count: 0
    .symbol:         _ZN7rocprim17ROCPRIM_400000_NS6detail17trampoline_kernelINS0_14default_configENS1_25transform_config_selectorIjLb0EEEZNS1_14transform_implILb0ES3_S5_N6thrust23THRUST_200600_302600_NS6detail15normal_iteratorINS8_10device_ptrIjEEEEPjNS0_8identityIjEEEE10hipError_tT2_T3_mT4_P12ihipStream_tbEUlT_E_NS1_11comp_targetILNS1_3genE4ELNS1_11target_archE910ELNS1_3gpuE8ELNS1_3repE0EEENS1_30default_config_static_selectorELNS0_4arch9wavefront6targetE0EEEvT1_.kd
    .uniform_work_group_size: 1
    .uses_dynamic_stack: false
    .vgpr_count:     0
    .vgpr_spill_count: 0
    .wavefront_size: 32
    .workgroup_processor_mode: 1
  - .args:
      - .offset:         0
        .size:           40
        .value_kind:     by_value
    .group_segment_fixed_size: 0
    .kernarg_segment_align: 8
    .kernarg_segment_size: 40
    .language:       OpenCL C
    .language_version:
      - 2
      - 0
    .max_flat_workgroup_size: 128
    .name:           _ZN7rocprim17ROCPRIM_400000_NS6detail17trampoline_kernelINS0_14default_configENS1_25transform_config_selectorIjLb0EEEZNS1_14transform_implILb0ES3_S5_N6thrust23THRUST_200600_302600_NS6detail15normal_iteratorINS8_10device_ptrIjEEEEPjNS0_8identityIjEEEE10hipError_tT2_T3_mT4_P12ihipStream_tbEUlT_E_NS1_11comp_targetILNS1_3genE3ELNS1_11target_archE908ELNS1_3gpuE7ELNS1_3repE0EEENS1_30default_config_static_selectorELNS0_4arch9wavefront6targetE0EEEvT1_
    .private_segment_fixed_size: 0
    .sgpr_count:     0
    .sgpr_spill_count: 0
    .symbol:         _ZN7rocprim17ROCPRIM_400000_NS6detail17trampoline_kernelINS0_14default_configENS1_25transform_config_selectorIjLb0EEEZNS1_14transform_implILb0ES3_S5_N6thrust23THRUST_200600_302600_NS6detail15normal_iteratorINS8_10device_ptrIjEEEEPjNS0_8identityIjEEEE10hipError_tT2_T3_mT4_P12ihipStream_tbEUlT_E_NS1_11comp_targetILNS1_3genE3ELNS1_11target_archE908ELNS1_3gpuE7ELNS1_3repE0EEENS1_30default_config_static_selectorELNS0_4arch9wavefront6targetE0EEEvT1_.kd
    .uniform_work_group_size: 1
    .uses_dynamic_stack: false
    .vgpr_count:     0
    .vgpr_spill_count: 0
    .wavefront_size: 32
    .workgroup_processor_mode: 1
  - .args:
      - .offset:         0
        .size:           40
        .value_kind:     by_value
    .group_segment_fixed_size: 0
    .kernarg_segment_align: 8
    .kernarg_segment_size: 40
    .language:       OpenCL C
    .language_version:
      - 2
      - 0
    .max_flat_workgroup_size: 1024
    .name:           _ZN7rocprim17ROCPRIM_400000_NS6detail17trampoline_kernelINS0_14default_configENS1_25transform_config_selectorIjLb0EEEZNS1_14transform_implILb0ES3_S5_N6thrust23THRUST_200600_302600_NS6detail15normal_iteratorINS8_10device_ptrIjEEEEPjNS0_8identityIjEEEE10hipError_tT2_T3_mT4_P12ihipStream_tbEUlT_E_NS1_11comp_targetILNS1_3genE2ELNS1_11target_archE906ELNS1_3gpuE6ELNS1_3repE0EEENS1_30default_config_static_selectorELNS0_4arch9wavefront6targetE0EEEvT1_
    .private_segment_fixed_size: 0
    .sgpr_count:     0
    .sgpr_spill_count: 0
    .symbol:         _ZN7rocprim17ROCPRIM_400000_NS6detail17trampoline_kernelINS0_14default_configENS1_25transform_config_selectorIjLb0EEEZNS1_14transform_implILb0ES3_S5_N6thrust23THRUST_200600_302600_NS6detail15normal_iteratorINS8_10device_ptrIjEEEEPjNS0_8identityIjEEEE10hipError_tT2_T3_mT4_P12ihipStream_tbEUlT_E_NS1_11comp_targetILNS1_3genE2ELNS1_11target_archE906ELNS1_3gpuE6ELNS1_3repE0EEENS1_30default_config_static_selectorELNS0_4arch9wavefront6targetE0EEEvT1_.kd
    .uniform_work_group_size: 1
    .uses_dynamic_stack: false
    .vgpr_count:     0
    .vgpr_spill_count: 0
    .wavefront_size: 32
    .workgroup_processor_mode: 1
  - .args:
      - .offset:         0
        .size:           40
        .value_kind:     by_value
      - .offset:         40
        .size:           4
        .value_kind:     hidden_block_count_x
      - .offset:         44
        .size:           4
        .value_kind:     hidden_block_count_y
      - .offset:         48
        .size:           4
        .value_kind:     hidden_block_count_z
      - .offset:         52
        .size:           2
        .value_kind:     hidden_group_size_x
      - .offset:         54
        .size:           2
        .value_kind:     hidden_group_size_y
      - .offset:         56
        .size:           2
        .value_kind:     hidden_group_size_z
      - .offset:         58
        .size:           2
        .value_kind:     hidden_remainder_x
      - .offset:         60
        .size:           2
        .value_kind:     hidden_remainder_y
      - .offset:         62
        .size:           2
        .value_kind:     hidden_remainder_z
      - .offset:         80
        .size:           8
        .value_kind:     hidden_global_offset_x
      - .offset:         88
        .size:           8
        .value_kind:     hidden_global_offset_y
      - .offset:         96
        .size:           8
        .value_kind:     hidden_global_offset_z
      - .offset:         104
        .size:           2
        .value_kind:     hidden_grid_dims
    .group_segment_fixed_size: 0
    .kernarg_segment_align: 8
    .kernarg_segment_size: 296
    .language:       OpenCL C
    .language_version:
      - 2
      - 0
    .max_flat_workgroup_size: 1024
    .name:           _ZN7rocprim17ROCPRIM_400000_NS6detail17trampoline_kernelINS0_14default_configENS1_25transform_config_selectorIjLb0EEEZNS1_14transform_implILb0ES3_S5_N6thrust23THRUST_200600_302600_NS6detail15normal_iteratorINS8_10device_ptrIjEEEEPjNS0_8identityIjEEEE10hipError_tT2_T3_mT4_P12ihipStream_tbEUlT_E_NS1_11comp_targetILNS1_3genE10ELNS1_11target_archE1201ELNS1_3gpuE5ELNS1_3repE0EEENS1_30default_config_static_selectorELNS0_4arch9wavefront6targetE0EEEvT1_
    .private_segment_fixed_size: 0
    .sgpr_count:     18
    .sgpr_spill_count: 0
    .symbol:         _ZN7rocprim17ROCPRIM_400000_NS6detail17trampoline_kernelINS0_14default_configENS1_25transform_config_selectorIjLb0EEEZNS1_14transform_implILb0ES3_S5_N6thrust23THRUST_200600_302600_NS6detail15normal_iteratorINS8_10device_ptrIjEEEEPjNS0_8identityIjEEEE10hipError_tT2_T3_mT4_P12ihipStream_tbEUlT_E_NS1_11comp_targetILNS1_3genE10ELNS1_11target_archE1201ELNS1_3gpuE5ELNS1_3repE0EEENS1_30default_config_static_selectorELNS0_4arch9wavefront6targetE0EEEvT1_.kd
    .uniform_work_group_size: 1
    .uses_dynamic_stack: false
    .vgpr_count:     9
    .vgpr_spill_count: 0
    .wavefront_size: 32
    .workgroup_processor_mode: 1
  - .args:
      - .offset:         0
        .size:           40
        .value_kind:     by_value
    .group_segment_fixed_size: 0
    .kernarg_segment_align: 8
    .kernarg_segment_size: 40
    .language:       OpenCL C
    .language_version:
      - 2
      - 0
    .max_flat_workgroup_size: 512
    .name:           _ZN7rocprim17ROCPRIM_400000_NS6detail17trampoline_kernelINS0_14default_configENS1_25transform_config_selectorIjLb0EEEZNS1_14transform_implILb0ES3_S5_N6thrust23THRUST_200600_302600_NS6detail15normal_iteratorINS8_10device_ptrIjEEEEPjNS0_8identityIjEEEE10hipError_tT2_T3_mT4_P12ihipStream_tbEUlT_E_NS1_11comp_targetILNS1_3genE10ELNS1_11target_archE1200ELNS1_3gpuE4ELNS1_3repE0EEENS1_30default_config_static_selectorELNS0_4arch9wavefront6targetE0EEEvT1_
    .private_segment_fixed_size: 0
    .sgpr_count:     0
    .sgpr_spill_count: 0
    .symbol:         _ZN7rocprim17ROCPRIM_400000_NS6detail17trampoline_kernelINS0_14default_configENS1_25transform_config_selectorIjLb0EEEZNS1_14transform_implILb0ES3_S5_N6thrust23THRUST_200600_302600_NS6detail15normal_iteratorINS8_10device_ptrIjEEEEPjNS0_8identityIjEEEE10hipError_tT2_T3_mT4_P12ihipStream_tbEUlT_E_NS1_11comp_targetILNS1_3genE10ELNS1_11target_archE1200ELNS1_3gpuE4ELNS1_3repE0EEENS1_30default_config_static_selectorELNS0_4arch9wavefront6targetE0EEEvT1_.kd
    .uniform_work_group_size: 1
    .uses_dynamic_stack: false
    .vgpr_count:     0
    .vgpr_spill_count: 0
    .wavefront_size: 32
    .workgroup_processor_mode: 1
  - .args:
      - .offset:         0
        .size:           40
        .value_kind:     by_value
    .group_segment_fixed_size: 0
    .kernarg_segment_align: 8
    .kernarg_segment_size: 40
    .language:       OpenCL C
    .language_version:
      - 2
      - 0
    .max_flat_workgroup_size: 64
    .name:           _ZN7rocprim17ROCPRIM_400000_NS6detail17trampoline_kernelINS0_14default_configENS1_25transform_config_selectorIjLb0EEEZNS1_14transform_implILb0ES3_S5_N6thrust23THRUST_200600_302600_NS6detail15normal_iteratorINS8_10device_ptrIjEEEEPjNS0_8identityIjEEEE10hipError_tT2_T3_mT4_P12ihipStream_tbEUlT_E_NS1_11comp_targetILNS1_3genE9ELNS1_11target_archE1100ELNS1_3gpuE3ELNS1_3repE0EEENS1_30default_config_static_selectorELNS0_4arch9wavefront6targetE0EEEvT1_
    .private_segment_fixed_size: 0
    .sgpr_count:     0
    .sgpr_spill_count: 0
    .symbol:         _ZN7rocprim17ROCPRIM_400000_NS6detail17trampoline_kernelINS0_14default_configENS1_25transform_config_selectorIjLb0EEEZNS1_14transform_implILb0ES3_S5_N6thrust23THRUST_200600_302600_NS6detail15normal_iteratorINS8_10device_ptrIjEEEEPjNS0_8identityIjEEEE10hipError_tT2_T3_mT4_P12ihipStream_tbEUlT_E_NS1_11comp_targetILNS1_3genE9ELNS1_11target_archE1100ELNS1_3gpuE3ELNS1_3repE0EEENS1_30default_config_static_selectorELNS0_4arch9wavefront6targetE0EEEvT1_.kd
    .uniform_work_group_size: 1
    .uses_dynamic_stack: false
    .vgpr_count:     0
    .vgpr_spill_count: 0
    .wavefront_size: 32
    .workgroup_processor_mode: 1
  - .args:
      - .offset:         0
        .size:           40
        .value_kind:     by_value
    .group_segment_fixed_size: 0
    .kernarg_segment_align: 8
    .kernarg_segment_size: 40
    .language:       OpenCL C
    .language_version:
      - 2
      - 0
    .max_flat_workgroup_size: 256
    .name:           _ZN7rocprim17ROCPRIM_400000_NS6detail17trampoline_kernelINS0_14default_configENS1_25transform_config_selectorIjLb0EEEZNS1_14transform_implILb0ES3_S5_N6thrust23THRUST_200600_302600_NS6detail15normal_iteratorINS8_10device_ptrIjEEEEPjNS0_8identityIjEEEE10hipError_tT2_T3_mT4_P12ihipStream_tbEUlT_E_NS1_11comp_targetILNS1_3genE8ELNS1_11target_archE1030ELNS1_3gpuE2ELNS1_3repE0EEENS1_30default_config_static_selectorELNS0_4arch9wavefront6targetE0EEEvT1_
    .private_segment_fixed_size: 0
    .sgpr_count:     0
    .sgpr_spill_count: 0
    .symbol:         _ZN7rocprim17ROCPRIM_400000_NS6detail17trampoline_kernelINS0_14default_configENS1_25transform_config_selectorIjLb0EEEZNS1_14transform_implILb0ES3_S5_N6thrust23THRUST_200600_302600_NS6detail15normal_iteratorINS8_10device_ptrIjEEEEPjNS0_8identityIjEEEE10hipError_tT2_T3_mT4_P12ihipStream_tbEUlT_E_NS1_11comp_targetILNS1_3genE8ELNS1_11target_archE1030ELNS1_3gpuE2ELNS1_3repE0EEENS1_30default_config_static_selectorELNS0_4arch9wavefront6targetE0EEEvT1_.kd
    .uniform_work_group_size: 1
    .uses_dynamic_stack: false
    .vgpr_count:     0
    .vgpr_spill_count: 0
    .wavefront_size: 32
    .workgroup_processor_mode: 1
  - .args:
      - .offset:         0
        .size:           40
        .value_kind:     by_value
    .group_segment_fixed_size: 0
    .kernarg_segment_align: 8
    .kernarg_segment_size: 40
    .language:       OpenCL C
    .language_version:
      - 2
      - 0
    .max_flat_workgroup_size: 128
    .name:           _ZN7rocprim17ROCPRIM_400000_NS6detail17trampoline_kernelINS0_14default_configENS1_25transform_config_selectorIN6thrust23THRUST_200600_302600_NS5tupleIffNS6_9null_typeES8_S8_S8_S8_S8_S8_S8_EELb0EEEZNS1_14transform_implILb0ES3_SA_NS6_6detail15normal_iteratorINS6_10device_ptrIS9_EEEEPS9_NS0_8identityIS9_EEEE10hipError_tT2_T3_mT4_P12ihipStream_tbEUlT_E_NS1_11comp_targetILNS1_3genE0ELNS1_11target_archE4294967295ELNS1_3gpuE0ELNS1_3repE0EEENS1_30default_config_static_selectorELNS0_4arch9wavefront6targetE0EEEvT1_
    .private_segment_fixed_size: 0
    .sgpr_count:     0
    .sgpr_spill_count: 0
    .symbol:         _ZN7rocprim17ROCPRIM_400000_NS6detail17trampoline_kernelINS0_14default_configENS1_25transform_config_selectorIN6thrust23THRUST_200600_302600_NS5tupleIffNS6_9null_typeES8_S8_S8_S8_S8_S8_S8_EELb0EEEZNS1_14transform_implILb0ES3_SA_NS6_6detail15normal_iteratorINS6_10device_ptrIS9_EEEEPS9_NS0_8identityIS9_EEEE10hipError_tT2_T3_mT4_P12ihipStream_tbEUlT_E_NS1_11comp_targetILNS1_3genE0ELNS1_11target_archE4294967295ELNS1_3gpuE0ELNS1_3repE0EEENS1_30default_config_static_selectorELNS0_4arch9wavefront6targetE0EEEvT1_.kd
    .uniform_work_group_size: 1
    .uses_dynamic_stack: false
    .vgpr_count:     0
    .vgpr_spill_count: 0
    .wavefront_size: 32
    .workgroup_processor_mode: 1
  - .args:
      - .offset:         0
        .size:           40
        .value_kind:     by_value
    .group_segment_fixed_size: 0
    .kernarg_segment_align: 8
    .kernarg_segment_size: 40
    .language:       OpenCL C
    .language_version:
      - 2
      - 0
    .max_flat_workgroup_size: 512
    .name:           _ZN7rocprim17ROCPRIM_400000_NS6detail17trampoline_kernelINS0_14default_configENS1_25transform_config_selectorIN6thrust23THRUST_200600_302600_NS5tupleIffNS6_9null_typeES8_S8_S8_S8_S8_S8_S8_EELb0EEEZNS1_14transform_implILb0ES3_SA_NS6_6detail15normal_iteratorINS6_10device_ptrIS9_EEEEPS9_NS0_8identityIS9_EEEE10hipError_tT2_T3_mT4_P12ihipStream_tbEUlT_E_NS1_11comp_targetILNS1_3genE5ELNS1_11target_archE942ELNS1_3gpuE9ELNS1_3repE0EEENS1_30default_config_static_selectorELNS0_4arch9wavefront6targetE0EEEvT1_
    .private_segment_fixed_size: 0
    .sgpr_count:     0
    .sgpr_spill_count: 0
    .symbol:         _ZN7rocprim17ROCPRIM_400000_NS6detail17trampoline_kernelINS0_14default_configENS1_25transform_config_selectorIN6thrust23THRUST_200600_302600_NS5tupleIffNS6_9null_typeES8_S8_S8_S8_S8_S8_S8_EELb0EEEZNS1_14transform_implILb0ES3_SA_NS6_6detail15normal_iteratorINS6_10device_ptrIS9_EEEEPS9_NS0_8identityIS9_EEEE10hipError_tT2_T3_mT4_P12ihipStream_tbEUlT_E_NS1_11comp_targetILNS1_3genE5ELNS1_11target_archE942ELNS1_3gpuE9ELNS1_3repE0EEENS1_30default_config_static_selectorELNS0_4arch9wavefront6targetE0EEEvT1_.kd
    .uniform_work_group_size: 1
    .uses_dynamic_stack: false
    .vgpr_count:     0
    .vgpr_spill_count: 0
    .wavefront_size: 32
    .workgroup_processor_mode: 1
  - .args:
      - .offset:         0
        .size:           40
        .value_kind:     by_value
    .group_segment_fixed_size: 0
    .kernarg_segment_align: 8
    .kernarg_segment_size: 40
    .language:       OpenCL C
    .language_version:
      - 2
      - 0
    .max_flat_workgroup_size: 256
    .name:           _ZN7rocprim17ROCPRIM_400000_NS6detail17trampoline_kernelINS0_14default_configENS1_25transform_config_selectorIN6thrust23THRUST_200600_302600_NS5tupleIffNS6_9null_typeES8_S8_S8_S8_S8_S8_S8_EELb0EEEZNS1_14transform_implILb0ES3_SA_NS6_6detail15normal_iteratorINS6_10device_ptrIS9_EEEEPS9_NS0_8identityIS9_EEEE10hipError_tT2_T3_mT4_P12ihipStream_tbEUlT_E_NS1_11comp_targetILNS1_3genE4ELNS1_11target_archE910ELNS1_3gpuE8ELNS1_3repE0EEENS1_30default_config_static_selectorELNS0_4arch9wavefront6targetE0EEEvT1_
    .private_segment_fixed_size: 0
    .sgpr_count:     0
    .sgpr_spill_count: 0
    .symbol:         _ZN7rocprim17ROCPRIM_400000_NS6detail17trampoline_kernelINS0_14default_configENS1_25transform_config_selectorIN6thrust23THRUST_200600_302600_NS5tupleIffNS6_9null_typeES8_S8_S8_S8_S8_S8_S8_EELb0EEEZNS1_14transform_implILb0ES3_SA_NS6_6detail15normal_iteratorINS6_10device_ptrIS9_EEEEPS9_NS0_8identityIS9_EEEE10hipError_tT2_T3_mT4_P12ihipStream_tbEUlT_E_NS1_11comp_targetILNS1_3genE4ELNS1_11target_archE910ELNS1_3gpuE8ELNS1_3repE0EEENS1_30default_config_static_selectorELNS0_4arch9wavefront6targetE0EEEvT1_.kd
    .uniform_work_group_size: 1
    .uses_dynamic_stack: false
    .vgpr_count:     0
    .vgpr_spill_count: 0
    .wavefront_size: 32
    .workgroup_processor_mode: 1
  - .args:
      - .offset:         0
        .size:           40
        .value_kind:     by_value
    .group_segment_fixed_size: 0
    .kernarg_segment_align: 8
    .kernarg_segment_size: 40
    .language:       OpenCL C
    .language_version:
      - 2
      - 0
    .max_flat_workgroup_size: 128
    .name:           _ZN7rocprim17ROCPRIM_400000_NS6detail17trampoline_kernelINS0_14default_configENS1_25transform_config_selectorIN6thrust23THRUST_200600_302600_NS5tupleIffNS6_9null_typeES8_S8_S8_S8_S8_S8_S8_EELb0EEEZNS1_14transform_implILb0ES3_SA_NS6_6detail15normal_iteratorINS6_10device_ptrIS9_EEEEPS9_NS0_8identityIS9_EEEE10hipError_tT2_T3_mT4_P12ihipStream_tbEUlT_E_NS1_11comp_targetILNS1_3genE3ELNS1_11target_archE908ELNS1_3gpuE7ELNS1_3repE0EEENS1_30default_config_static_selectorELNS0_4arch9wavefront6targetE0EEEvT1_
    .private_segment_fixed_size: 0
    .sgpr_count:     0
    .sgpr_spill_count: 0
    .symbol:         _ZN7rocprim17ROCPRIM_400000_NS6detail17trampoline_kernelINS0_14default_configENS1_25transform_config_selectorIN6thrust23THRUST_200600_302600_NS5tupleIffNS6_9null_typeES8_S8_S8_S8_S8_S8_S8_EELb0EEEZNS1_14transform_implILb0ES3_SA_NS6_6detail15normal_iteratorINS6_10device_ptrIS9_EEEEPS9_NS0_8identityIS9_EEEE10hipError_tT2_T3_mT4_P12ihipStream_tbEUlT_E_NS1_11comp_targetILNS1_3genE3ELNS1_11target_archE908ELNS1_3gpuE7ELNS1_3repE0EEENS1_30default_config_static_selectorELNS0_4arch9wavefront6targetE0EEEvT1_.kd
    .uniform_work_group_size: 1
    .uses_dynamic_stack: false
    .vgpr_count:     0
    .vgpr_spill_count: 0
    .wavefront_size: 32
    .workgroup_processor_mode: 1
  - .args:
      - .offset:         0
        .size:           40
        .value_kind:     by_value
    .group_segment_fixed_size: 0
    .kernarg_segment_align: 8
    .kernarg_segment_size: 40
    .language:       OpenCL C
    .language_version:
      - 2
      - 0
    .max_flat_workgroup_size: 512
    .name:           _ZN7rocprim17ROCPRIM_400000_NS6detail17trampoline_kernelINS0_14default_configENS1_25transform_config_selectorIN6thrust23THRUST_200600_302600_NS5tupleIffNS6_9null_typeES8_S8_S8_S8_S8_S8_S8_EELb0EEEZNS1_14transform_implILb0ES3_SA_NS6_6detail15normal_iteratorINS6_10device_ptrIS9_EEEEPS9_NS0_8identityIS9_EEEE10hipError_tT2_T3_mT4_P12ihipStream_tbEUlT_E_NS1_11comp_targetILNS1_3genE2ELNS1_11target_archE906ELNS1_3gpuE6ELNS1_3repE0EEENS1_30default_config_static_selectorELNS0_4arch9wavefront6targetE0EEEvT1_
    .private_segment_fixed_size: 0
    .sgpr_count:     0
    .sgpr_spill_count: 0
    .symbol:         _ZN7rocprim17ROCPRIM_400000_NS6detail17trampoline_kernelINS0_14default_configENS1_25transform_config_selectorIN6thrust23THRUST_200600_302600_NS5tupleIffNS6_9null_typeES8_S8_S8_S8_S8_S8_S8_EELb0EEEZNS1_14transform_implILb0ES3_SA_NS6_6detail15normal_iteratorINS6_10device_ptrIS9_EEEEPS9_NS0_8identityIS9_EEEE10hipError_tT2_T3_mT4_P12ihipStream_tbEUlT_E_NS1_11comp_targetILNS1_3genE2ELNS1_11target_archE906ELNS1_3gpuE6ELNS1_3repE0EEENS1_30default_config_static_selectorELNS0_4arch9wavefront6targetE0EEEvT1_.kd
    .uniform_work_group_size: 1
    .uses_dynamic_stack: false
    .vgpr_count:     0
    .vgpr_spill_count: 0
    .wavefront_size: 32
    .workgroup_processor_mode: 1
  - .args:
      - .offset:         0
        .size:           40
        .value_kind:     by_value
      - .offset:         40
        .size:           4
        .value_kind:     hidden_block_count_x
      - .offset:         44
        .size:           4
        .value_kind:     hidden_block_count_y
      - .offset:         48
        .size:           4
        .value_kind:     hidden_block_count_z
      - .offset:         52
        .size:           2
        .value_kind:     hidden_group_size_x
      - .offset:         54
        .size:           2
        .value_kind:     hidden_group_size_y
      - .offset:         56
        .size:           2
        .value_kind:     hidden_group_size_z
      - .offset:         58
        .size:           2
        .value_kind:     hidden_remainder_x
      - .offset:         60
        .size:           2
        .value_kind:     hidden_remainder_y
      - .offset:         62
        .size:           2
        .value_kind:     hidden_remainder_z
      - .offset:         80
        .size:           8
        .value_kind:     hidden_global_offset_x
      - .offset:         88
        .size:           8
        .value_kind:     hidden_global_offset_y
      - .offset:         96
        .size:           8
        .value_kind:     hidden_global_offset_z
      - .offset:         104
        .size:           2
        .value_kind:     hidden_grid_dims
    .group_segment_fixed_size: 0
    .kernarg_segment_align: 8
    .kernarg_segment_size: 296
    .language:       OpenCL C
    .language_version:
      - 2
      - 0
    .max_flat_workgroup_size: 1024
    .name:           _ZN7rocprim17ROCPRIM_400000_NS6detail17trampoline_kernelINS0_14default_configENS1_25transform_config_selectorIN6thrust23THRUST_200600_302600_NS5tupleIffNS6_9null_typeES8_S8_S8_S8_S8_S8_S8_EELb0EEEZNS1_14transform_implILb0ES3_SA_NS6_6detail15normal_iteratorINS6_10device_ptrIS9_EEEEPS9_NS0_8identityIS9_EEEE10hipError_tT2_T3_mT4_P12ihipStream_tbEUlT_E_NS1_11comp_targetILNS1_3genE10ELNS1_11target_archE1201ELNS1_3gpuE5ELNS1_3repE0EEENS1_30default_config_static_selectorELNS0_4arch9wavefront6targetE0EEEvT1_
    .private_segment_fixed_size: 0
    .sgpr_count:     15
    .sgpr_spill_count: 0
    .symbol:         _ZN7rocprim17ROCPRIM_400000_NS6detail17trampoline_kernelINS0_14default_configENS1_25transform_config_selectorIN6thrust23THRUST_200600_302600_NS5tupleIffNS6_9null_typeES8_S8_S8_S8_S8_S8_S8_EELb0EEEZNS1_14transform_implILb0ES3_SA_NS6_6detail15normal_iteratorINS6_10device_ptrIS9_EEEEPS9_NS0_8identityIS9_EEEE10hipError_tT2_T3_mT4_P12ihipStream_tbEUlT_E_NS1_11comp_targetILNS1_3genE10ELNS1_11target_archE1201ELNS1_3gpuE5ELNS1_3repE0EEENS1_30default_config_static_selectorELNS0_4arch9wavefront6targetE0EEEvT1_.kd
    .uniform_work_group_size: 1
    .uses_dynamic_stack: false
    .vgpr_count:     7
    .vgpr_spill_count: 0
    .wavefront_size: 32
    .workgroup_processor_mode: 1
  - .args:
      - .offset:         0
        .size:           40
        .value_kind:     by_value
    .group_segment_fixed_size: 0
    .kernarg_segment_align: 8
    .kernarg_segment_size: 40
    .language:       OpenCL C
    .language_version:
      - 2
      - 0
    .max_flat_workgroup_size: 512
    .name:           _ZN7rocprim17ROCPRIM_400000_NS6detail17trampoline_kernelINS0_14default_configENS1_25transform_config_selectorIN6thrust23THRUST_200600_302600_NS5tupleIffNS6_9null_typeES8_S8_S8_S8_S8_S8_S8_EELb0EEEZNS1_14transform_implILb0ES3_SA_NS6_6detail15normal_iteratorINS6_10device_ptrIS9_EEEEPS9_NS0_8identityIS9_EEEE10hipError_tT2_T3_mT4_P12ihipStream_tbEUlT_E_NS1_11comp_targetILNS1_3genE10ELNS1_11target_archE1200ELNS1_3gpuE4ELNS1_3repE0EEENS1_30default_config_static_selectorELNS0_4arch9wavefront6targetE0EEEvT1_
    .private_segment_fixed_size: 0
    .sgpr_count:     0
    .sgpr_spill_count: 0
    .symbol:         _ZN7rocprim17ROCPRIM_400000_NS6detail17trampoline_kernelINS0_14default_configENS1_25transform_config_selectorIN6thrust23THRUST_200600_302600_NS5tupleIffNS6_9null_typeES8_S8_S8_S8_S8_S8_S8_EELb0EEEZNS1_14transform_implILb0ES3_SA_NS6_6detail15normal_iteratorINS6_10device_ptrIS9_EEEEPS9_NS0_8identityIS9_EEEE10hipError_tT2_T3_mT4_P12ihipStream_tbEUlT_E_NS1_11comp_targetILNS1_3genE10ELNS1_11target_archE1200ELNS1_3gpuE4ELNS1_3repE0EEENS1_30default_config_static_selectorELNS0_4arch9wavefront6targetE0EEEvT1_.kd
    .uniform_work_group_size: 1
    .uses_dynamic_stack: false
    .vgpr_count:     0
    .vgpr_spill_count: 0
    .wavefront_size: 32
    .workgroup_processor_mode: 1
  - .args:
      - .offset:         0
        .size:           40
        .value_kind:     by_value
    .group_segment_fixed_size: 0
    .kernarg_segment_align: 8
    .kernarg_segment_size: 40
    .language:       OpenCL C
    .language_version:
      - 2
      - 0
    .max_flat_workgroup_size: 512
    .name:           _ZN7rocprim17ROCPRIM_400000_NS6detail17trampoline_kernelINS0_14default_configENS1_25transform_config_selectorIN6thrust23THRUST_200600_302600_NS5tupleIffNS6_9null_typeES8_S8_S8_S8_S8_S8_S8_EELb0EEEZNS1_14transform_implILb0ES3_SA_NS6_6detail15normal_iteratorINS6_10device_ptrIS9_EEEEPS9_NS0_8identityIS9_EEEE10hipError_tT2_T3_mT4_P12ihipStream_tbEUlT_E_NS1_11comp_targetILNS1_3genE9ELNS1_11target_archE1100ELNS1_3gpuE3ELNS1_3repE0EEENS1_30default_config_static_selectorELNS0_4arch9wavefront6targetE0EEEvT1_
    .private_segment_fixed_size: 0
    .sgpr_count:     0
    .sgpr_spill_count: 0
    .symbol:         _ZN7rocprim17ROCPRIM_400000_NS6detail17trampoline_kernelINS0_14default_configENS1_25transform_config_selectorIN6thrust23THRUST_200600_302600_NS5tupleIffNS6_9null_typeES8_S8_S8_S8_S8_S8_S8_EELb0EEEZNS1_14transform_implILb0ES3_SA_NS6_6detail15normal_iteratorINS6_10device_ptrIS9_EEEEPS9_NS0_8identityIS9_EEEE10hipError_tT2_T3_mT4_P12ihipStream_tbEUlT_E_NS1_11comp_targetILNS1_3genE9ELNS1_11target_archE1100ELNS1_3gpuE3ELNS1_3repE0EEENS1_30default_config_static_selectorELNS0_4arch9wavefront6targetE0EEEvT1_.kd
    .uniform_work_group_size: 1
    .uses_dynamic_stack: false
    .vgpr_count:     0
    .vgpr_spill_count: 0
    .wavefront_size: 32
    .workgroup_processor_mode: 1
  - .args:
      - .offset:         0
        .size:           40
        .value_kind:     by_value
    .group_segment_fixed_size: 0
    .kernarg_segment_align: 8
    .kernarg_segment_size: 40
    .language:       OpenCL C
    .language_version:
      - 2
      - 0
    .max_flat_workgroup_size: 512
    .name:           _ZN7rocprim17ROCPRIM_400000_NS6detail17trampoline_kernelINS0_14default_configENS1_25transform_config_selectorIN6thrust23THRUST_200600_302600_NS5tupleIffNS6_9null_typeES8_S8_S8_S8_S8_S8_S8_EELb0EEEZNS1_14transform_implILb0ES3_SA_NS6_6detail15normal_iteratorINS6_10device_ptrIS9_EEEEPS9_NS0_8identityIS9_EEEE10hipError_tT2_T3_mT4_P12ihipStream_tbEUlT_E_NS1_11comp_targetILNS1_3genE8ELNS1_11target_archE1030ELNS1_3gpuE2ELNS1_3repE0EEENS1_30default_config_static_selectorELNS0_4arch9wavefront6targetE0EEEvT1_
    .private_segment_fixed_size: 0
    .sgpr_count:     0
    .sgpr_spill_count: 0
    .symbol:         _ZN7rocprim17ROCPRIM_400000_NS6detail17trampoline_kernelINS0_14default_configENS1_25transform_config_selectorIN6thrust23THRUST_200600_302600_NS5tupleIffNS6_9null_typeES8_S8_S8_S8_S8_S8_S8_EELb0EEEZNS1_14transform_implILb0ES3_SA_NS6_6detail15normal_iteratorINS6_10device_ptrIS9_EEEEPS9_NS0_8identityIS9_EEEE10hipError_tT2_T3_mT4_P12ihipStream_tbEUlT_E_NS1_11comp_targetILNS1_3genE8ELNS1_11target_archE1030ELNS1_3gpuE2ELNS1_3repE0EEENS1_30default_config_static_selectorELNS0_4arch9wavefront6targetE0EEEvT1_.kd
    .uniform_work_group_size: 1
    .uses_dynamic_stack: false
    .vgpr_count:     0
    .vgpr_spill_count: 0
    .wavefront_size: 32
    .workgroup_processor_mode: 1
  - .args:
      - .offset:         0
        .size:           88
        .value_kind:     by_value
    .group_segment_fixed_size: 0
    .kernarg_segment_align: 8
    .kernarg_segment_size: 88
    .language:       OpenCL C
    .language_version:
      - 2
      - 0
    .max_flat_workgroup_size: 512
    .name:           _ZN7rocprim17ROCPRIM_400000_NS6detail17trampoline_kernelINS0_14default_configENS1_35radix_sort_onesweep_config_selectorIjN6thrust23THRUST_200600_302600_NS5tupleIffNS6_9null_typeES8_S8_S8_S8_S8_S8_S8_EEEEZZNS1_29radix_sort_onesweep_iterationIS3_Lb0ENS6_6detail15normal_iteratorINS6_10device_ptrIjEEEESG_NSD_INSE_IS9_EEEESI_jNS0_19identity_decomposerENS1_16block_id_wrapperIjLb1EEEEE10hipError_tT1_PNSt15iterator_traitsISN_E10value_typeET2_T3_PNSO_IST_E10value_typeET4_T5_PSY_SZ_PNS1_23onesweep_lookback_stateEbbT6_jjT7_P12ihipStream_tbENKUlT_T0_SN_SS_E_clISG_SG_SI_SI_EEDaS16_S17_SN_SS_EUlS16_E_NS1_11comp_targetILNS1_3genE0ELNS1_11target_archE4294967295ELNS1_3gpuE0ELNS1_3repE0EEENS1_47radix_sort_onesweep_sort_config_static_selectorELNS0_4arch9wavefront6targetE0EEEvSN_
    .private_segment_fixed_size: 0
    .sgpr_count:     0
    .sgpr_spill_count: 0
    .symbol:         _ZN7rocprim17ROCPRIM_400000_NS6detail17trampoline_kernelINS0_14default_configENS1_35radix_sort_onesweep_config_selectorIjN6thrust23THRUST_200600_302600_NS5tupleIffNS6_9null_typeES8_S8_S8_S8_S8_S8_S8_EEEEZZNS1_29radix_sort_onesweep_iterationIS3_Lb0ENS6_6detail15normal_iteratorINS6_10device_ptrIjEEEESG_NSD_INSE_IS9_EEEESI_jNS0_19identity_decomposerENS1_16block_id_wrapperIjLb1EEEEE10hipError_tT1_PNSt15iterator_traitsISN_E10value_typeET2_T3_PNSO_IST_E10value_typeET4_T5_PSY_SZ_PNS1_23onesweep_lookback_stateEbbT6_jjT7_P12ihipStream_tbENKUlT_T0_SN_SS_E_clISG_SG_SI_SI_EEDaS16_S17_SN_SS_EUlS16_E_NS1_11comp_targetILNS1_3genE0ELNS1_11target_archE4294967295ELNS1_3gpuE0ELNS1_3repE0EEENS1_47radix_sort_onesweep_sort_config_static_selectorELNS0_4arch9wavefront6targetE0EEEvSN_.kd
    .uniform_work_group_size: 1
    .uses_dynamic_stack: false
    .vgpr_count:     0
    .vgpr_spill_count: 0
    .wavefront_size: 32
    .workgroup_processor_mode: 1
  - .args:
      - .offset:         0
        .size:           88
        .value_kind:     by_value
    .group_segment_fixed_size: 0
    .kernarg_segment_align: 8
    .kernarg_segment_size: 88
    .language:       OpenCL C
    .language_version:
      - 2
      - 0
    .max_flat_workgroup_size: 1024
    .name:           _ZN7rocprim17ROCPRIM_400000_NS6detail17trampoline_kernelINS0_14default_configENS1_35radix_sort_onesweep_config_selectorIjN6thrust23THRUST_200600_302600_NS5tupleIffNS6_9null_typeES8_S8_S8_S8_S8_S8_S8_EEEEZZNS1_29radix_sort_onesweep_iterationIS3_Lb0ENS6_6detail15normal_iteratorINS6_10device_ptrIjEEEESG_NSD_INSE_IS9_EEEESI_jNS0_19identity_decomposerENS1_16block_id_wrapperIjLb1EEEEE10hipError_tT1_PNSt15iterator_traitsISN_E10value_typeET2_T3_PNSO_IST_E10value_typeET4_T5_PSY_SZ_PNS1_23onesweep_lookback_stateEbbT6_jjT7_P12ihipStream_tbENKUlT_T0_SN_SS_E_clISG_SG_SI_SI_EEDaS16_S17_SN_SS_EUlS16_E_NS1_11comp_targetILNS1_3genE6ELNS1_11target_archE950ELNS1_3gpuE13ELNS1_3repE0EEENS1_47radix_sort_onesweep_sort_config_static_selectorELNS0_4arch9wavefront6targetE0EEEvSN_
    .private_segment_fixed_size: 0
    .sgpr_count:     0
    .sgpr_spill_count: 0
    .symbol:         _ZN7rocprim17ROCPRIM_400000_NS6detail17trampoline_kernelINS0_14default_configENS1_35radix_sort_onesweep_config_selectorIjN6thrust23THRUST_200600_302600_NS5tupleIffNS6_9null_typeES8_S8_S8_S8_S8_S8_S8_EEEEZZNS1_29radix_sort_onesweep_iterationIS3_Lb0ENS6_6detail15normal_iteratorINS6_10device_ptrIjEEEESG_NSD_INSE_IS9_EEEESI_jNS0_19identity_decomposerENS1_16block_id_wrapperIjLb1EEEEE10hipError_tT1_PNSt15iterator_traitsISN_E10value_typeET2_T3_PNSO_IST_E10value_typeET4_T5_PSY_SZ_PNS1_23onesweep_lookback_stateEbbT6_jjT7_P12ihipStream_tbENKUlT_T0_SN_SS_E_clISG_SG_SI_SI_EEDaS16_S17_SN_SS_EUlS16_E_NS1_11comp_targetILNS1_3genE6ELNS1_11target_archE950ELNS1_3gpuE13ELNS1_3repE0EEENS1_47radix_sort_onesweep_sort_config_static_selectorELNS0_4arch9wavefront6targetE0EEEvSN_.kd
    .uniform_work_group_size: 1
    .uses_dynamic_stack: false
    .vgpr_count:     0
    .vgpr_spill_count: 0
    .wavefront_size: 32
    .workgroup_processor_mode: 1
  - .args:
      - .offset:         0
        .size:           88
        .value_kind:     by_value
    .group_segment_fixed_size: 0
    .kernarg_segment_align: 8
    .kernarg_segment_size: 88
    .language:       OpenCL C
    .language_version:
      - 2
      - 0
    .max_flat_workgroup_size: 1024
    .name:           _ZN7rocprim17ROCPRIM_400000_NS6detail17trampoline_kernelINS0_14default_configENS1_35radix_sort_onesweep_config_selectorIjN6thrust23THRUST_200600_302600_NS5tupleIffNS6_9null_typeES8_S8_S8_S8_S8_S8_S8_EEEEZZNS1_29radix_sort_onesweep_iterationIS3_Lb0ENS6_6detail15normal_iteratorINS6_10device_ptrIjEEEESG_NSD_INSE_IS9_EEEESI_jNS0_19identity_decomposerENS1_16block_id_wrapperIjLb1EEEEE10hipError_tT1_PNSt15iterator_traitsISN_E10value_typeET2_T3_PNSO_IST_E10value_typeET4_T5_PSY_SZ_PNS1_23onesweep_lookback_stateEbbT6_jjT7_P12ihipStream_tbENKUlT_T0_SN_SS_E_clISG_SG_SI_SI_EEDaS16_S17_SN_SS_EUlS16_E_NS1_11comp_targetILNS1_3genE5ELNS1_11target_archE942ELNS1_3gpuE9ELNS1_3repE0EEENS1_47radix_sort_onesweep_sort_config_static_selectorELNS0_4arch9wavefront6targetE0EEEvSN_
    .private_segment_fixed_size: 0
    .sgpr_count:     0
    .sgpr_spill_count: 0
    .symbol:         _ZN7rocprim17ROCPRIM_400000_NS6detail17trampoline_kernelINS0_14default_configENS1_35radix_sort_onesweep_config_selectorIjN6thrust23THRUST_200600_302600_NS5tupleIffNS6_9null_typeES8_S8_S8_S8_S8_S8_S8_EEEEZZNS1_29radix_sort_onesweep_iterationIS3_Lb0ENS6_6detail15normal_iteratorINS6_10device_ptrIjEEEESG_NSD_INSE_IS9_EEEESI_jNS0_19identity_decomposerENS1_16block_id_wrapperIjLb1EEEEE10hipError_tT1_PNSt15iterator_traitsISN_E10value_typeET2_T3_PNSO_IST_E10value_typeET4_T5_PSY_SZ_PNS1_23onesweep_lookback_stateEbbT6_jjT7_P12ihipStream_tbENKUlT_T0_SN_SS_E_clISG_SG_SI_SI_EEDaS16_S17_SN_SS_EUlS16_E_NS1_11comp_targetILNS1_3genE5ELNS1_11target_archE942ELNS1_3gpuE9ELNS1_3repE0EEENS1_47radix_sort_onesweep_sort_config_static_selectorELNS0_4arch9wavefront6targetE0EEEvSN_.kd
    .uniform_work_group_size: 1
    .uses_dynamic_stack: false
    .vgpr_count:     0
    .vgpr_spill_count: 0
    .wavefront_size: 32
    .workgroup_processor_mode: 1
  - .args:
      - .offset:         0
        .size:           88
        .value_kind:     by_value
    .group_segment_fixed_size: 0
    .kernarg_segment_align: 8
    .kernarg_segment_size: 88
    .language:       OpenCL C
    .language_version:
      - 2
      - 0
    .max_flat_workgroup_size: 512
    .name:           _ZN7rocprim17ROCPRIM_400000_NS6detail17trampoline_kernelINS0_14default_configENS1_35radix_sort_onesweep_config_selectorIjN6thrust23THRUST_200600_302600_NS5tupleIffNS6_9null_typeES8_S8_S8_S8_S8_S8_S8_EEEEZZNS1_29radix_sort_onesweep_iterationIS3_Lb0ENS6_6detail15normal_iteratorINS6_10device_ptrIjEEEESG_NSD_INSE_IS9_EEEESI_jNS0_19identity_decomposerENS1_16block_id_wrapperIjLb1EEEEE10hipError_tT1_PNSt15iterator_traitsISN_E10value_typeET2_T3_PNSO_IST_E10value_typeET4_T5_PSY_SZ_PNS1_23onesweep_lookback_stateEbbT6_jjT7_P12ihipStream_tbENKUlT_T0_SN_SS_E_clISG_SG_SI_SI_EEDaS16_S17_SN_SS_EUlS16_E_NS1_11comp_targetILNS1_3genE2ELNS1_11target_archE906ELNS1_3gpuE6ELNS1_3repE0EEENS1_47radix_sort_onesweep_sort_config_static_selectorELNS0_4arch9wavefront6targetE0EEEvSN_
    .private_segment_fixed_size: 0
    .sgpr_count:     0
    .sgpr_spill_count: 0
    .symbol:         _ZN7rocprim17ROCPRIM_400000_NS6detail17trampoline_kernelINS0_14default_configENS1_35radix_sort_onesweep_config_selectorIjN6thrust23THRUST_200600_302600_NS5tupleIffNS6_9null_typeES8_S8_S8_S8_S8_S8_S8_EEEEZZNS1_29radix_sort_onesweep_iterationIS3_Lb0ENS6_6detail15normal_iteratorINS6_10device_ptrIjEEEESG_NSD_INSE_IS9_EEEESI_jNS0_19identity_decomposerENS1_16block_id_wrapperIjLb1EEEEE10hipError_tT1_PNSt15iterator_traitsISN_E10value_typeET2_T3_PNSO_IST_E10value_typeET4_T5_PSY_SZ_PNS1_23onesweep_lookback_stateEbbT6_jjT7_P12ihipStream_tbENKUlT_T0_SN_SS_E_clISG_SG_SI_SI_EEDaS16_S17_SN_SS_EUlS16_E_NS1_11comp_targetILNS1_3genE2ELNS1_11target_archE906ELNS1_3gpuE6ELNS1_3repE0EEENS1_47radix_sort_onesweep_sort_config_static_selectorELNS0_4arch9wavefront6targetE0EEEvSN_.kd
    .uniform_work_group_size: 1
    .uses_dynamic_stack: false
    .vgpr_count:     0
    .vgpr_spill_count: 0
    .wavefront_size: 32
    .workgroup_processor_mode: 1
  - .args:
      - .offset:         0
        .size:           88
        .value_kind:     by_value
    .group_segment_fixed_size: 0
    .kernarg_segment_align: 8
    .kernarg_segment_size: 88
    .language:       OpenCL C
    .language_version:
      - 2
      - 0
    .max_flat_workgroup_size: 512
    .name:           _ZN7rocprim17ROCPRIM_400000_NS6detail17trampoline_kernelINS0_14default_configENS1_35radix_sort_onesweep_config_selectorIjN6thrust23THRUST_200600_302600_NS5tupleIffNS6_9null_typeES8_S8_S8_S8_S8_S8_S8_EEEEZZNS1_29radix_sort_onesweep_iterationIS3_Lb0ENS6_6detail15normal_iteratorINS6_10device_ptrIjEEEESG_NSD_INSE_IS9_EEEESI_jNS0_19identity_decomposerENS1_16block_id_wrapperIjLb1EEEEE10hipError_tT1_PNSt15iterator_traitsISN_E10value_typeET2_T3_PNSO_IST_E10value_typeET4_T5_PSY_SZ_PNS1_23onesweep_lookback_stateEbbT6_jjT7_P12ihipStream_tbENKUlT_T0_SN_SS_E_clISG_SG_SI_SI_EEDaS16_S17_SN_SS_EUlS16_E_NS1_11comp_targetILNS1_3genE4ELNS1_11target_archE910ELNS1_3gpuE8ELNS1_3repE0EEENS1_47radix_sort_onesweep_sort_config_static_selectorELNS0_4arch9wavefront6targetE0EEEvSN_
    .private_segment_fixed_size: 0
    .sgpr_count:     0
    .sgpr_spill_count: 0
    .symbol:         _ZN7rocprim17ROCPRIM_400000_NS6detail17trampoline_kernelINS0_14default_configENS1_35radix_sort_onesweep_config_selectorIjN6thrust23THRUST_200600_302600_NS5tupleIffNS6_9null_typeES8_S8_S8_S8_S8_S8_S8_EEEEZZNS1_29radix_sort_onesweep_iterationIS3_Lb0ENS6_6detail15normal_iteratorINS6_10device_ptrIjEEEESG_NSD_INSE_IS9_EEEESI_jNS0_19identity_decomposerENS1_16block_id_wrapperIjLb1EEEEE10hipError_tT1_PNSt15iterator_traitsISN_E10value_typeET2_T3_PNSO_IST_E10value_typeET4_T5_PSY_SZ_PNS1_23onesweep_lookback_stateEbbT6_jjT7_P12ihipStream_tbENKUlT_T0_SN_SS_E_clISG_SG_SI_SI_EEDaS16_S17_SN_SS_EUlS16_E_NS1_11comp_targetILNS1_3genE4ELNS1_11target_archE910ELNS1_3gpuE8ELNS1_3repE0EEENS1_47radix_sort_onesweep_sort_config_static_selectorELNS0_4arch9wavefront6targetE0EEEvSN_.kd
    .uniform_work_group_size: 1
    .uses_dynamic_stack: false
    .vgpr_count:     0
    .vgpr_spill_count: 0
    .wavefront_size: 32
    .workgroup_processor_mode: 1
  - .args:
      - .offset:         0
        .size:           88
        .value_kind:     by_value
    .group_segment_fixed_size: 0
    .kernarg_segment_align: 8
    .kernarg_segment_size: 88
    .language:       OpenCL C
    .language_version:
      - 2
      - 0
    .max_flat_workgroup_size: 512
    .name:           _ZN7rocprim17ROCPRIM_400000_NS6detail17trampoline_kernelINS0_14default_configENS1_35radix_sort_onesweep_config_selectorIjN6thrust23THRUST_200600_302600_NS5tupleIffNS6_9null_typeES8_S8_S8_S8_S8_S8_S8_EEEEZZNS1_29radix_sort_onesweep_iterationIS3_Lb0ENS6_6detail15normal_iteratorINS6_10device_ptrIjEEEESG_NSD_INSE_IS9_EEEESI_jNS0_19identity_decomposerENS1_16block_id_wrapperIjLb1EEEEE10hipError_tT1_PNSt15iterator_traitsISN_E10value_typeET2_T3_PNSO_IST_E10value_typeET4_T5_PSY_SZ_PNS1_23onesweep_lookback_stateEbbT6_jjT7_P12ihipStream_tbENKUlT_T0_SN_SS_E_clISG_SG_SI_SI_EEDaS16_S17_SN_SS_EUlS16_E_NS1_11comp_targetILNS1_3genE3ELNS1_11target_archE908ELNS1_3gpuE7ELNS1_3repE0EEENS1_47radix_sort_onesweep_sort_config_static_selectorELNS0_4arch9wavefront6targetE0EEEvSN_
    .private_segment_fixed_size: 0
    .sgpr_count:     0
    .sgpr_spill_count: 0
    .symbol:         _ZN7rocprim17ROCPRIM_400000_NS6detail17trampoline_kernelINS0_14default_configENS1_35radix_sort_onesweep_config_selectorIjN6thrust23THRUST_200600_302600_NS5tupleIffNS6_9null_typeES8_S8_S8_S8_S8_S8_S8_EEEEZZNS1_29radix_sort_onesweep_iterationIS3_Lb0ENS6_6detail15normal_iteratorINS6_10device_ptrIjEEEESG_NSD_INSE_IS9_EEEESI_jNS0_19identity_decomposerENS1_16block_id_wrapperIjLb1EEEEE10hipError_tT1_PNSt15iterator_traitsISN_E10value_typeET2_T3_PNSO_IST_E10value_typeET4_T5_PSY_SZ_PNS1_23onesweep_lookback_stateEbbT6_jjT7_P12ihipStream_tbENKUlT_T0_SN_SS_E_clISG_SG_SI_SI_EEDaS16_S17_SN_SS_EUlS16_E_NS1_11comp_targetILNS1_3genE3ELNS1_11target_archE908ELNS1_3gpuE7ELNS1_3repE0EEENS1_47radix_sort_onesweep_sort_config_static_selectorELNS0_4arch9wavefront6targetE0EEEvSN_.kd
    .uniform_work_group_size: 1
    .uses_dynamic_stack: false
    .vgpr_count:     0
    .vgpr_spill_count: 0
    .wavefront_size: 32
    .workgroup_processor_mode: 1
  - .args:
      - .offset:         0
        .size:           88
        .value_kind:     by_value
      - .offset:         88
        .size:           4
        .value_kind:     hidden_block_count_x
      - .offset:         92
        .size:           4
        .value_kind:     hidden_block_count_y
      - .offset:         96
        .size:           4
        .value_kind:     hidden_block_count_z
      - .offset:         100
        .size:           2
        .value_kind:     hidden_group_size_x
      - .offset:         102
        .size:           2
        .value_kind:     hidden_group_size_y
      - .offset:         104
        .size:           2
        .value_kind:     hidden_group_size_z
      - .offset:         106
        .size:           2
        .value_kind:     hidden_remainder_x
      - .offset:         108
        .size:           2
        .value_kind:     hidden_remainder_y
      - .offset:         110
        .size:           2
        .value_kind:     hidden_remainder_z
      - .offset:         128
        .size:           8
        .value_kind:     hidden_global_offset_x
      - .offset:         136
        .size:           8
        .value_kind:     hidden_global_offset_y
      - .offset:         144
        .size:           8
        .value_kind:     hidden_global_offset_z
      - .offset:         152
        .size:           2
        .value_kind:     hidden_grid_dims
    .group_segment_fixed_size: 37000
    .kernarg_segment_align: 8
    .kernarg_segment_size: 344
    .language:       OpenCL C
    .language_version:
      - 2
      - 0
    .max_flat_workgroup_size: 1024
    .name:           _ZN7rocprim17ROCPRIM_400000_NS6detail17trampoline_kernelINS0_14default_configENS1_35radix_sort_onesweep_config_selectorIjN6thrust23THRUST_200600_302600_NS5tupleIffNS6_9null_typeES8_S8_S8_S8_S8_S8_S8_EEEEZZNS1_29radix_sort_onesweep_iterationIS3_Lb0ENS6_6detail15normal_iteratorINS6_10device_ptrIjEEEESG_NSD_INSE_IS9_EEEESI_jNS0_19identity_decomposerENS1_16block_id_wrapperIjLb1EEEEE10hipError_tT1_PNSt15iterator_traitsISN_E10value_typeET2_T3_PNSO_IST_E10value_typeET4_T5_PSY_SZ_PNS1_23onesweep_lookback_stateEbbT6_jjT7_P12ihipStream_tbENKUlT_T0_SN_SS_E_clISG_SG_SI_SI_EEDaS16_S17_SN_SS_EUlS16_E_NS1_11comp_targetILNS1_3genE10ELNS1_11target_archE1201ELNS1_3gpuE5ELNS1_3repE0EEENS1_47radix_sort_onesweep_sort_config_static_selectorELNS0_4arch9wavefront6targetE0EEEvSN_
    .private_segment_fixed_size: 80
    .sgpr_count:     53
    .sgpr_spill_count: 0
    .symbol:         _ZN7rocprim17ROCPRIM_400000_NS6detail17trampoline_kernelINS0_14default_configENS1_35radix_sort_onesweep_config_selectorIjN6thrust23THRUST_200600_302600_NS5tupleIffNS6_9null_typeES8_S8_S8_S8_S8_S8_S8_EEEEZZNS1_29radix_sort_onesweep_iterationIS3_Lb0ENS6_6detail15normal_iteratorINS6_10device_ptrIjEEEESG_NSD_INSE_IS9_EEEESI_jNS0_19identity_decomposerENS1_16block_id_wrapperIjLb1EEEEE10hipError_tT1_PNSt15iterator_traitsISN_E10value_typeET2_T3_PNSO_IST_E10value_typeET4_T5_PSY_SZ_PNS1_23onesweep_lookback_stateEbbT6_jjT7_P12ihipStream_tbENKUlT_T0_SN_SS_E_clISG_SG_SI_SI_EEDaS16_S17_SN_SS_EUlS16_E_NS1_11comp_targetILNS1_3genE10ELNS1_11target_archE1201ELNS1_3gpuE5ELNS1_3repE0EEENS1_47radix_sort_onesweep_sort_config_static_selectorELNS0_4arch9wavefront6targetE0EEEvSN_.kd
    .uniform_work_group_size: 1
    .uses_dynamic_stack: false
    .vgpr_count:     82
    .vgpr_spill_count: 0
    .wavefront_size: 32
    .workgroup_processor_mode: 1
  - .args:
      - .offset:         0
        .size:           88
        .value_kind:     by_value
    .group_segment_fixed_size: 0
    .kernarg_segment_align: 8
    .kernarg_segment_size: 88
    .language:       OpenCL C
    .language_version:
      - 2
      - 0
    .max_flat_workgroup_size: 1024
    .name:           _ZN7rocprim17ROCPRIM_400000_NS6detail17trampoline_kernelINS0_14default_configENS1_35radix_sort_onesweep_config_selectorIjN6thrust23THRUST_200600_302600_NS5tupleIffNS6_9null_typeES8_S8_S8_S8_S8_S8_S8_EEEEZZNS1_29radix_sort_onesweep_iterationIS3_Lb0ENS6_6detail15normal_iteratorINS6_10device_ptrIjEEEESG_NSD_INSE_IS9_EEEESI_jNS0_19identity_decomposerENS1_16block_id_wrapperIjLb1EEEEE10hipError_tT1_PNSt15iterator_traitsISN_E10value_typeET2_T3_PNSO_IST_E10value_typeET4_T5_PSY_SZ_PNS1_23onesweep_lookback_stateEbbT6_jjT7_P12ihipStream_tbENKUlT_T0_SN_SS_E_clISG_SG_SI_SI_EEDaS16_S17_SN_SS_EUlS16_E_NS1_11comp_targetILNS1_3genE9ELNS1_11target_archE1100ELNS1_3gpuE3ELNS1_3repE0EEENS1_47radix_sort_onesweep_sort_config_static_selectorELNS0_4arch9wavefront6targetE0EEEvSN_
    .private_segment_fixed_size: 0
    .sgpr_count:     0
    .sgpr_spill_count: 0
    .symbol:         _ZN7rocprim17ROCPRIM_400000_NS6detail17trampoline_kernelINS0_14default_configENS1_35radix_sort_onesweep_config_selectorIjN6thrust23THRUST_200600_302600_NS5tupleIffNS6_9null_typeES8_S8_S8_S8_S8_S8_S8_EEEEZZNS1_29radix_sort_onesweep_iterationIS3_Lb0ENS6_6detail15normal_iteratorINS6_10device_ptrIjEEEESG_NSD_INSE_IS9_EEEESI_jNS0_19identity_decomposerENS1_16block_id_wrapperIjLb1EEEEE10hipError_tT1_PNSt15iterator_traitsISN_E10value_typeET2_T3_PNSO_IST_E10value_typeET4_T5_PSY_SZ_PNS1_23onesweep_lookback_stateEbbT6_jjT7_P12ihipStream_tbENKUlT_T0_SN_SS_E_clISG_SG_SI_SI_EEDaS16_S17_SN_SS_EUlS16_E_NS1_11comp_targetILNS1_3genE9ELNS1_11target_archE1100ELNS1_3gpuE3ELNS1_3repE0EEENS1_47radix_sort_onesweep_sort_config_static_selectorELNS0_4arch9wavefront6targetE0EEEvSN_.kd
    .uniform_work_group_size: 1
    .uses_dynamic_stack: false
    .vgpr_count:     0
    .vgpr_spill_count: 0
    .wavefront_size: 32
    .workgroup_processor_mode: 1
  - .args:
      - .offset:         0
        .size:           88
        .value_kind:     by_value
    .group_segment_fixed_size: 0
    .kernarg_segment_align: 8
    .kernarg_segment_size: 88
    .language:       OpenCL C
    .language_version:
      - 2
      - 0
    .max_flat_workgroup_size: 1024
    .name:           _ZN7rocprim17ROCPRIM_400000_NS6detail17trampoline_kernelINS0_14default_configENS1_35radix_sort_onesweep_config_selectorIjN6thrust23THRUST_200600_302600_NS5tupleIffNS6_9null_typeES8_S8_S8_S8_S8_S8_S8_EEEEZZNS1_29radix_sort_onesweep_iterationIS3_Lb0ENS6_6detail15normal_iteratorINS6_10device_ptrIjEEEESG_NSD_INSE_IS9_EEEESI_jNS0_19identity_decomposerENS1_16block_id_wrapperIjLb1EEEEE10hipError_tT1_PNSt15iterator_traitsISN_E10value_typeET2_T3_PNSO_IST_E10value_typeET4_T5_PSY_SZ_PNS1_23onesweep_lookback_stateEbbT6_jjT7_P12ihipStream_tbENKUlT_T0_SN_SS_E_clISG_SG_SI_SI_EEDaS16_S17_SN_SS_EUlS16_E_NS1_11comp_targetILNS1_3genE8ELNS1_11target_archE1030ELNS1_3gpuE2ELNS1_3repE0EEENS1_47radix_sort_onesweep_sort_config_static_selectorELNS0_4arch9wavefront6targetE0EEEvSN_
    .private_segment_fixed_size: 0
    .sgpr_count:     0
    .sgpr_spill_count: 0
    .symbol:         _ZN7rocprim17ROCPRIM_400000_NS6detail17trampoline_kernelINS0_14default_configENS1_35radix_sort_onesweep_config_selectorIjN6thrust23THRUST_200600_302600_NS5tupleIffNS6_9null_typeES8_S8_S8_S8_S8_S8_S8_EEEEZZNS1_29radix_sort_onesweep_iterationIS3_Lb0ENS6_6detail15normal_iteratorINS6_10device_ptrIjEEEESG_NSD_INSE_IS9_EEEESI_jNS0_19identity_decomposerENS1_16block_id_wrapperIjLb1EEEEE10hipError_tT1_PNSt15iterator_traitsISN_E10value_typeET2_T3_PNSO_IST_E10value_typeET4_T5_PSY_SZ_PNS1_23onesweep_lookback_stateEbbT6_jjT7_P12ihipStream_tbENKUlT_T0_SN_SS_E_clISG_SG_SI_SI_EEDaS16_S17_SN_SS_EUlS16_E_NS1_11comp_targetILNS1_3genE8ELNS1_11target_archE1030ELNS1_3gpuE2ELNS1_3repE0EEENS1_47radix_sort_onesweep_sort_config_static_selectorELNS0_4arch9wavefront6targetE0EEEvSN_.kd
    .uniform_work_group_size: 1
    .uses_dynamic_stack: false
    .vgpr_count:     0
    .vgpr_spill_count: 0
    .wavefront_size: 32
    .workgroup_processor_mode: 1
  - .args:
      - .offset:         0
        .size:           88
        .value_kind:     by_value
    .group_segment_fixed_size: 0
    .kernarg_segment_align: 8
    .kernarg_segment_size: 88
    .language:       OpenCL C
    .language_version:
      - 2
      - 0
    .max_flat_workgroup_size: 512
    .name:           _ZN7rocprim17ROCPRIM_400000_NS6detail17trampoline_kernelINS0_14default_configENS1_35radix_sort_onesweep_config_selectorIjN6thrust23THRUST_200600_302600_NS5tupleIffNS6_9null_typeES8_S8_S8_S8_S8_S8_S8_EEEEZZNS1_29radix_sort_onesweep_iterationIS3_Lb0ENS6_6detail15normal_iteratorINS6_10device_ptrIjEEEESG_NSD_INSE_IS9_EEEESI_jNS0_19identity_decomposerENS1_16block_id_wrapperIjLb1EEEEE10hipError_tT1_PNSt15iterator_traitsISN_E10value_typeET2_T3_PNSO_IST_E10value_typeET4_T5_PSY_SZ_PNS1_23onesweep_lookback_stateEbbT6_jjT7_P12ihipStream_tbENKUlT_T0_SN_SS_E_clISG_PjSI_PS9_EEDaS16_S17_SN_SS_EUlS16_E_NS1_11comp_targetILNS1_3genE0ELNS1_11target_archE4294967295ELNS1_3gpuE0ELNS1_3repE0EEENS1_47radix_sort_onesweep_sort_config_static_selectorELNS0_4arch9wavefront6targetE0EEEvSN_
    .private_segment_fixed_size: 0
    .sgpr_count:     0
    .sgpr_spill_count: 0
    .symbol:         _ZN7rocprim17ROCPRIM_400000_NS6detail17trampoline_kernelINS0_14default_configENS1_35radix_sort_onesweep_config_selectorIjN6thrust23THRUST_200600_302600_NS5tupleIffNS6_9null_typeES8_S8_S8_S8_S8_S8_S8_EEEEZZNS1_29radix_sort_onesweep_iterationIS3_Lb0ENS6_6detail15normal_iteratorINS6_10device_ptrIjEEEESG_NSD_INSE_IS9_EEEESI_jNS0_19identity_decomposerENS1_16block_id_wrapperIjLb1EEEEE10hipError_tT1_PNSt15iterator_traitsISN_E10value_typeET2_T3_PNSO_IST_E10value_typeET4_T5_PSY_SZ_PNS1_23onesweep_lookback_stateEbbT6_jjT7_P12ihipStream_tbENKUlT_T0_SN_SS_E_clISG_PjSI_PS9_EEDaS16_S17_SN_SS_EUlS16_E_NS1_11comp_targetILNS1_3genE0ELNS1_11target_archE4294967295ELNS1_3gpuE0ELNS1_3repE0EEENS1_47radix_sort_onesweep_sort_config_static_selectorELNS0_4arch9wavefront6targetE0EEEvSN_.kd
    .uniform_work_group_size: 1
    .uses_dynamic_stack: false
    .vgpr_count:     0
    .vgpr_spill_count: 0
    .wavefront_size: 32
    .workgroup_processor_mode: 1
  - .args:
      - .offset:         0
        .size:           88
        .value_kind:     by_value
    .group_segment_fixed_size: 0
    .kernarg_segment_align: 8
    .kernarg_segment_size: 88
    .language:       OpenCL C
    .language_version:
      - 2
      - 0
    .max_flat_workgroup_size: 1024
    .name:           _ZN7rocprim17ROCPRIM_400000_NS6detail17trampoline_kernelINS0_14default_configENS1_35radix_sort_onesweep_config_selectorIjN6thrust23THRUST_200600_302600_NS5tupleIffNS6_9null_typeES8_S8_S8_S8_S8_S8_S8_EEEEZZNS1_29radix_sort_onesweep_iterationIS3_Lb0ENS6_6detail15normal_iteratorINS6_10device_ptrIjEEEESG_NSD_INSE_IS9_EEEESI_jNS0_19identity_decomposerENS1_16block_id_wrapperIjLb1EEEEE10hipError_tT1_PNSt15iterator_traitsISN_E10value_typeET2_T3_PNSO_IST_E10value_typeET4_T5_PSY_SZ_PNS1_23onesweep_lookback_stateEbbT6_jjT7_P12ihipStream_tbENKUlT_T0_SN_SS_E_clISG_PjSI_PS9_EEDaS16_S17_SN_SS_EUlS16_E_NS1_11comp_targetILNS1_3genE6ELNS1_11target_archE950ELNS1_3gpuE13ELNS1_3repE0EEENS1_47radix_sort_onesweep_sort_config_static_selectorELNS0_4arch9wavefront6targetE0EEEvSN_
    .private_segment_fixed_size: 0
    .sgpr_count:     0
    .sgpr_spill_count: 0
    .symbol:         _ZN7rocprim17ROCPRIM_400000_NS6detail17trampoline_kernelINS0_14default_configENS1_35radix_sort_onesweep_config_selectorIjN6thrust23THRUST_200600_302600_NS5tupleIffNS6_9null_typeES8_S8_S8_S8_S8_S8_S8_EEEEZZNS1_29radix_sort_onesweep_iterationIS3_Lb0ENS6_6detail15normal_iteratorINS6_10device_ptrIjEEEESG_NSD_INSE_IS9_EEEESI_jNS0_19identity_decomposerENS1_16block_id_wrapperIjLb1EEEEE10hipError_tT1_PNSt15iterator_traitsISN_E10value_typeET2_T3_PNSO_IST_E10value_typeET4_T5_PSY_SZ_PNS1_23onesweep_lookback_stateEbbT6_jjT7_P12ihipStream_tbENKUlT_T0_SN_SS_E_clISG_PjSI_PS9_EEDaS16_S17_SN_SS_EUlS16_E_NS1_11comp_targetILNS1_3genE6ELNS1_11target_archE950ELNS1_3gpuE13ELNS1_3repE0EEENS1_47radix_sort_onesweep_sort_config_static_selectorELNS0_4arch9wavefront6targetE0EEEvSN_.kd
    .uniform_work_group_size: 1
    .uses_dynamic_stack: false
    .vgpr_count:     0
    .vgpr_spill_count: 0
    .wavefront_size: 32
    .workgroup_processor_mode: 1
  - .args:
      - .offset:         0
        .size:           88
        .value_kind:     by_value
    .group_segment_fixed_size: 0
    .kernarg_segment_align: 8
    .kernarg_segment_size: 88
    .language:       OpenCL C
    .language_version:
      - 2
      - 0
    .max_flat_workgroup_size: 1024
    .name:           _ZN7rocprim17ROCPRIM_400000_NS6detail17trampoline_kernelINS0_14default_configENS1_35radix_sort_onesweep_config_selectorIjN6thrust23THRUST_200600_302600_NS5tupleIffNS6_9null_typeES8_S8_S8_S8_S8_S8_S8_EEEEZZNS1_29radix_sort_onesweep_iterationIS3_Lb0ENS6_6detail15normal_iteratorINS6_10device_ptrIjEEEESG_NSD_INSE_IS9_EEEESI_jNS0_19identity_decomposerENS1_16block_id_wrapperIjLb1EEEEE10hipError_tT1_PNSt15iterator_traitsISN_E10value_typeET2_T3_PNSO_IST_E10value_typeET4_T5_PSY_SZ_PNS1_23onesweep_lookback_stateEbbT6_jjT7_P12ihipStream_tbENKUlT_T0_SN_SS_E_clISG_PjSI_PS9_EEDaS16_S17_SN_SS_EUlS16_E_NS1_11comp_targetILNS1_3genE5ELNS1_11target_archE942ELNS1_3gpuE9ELNS1_3repE0EEENS1_47radix_sort_onesweep_sort_config_static_selectorELNS0_4arch9wavefront6targetE0EEEvSN_
    .private_segment_fixed_size: 0
    .sgpr_count:     0
    .sgpr_spill_count: 0
    .symbol:         _ZN7rocprim17ROCPRIM_400000_NS6detail17trampoline_kernelINS0_14default_configENS1_35radix_sort_onesweep_config_selectorIjN6thrust23THRUST_200600_302600_NS5tupleIffNS6_9null_typeES8_S8_S8_S8_S8_S8_S8_EEEEZZNS1_29radix_sort_onesweep_iterationIS3_Lb0ENS6_6detail15normal_iteratorINS6_10device_ptrIjEEEESG_NSD_INSE_IS9_EEEESI_jNS0_19identity_decomposerENS1_16block_id_wrapperIjLb1EEEEE10hipError_tT1_PNSt15iterator_traitsISN_E10value_typeET2_T3_PNSO_IST_E10value_typeET4_T5_PSY_SZ_PNS1_23onesweep_lookback_stateEbbT6_jjT7_P12ihipStream_tbENKUlT_T0_SN_SS_E_clISG_PjSI_PS9_EEDaS16_S17_SN_SS_EUlS16_E_NS1_11comp_targetILNS1_3genE5ELNS1_11target_archE942ELNS1_3gpuE9ELNS1_3repE0EEENS1_47radix_sort_onesweep_sort_config_static_selectorELNS0_4arch9wavefront6targetE0EEEvSN_.kd
    .uniform_work_group_size: 1
    .uses_dynamic_stack: false
    .vgpr_count:     0
    .vgpr_spill_count: 0
    .wavefront_size: 32
    .workgroup_processor_mode: 1
  - .args:
      - .offset:         0
        .size:           88
        .value_kind:     by_value
    .group_segment_fixed_size: 0
    .kernarg_segment_align: 8
    .kernarg_segment_size: 88
    .language:       OpenCL C
    .language_version:
      - 2
      - 0
    .max_flat_workgroup_size: 512
    .name:           _ZN7rocprim17ROCPRIM_400000_NS6detail17trampoline_kernelINS0_14default_configENS1_35radix_sort_onesweep_config_selectorIjN6thrust23THRUST_200600_302600_NS5tupleIffNS6_9null_typeES8_S8_S8_S8_S8_S8_S8_EEEEZZNS1_29radix_sort_onesweep_iterationIS3_Lb0ENS6_6detail15normal_iteratorINS6_10device_ptrIjEEEESG_NSD_INSE_IS9_EEEESI_jNS0_19identity_decomposerENS1_16block_id_wrapperIjLb1EEEEE10hipError_tT1_PNSt15iterator_traitsISN_E10value_typeET2_T3_PNSO_IST_E10value_typeET4_T5_PSY_SZ_PNS1_23onesweep_lookback_stateEbbT6_jjT7_P12ihipStream_tbENKUlT_T0_SN_SS_E_clISG_PjSI_PS9_EEDaS16_S17_SN_SS_EUlS16_E_NS1_11comp_targetILNS1_3genE2ELNS1_11target_archE906ELNS1_3gpuE6ELNS1_3repE0EEENS1_47radix_sort_onesweep_sort_config_static_selectorELNS0_4arch9wavefront6targetE0EEEvSN_
    .private_segment_fixed_size: 0
    .sgpr_count:     0
    .sgpr_spill_count: 0
    .symbol:         _ZN7rocprim17ROCPRIM_400000_NS6detail17trampoline_kernelINS0_14default_configENS1_35radix_sort_onesweep_config_selectorIjN6thrust23THRUST_200600_302600_NS5tupleIffNS6_9null_typeES8_S8_S8_S8_S8_S8_S8_EEEEZZNS1_29radix_sort_onesweep_iterationIS3_Lb0ENS6_6detail15normal_iteratorINS6_10device_ptrIjEEEESG_NSD_INSE_IS9_EEEESI_jNS0_19identity_decomposerENS1_16block_id_wrapperIjLb1EEEEE10hipError_tT1_PNSt15iterator_traitsISN_E10value_typeET2_T3_PNSO_IST_E10value_typeET4_T5_PSY_SZ_PNS1_23onesweep_lookback_stateEbbT6_jjT7_P12ihipStream_tbENKUlT_T0_SN_SS_E_clISG_PjSI_PS9_EEDaS16_S17_SN_SS_EUlS16_E_NS1_11comp_targetILNS1_3genE2ELNS1_11target_archE906ELNS1_3gpuE6ELNS1_3repE0EEENS1_47radix_sort_onesweep_sort_config_static_selectorELNS0_4arch9wavefront6targetE0EEEvSN_.kd
    .uniform_work_group_size: 1
    .uses_dynamic_stack: false
    .vgpr_count:     0
    .vgpr_spill_count: 0
    .wavefront_size: 32
    .workgroup_processor_mode: 1
  - .args:
      - .offset:         0
        .size:           88
        .value_kind:     by_value
    .group_segment_fixed_size: 0
    .kernarg_segment_align: 8
    .kernarg_segment_size: 88
    .language:       OpenCL C
    .language_version:
      - 2
      - 0
    .max_flat_workgroup_size: 512
    .name:           _ZN7rocprim17ROCPRIM_400000_NS6detail17trampoline_kernelINS0_14default_configENS1_35radix_sort_onesweep_config_selectorIjN6thrust23THRUST_200600_302600_NS5tupleIffNS6_9null_typeES8_S8_S8_S8_S8_S8_S8_EEEEZZNS1_29radix_sort_onesweep_iterationIS3_Lb0ENS6_6detail15normal_iteratorINS6_10device_ptrIjEEEESG_NSD_INSE_IS9_EEEESI_jNS0_19identity_decomposerENS1_16block_id_wrapperIjLb1EEEEE10hipError_tT1_PNSt15iterator_traitsISN_E10value_typeET2_T3_PNSO_IST_E10value_typeET4_T5_PSY_SZ_PNS1_23onesweep_lookback_stateEbbT6_jjT7_P12ihipStream_tbENKUlT_T0_SN_SS_E_clISG_PjSI_PS9_EEDaS16_S17_SN_SS_EUlS16_E_NS1_11comp_targetILNS1_3genE4ELNS1_11target_archE910ELNS1_3gpuE8ELNS1_3repE0EEENS1_47radix_sort_onesweep_sort_config_static_selectorELNS0_4arch9wavefront6targetE0EEEvSN_
    .private_segment_fixed_size: 0
    .sgpr_count:     0
    .sgpr_spill_count: 0
    .symbol:         _ZN7rocprim17ROCPRIM_400000_NS6detail17trampoline_kernelINS0_14default_configENS1_35radix_sort_onesweep_config_selectorIjN6thrust23THRUST_200600_302600_NS5tupleIffNS6_9null_typeES8_S8_S8_S8_S8_S8_S8_EEEEZZNS1_29radix_sort_onesweep_iterationIS3_Lb0ENS6_6detail15normal_iteratorINS6_10device_ptrIjEEEESG_NSD_INSE_IS9_EEEESI_jNS0_19identity_decomposerENS1_16block_id_wrapperIjLb1EEEEE10hipError_tT1_PNSt15iterator_traitsISN_E10value_typeET2_T3_PNSO_IST_E10value_typeET4_T5_PSY_SZ_PNS1_23onesweep_lookback_stateEbbT6_jjT7_P12ihipStream_tbENKUlT_T0_SN_SS_E_clISG_PjSI_PS9_EEDaS16_S17_SN_SS_EUlS16_E_NS1_11comp_targetILNS1_3genE4ELNS1_11target_archE910ELNS1_3gpuE8ELNS1_3repE0EEENS1_47radix_sort_onesweep_sort_config_static_selectorELNS0_4arch9wavefront6targetE0EEEvSN_.kd
    .uniform_work_group_size: 1
    .uses_dynamic_stack: false
    .vgpr_count:     0
    .vgpr_spill_count: 0
    .wavefront_size: 32
    .workgroup_processor_mode: 1
  - .args:
      - .offset:         0
        .size:           88
        .value_kind:     by_value
    .group_segment_fixed_size: 0
    .kernarg_segment_align: 8
    .kernarg_segment_size: 88
    .language:       OpenCL C
    .language_version:
      - 2
      - 0
    .max_flat_workgroup_size: 512
    .name:           _ZN7rocprim17ROCPRIM_400000_NS6detail17trampoline_kernelINS0_14default_configENS1_35radix_sort_onesweep_config_selectorIjN6thrust23THRUST_200600_302600_NS5tupleIffNS6_9null_typeES8_S8_S8_S8_S8_S8_S8_EEEEZZNS1_29radix_sort_onesweep_iterationIS3_Lb0ENS6_6detail15normal_iteratorINS6_10device_ptrIjEEEESG_NSD_INSE_IS9_EEEESI_jNS0_19identity_decomposerENS1_16block_id_wrapperIjLb1EEEEE10hipError_tT1_PNSt15iterator_traitsISN_E10value_typeET2_T3_PNSO_IST_E10value_typeET4_T5_PSY_SZ_PNS1_23onesweep_lookback_stateEbbT6_jjT7_P12ihipStream_tbENKUlT_T0_SN_SS_E_clISG_PjSI_PS9_EEDaS16_S17_SN_SS_EUlS16_E_NS1_11comp_targetILNS1_3genE3ELNS1_11target_archE908ELNS1_3gpuE7ELNS1_3repE0EEENS1_47radix_sort_onesweep_sort_config_static_selectorELNS0_4arch9wavefront6targetE0EEEvSN_
    .private_segment_fixed_size: 0
    .sgpr_count:     0
    .sgpr_spill_count: 0
    .symbol:         _ZN7rocprim17ROCPRIM_400000_NS6detail17trampoline_kernelINS0_14default_configENS1_35radix_sort_onesweep_config_selectorIjN6thrust23THRUST_200600_302600_NS5tupleIffNS6_9null_typeES8_S8_S8_S8_S8_S8_S8_EEEEZZNS1_29radix_sort_onesweep_iterationIS3_Lb0ENS6_6detail15normal_iteratorINS6_10device_ptrIjEEEESG_NSD_INSE_IS9_EEEESI_jNS0_19identity_decomposerENS1_16block_id_wrapperIjLb1EEEEE10hipError_tT1_PNSt15iterator_traitsISN_E10value_typeET2_T3_PNSO_IST_E10value_typeET4_T5_PSY_SZ_PNS1_23onesweep_lookback_stateEbbT6_jjT7_P12ihipStream_tbENKUlT_T0_SN_SS_E_clISG_PjSI_PS9_EEDaS16_S17_SN_SS_EUlS16_E_NS1_11comp_targetILNS1_3genE3ELNS1_11target_archE908ELNS1_3gpuE7ELNS1_3repE0EEENS1_47radix_sort_onesweep_sort_config_static_selectorELNS0_4arch9wavefront6targetE0EEEvSN_.kd
    .uniform_work_group_size: 1
    .uses_dynamic_stack: false
    .vgpr_count:     0
    .vgpr_spill_count: 0
    .wavefront_size: 32
    .workgroup_processor_mode: 1
  - .args:
      - .offset:         0
        .size:           88
        .value_kind:     by_value
      - .offset:         88
        .size:           4
        .value_kind:     hidden_block_count_x
      - .offset:         92
        .size:           4
        .value_kind:     hidden_block_count_y
      - .offset:         96
        .size:           4
        .value_kind:     hidden_block_count_z
      - .offset:         100
        .size:           2
        .value_kind:     hidden_group_size_x
      - .offset:         102
        .size:           2
        .value_kind:     hidden_group_size_y
      - .offset:         104
        .size:           2
        .value_kind:     hidden_group_size_z
      - .offset:         106
        .size:           2
        .value_kind:     hidden_remainder_x
      - .offset:         108
        .size:           2
        .value_kind:     hidden_remainder_y
      - .offset:         110
        .size:           2
        .value_kind:     hidden_remainder_z
      - .offset:         128
        .size:           8
        .value_kind:     hidden_global_offset_x
      - .offset:         136
        .size:           8
        .value_kind:     hidden_global_offset_y
      - .offset:         144
        .size:           8
        .value_kind:     hidden_global_offset_z
      - .offset:         152
        .size:           2
        .value_kind:     hidden_grid_dims
    .group_segment_fixed_size: 37000
    .kernarg_segment_align: 8
    .kernarg_segment_size: 344
    .language:       OpenCL C
    .language_version:
      - 2
      - 0
    .max_flat_workgroup_size: 1024
    .name:           _ZN7rocprim17ROCPRIM_400000_NS6detail17trampoline_kernelINS0_14default_configENS1_35radix_sort_onesweep_config_selectorIjN6thrust23THRUST_200600_302600_NS5tupleIffNS6_9null_typeES8_S8_S8_S8_S8_S8_S8_EEEEZZNS1_29radix_sort_onesweep_iterationIS3_Lb0ENS6_6detail15normal_iteratorINS6_10device_ptrIjEEEESG_NSD_INSE_IS9_EEEESI_jNS0_19identity_decomposerENS1_16block_id_wrapperIjLb1EEEEE10hipError_tT1_PNSt15iterator_traitsISN_E10value_typeET2_T3_PNSO_IST_E10value_typeET4_T5_PSY_SZ_PNS1_23onesweep_lookback_stateEbbT6_jjT7_P12ihipStream_tbENKUlT_T0_SN_SS_E_clISG_PjSI_PS9_EEDaS16_S17_SN_SS_EUlS16_E_NS1_11comp_targetILNS1_3genE10ELNS1_11target_archE1201ELNS1_3gpuE5ELNS1_3repE0EEENS1_47radix_sort_onesweep_sort_config_static_selectorELNS0_4arch9wavefront6targetE0EEEvSN_
    .private_segment_fixed_size: 80
    .sgpr_count:     53
    .sgpr_spill_count: 0
    .symbol:         _ZN7rocprim17ROCPRIM_400000_NS6detail17trampoline_kernelINS0_14default_configENS1_35radix_sort_onesweep_config_selectorIjN6thrust23THRUST_200600_302600_NS5tupleIffNS6_9null_typeES8_S8_S8_S8_S8_S8_S8_EEEEZZNS1_29radix_sort_onesweep_iterationIS3_Lb0ENS6_6detail15normal_iteratorINS6_10device_ptrIjEEEESG_NSD_INSE_IS9_EEEESI_jNS0_19identity_decomposerENS1_16block_id_wrapperIjLb1EEEEE10hipError_tT1_PNSt15iterator_traitsISN_E10value_typeET2_T3_PNSO_IST_E10value_typeET4_T5_PSY_SZ_PNS1_23onesweep_lookback_stateEbbT6_jjT7_P12ihipStream_tbENKUlT_T0_SN_SS_E_clISG_PjSI_PS9_EEDaS16_S17_SN_SS_EUlS16_E_NS1_11comp_targetILNS1_3genE10ELNS1_11target_archE1201ELNS1_3gpuE5ELNS1_3repE0EEENS1_47radix_sort_onesweep_sort_config_static_selectorELNS0_4arch9wavefront6targetE0EEEvSN_.kd
    .uniform_work_group_size: 1
    .uses_dynamic_stack: false
    .vgpr_count:     82
    .vgpr_spill_count: 0
    .wavefront_size: 32
    .workgroup_processor_mode: 1
  - .args:
      - .offset:         0
        .size:           88
        .value_kind:     by_value
    .group_segment_fixed_size: 0
    .kernarg_segment_align: 8
    .kernarg_segment_size: 88
    .language:       OpenCL C
    .language_version:
      - 2
      - 0
    .max_flat_workgroup_size: 1024
    .name:           _ZN7rocprim17ROCPRIM_400000_NS6detail17trampoline_kernelINS0_14default_configENS1_35radix_sort_onesweep_config_selectorIjN6thrust23THRUST_200600_302600_NS5tupleIffNS6_9null_typeES8_S8_S8_S8_S8_S8_S8_EEEEZZNS1_29radix_sort_onesweep_iterationIS3_Lb0ENS6_6detail15normal_iteratorINS6_10device_ptrIjEEEESG_NSD_INSE_IS9_EEEESI_jNS0_19identity_decomposerENS1_16block_id_wrapperIjLb1EEEEE10hipError_tT1_PNSt15iterator_traitsISN_E10value_typeET2_T3_PNSO_IST_E10value_typeET4_T5_PSY_SZ_PNS1_23onesweep_lookback_stateEbbT6_jjT7_P12ihipStream_tbENKUlT_T0_SN_SS_E_clISG_PjSI_PS9_EEDaS16_S17_SN_SS_EUlS16_E_NS1_11comp_targetILNS1_3genE9ELNS1_11target_archE1100ELNS1_3gpuE3ELNS1_3repE0EEENS1_47radix_sort_onesweep_sort_config_static_selectorELNS0_4arch9wavefront6targetE0EEEvSN_
    .private_segment_fixed_size: 0
    .sgpr_count:     0
    .sgpr_spill_count: 0
    .symbol:         _ZN7rocprim17ROCPRIM_400000_NS6detail17trampoline_kernelINS0_14default_configENS1_35radix_sort_onesweep_config_selectorIjN6thrust23THRUST_200600_302600_NS5tupleIffNS6_9null_typeES8_S8_S8_S8_S8_S8_S8_EEEEZZNS1_29radix_sort_onesweep_iterationIS3_Lb0ENS6_6detail15normal_iteratorINS6_10device_ptrIjEEEESG_NSD_INSE_IS9_EEEESI_jNS0_19identity_decomposerENS1_16block_id_wrapperIjLb1EEEEE10hipError_tT1_PNSt15iterator_traitsISN_E10value_typeET2_T3_PNSO_IST_E10value_typeET4_T5_PSY_SZ_PNS1_23onesweep_lookback_stateEbbT6_jjT7_P12ihipStream_tbENKUlT_T0_SN_SS_E_clISG_PjSI_PS9_EEDaS16_S17_SN_SS_EUlS16_E_NS1_11comp_targetILNS1_3genE9ELNS1_11target_archE1100ELNS1_3gpuE3ELNS1_3repE0EEENS1_47radix_sort_onesweep_sort_config_static_selectorELNS0_4arch9wavefront6targetE0EEEvSN_.kd
    .uniform_work_group_size: 1
    .uses_dynamic_stack: false
    .vgpr_count:     0
    .vgpr_spill_count: 0
    .wavefront_size: 32
    .workgroup_processor_mode: 1
  - .args:
      - .offset:         0
        .size:           88
        .value_kind:     by_value
    .group_segment_fixed_size: 0
    .kernarg_segment_align: 8
    .kernarg_segment_size: 88
    .language:       OpenCL C
    .language_version:
      - 2
      - 0
    .max_flat_workgroup_size: 1024
    .name:           _ZN7rocprim17ROCPRIM_400000_NS6detail17trampoline_kernelINS0_14default_configENS1_35radix_sort_onesweep_config_selectorIjN6thrust23THRUST_200600_302600_NS5tupleIffNS6_9null_typeES8_S8_S8_S8_S8_S8_S8_EEEEZZNS1_29radix_sort_onesweep_iterationIS3_Lb0ENS6_6detail15normal_iteratorINS6_10device_ptrIjEEEESG_NSD_INSE_IS9_EEEESI_jNS0_19identity_decomposerENS1_16block_id_wrapperIjLb1EEEEE10hipError_tT1_PNSt15iterator_traitsISN_E10value_typeET2_T3_PNSO_IST_E10value_typeET4_T5_PSY_SZ_PNS1_23onesweep_lookback_stateEbbT6_jjT7_P12ihipStream_tbENKUlT_T0_SN_SS_E_clISG_PjSI_PS9_EEDaS16_S17_SN_SS_EUlS16_E_NS1_11comp_targetILNS1_3genE8ELNS1_11target_archE1030ELNS1_3gpuE2ELNS1_3repE0EEENS1_47radix_sort_onesweep_sort_config_static_selectorELNS0_4arch9wavefront6targetE0EEEvSN_
    .private_segment_fixed_size: 0
    .sgpr_count:     0
    .sgpr_spill_count: 0
    .symbol:         _ZN7rocprim17ROCPRIM_400000_NS6detail17trampoline_kernelINS0_14default_configENS1_35radix_sort_onesweep_config_selectorIjN6thrust23THRUST_200600_302600_NS5tupleIffNS6_9null_typeES8_S8_S8_S8_S8_S8_S8_EEEEZZNS1_29radix_sort_onesweep_iterationIS3_Lb0ENS6_6detail15normal_iteratorINS6_10device_ptrIjEEEESG_NSD_INSE_IS9_EEEESI_jNS0_19identity_decomposerENS1_16block_id_wrapperIjLb1EEEEE10hipError_tT1_PNSt15iterator_traitsISN_E10value_typeET2_T3_PNSO_IST_E10value_typeET4_T5_PSY_SZ_PNS1_23onesweep_lookback_stateEbbT6_jjT7_P12ihipStream_tbENKUlT_T0_SN_SS_E_clISG_PjSI_PS9_EEDaS16_S17_SN_SS_EUlS16_E_NS1_11comp_targetILNS1_3genE8ELNS1_11target_archE1030ELNS1_3gpuE2ELNS1_3repE0EEENS1_47radix_sort_onesweep_sort_config_static_selectorELNS0_4arch9wavefront6targetE0EEEvSN_.kd
    .uniform_work_group_size: 1
    .uses_dynamic_stack: false
    .vgpr_count:     0
    .vgpr_spill_count: 0
    .wavefront_size: 32
    .workgroup_processor_mode: 1
  - .args:
      - .offset:         0
        .size:           88
        .value_kind:     by_value
    .group_segment_fixed_size: 0
    .kernarg_segment_align: 8
    .kernarg_segment_size: 88
    .language:       OpenCL C
    .language_version:
      - 2
      - 0
    .max_flat_workgroup_size: 512
    .name:           _ZN7rocprim17ROCPRIM_400000_NS6detail17trampoline_kernelINS0_14default_configENS1_35radix_sort_onesweep_config_selectorIjN6thrust23THRUST_200600_302600_NS5tupleIffNS6_9null_typeES8_S8_S8_S8_S8_S8_S8_EEEEZZNS1_29radix_sort_onesweep_iterationIS3_Lb0ENS6_6detail15normal_iteratorINS6_10device_ptrIjEEEESG_NSD_INSE_IS9_EEEESI_jNS0_19identity_decomposerENS1_16block_id_wrapperIjLb1EEEEE10hipError_tT1_PNSt15iterator_traitsISN_E10value_typeET2_T3_PNSO_IST_E10value_typeET4_T5_PSY_SZ_PNS1_23onesweep_lookback_stateEbbT6_jjT7_P12ihipStream_tbENKUlT_T0_SN_SS_E_clIPjSG_PS9_SI_EEDaS16_S17_SN_SS_EUlS16_E_NS1_11comp_targetILNS1_3genE0ELNS1_11target_archE4294967295ELNS1_3gpuE0ELNS1_3repE0EEENS1_47radix_sort_onesweep_sort_config_static_selectorELNS0_4arch9wavefront6targetE0EEEvSN_
    .private_segment_fixed_size: 0
    .sgpr_count:     0
    .sgpr_spill_count: 0
    .symbol:         _ZN7rocprim17ROCPRIM_400000_NS6detail17trampoline_kernelINS0_14default_configENS1_35radix_sort_onesweep_config_selectorIjN6thrust23THRUST_200600_302600_NS5tupleIffNS6_9null_typeES8_S8_S8_S8_S8_S8_S8_EEEEZZNS1_29radix_sort_onesweep_iterationIS3_Lb0ENS6_6detail15normal_iteratorINS6_10device_ptrIjEEEESG_NSD_INSE_IS9_EEEESI_jNS0_19identity_decomposerENS1_16block_id_wrapperIjLb1EEEEE10hipError_tT1_PNSt15iterator_traitsISN_E10value_typeET2_T3_PNSO_IST_E10value_typeET4_T5_PSY_SZ_PNS1_23onesweep_lookback_stateEbbT6_jjT7_P12ihipStream_tbENKUlT_T0_SN_SS_E_clIPjSG_PS9_SI_EEDaS16_S17_SN_SS_EUlS16_E_NS1_11comp_targetILNS1_3genE0ELNS1_11target_archE4294967295ELNS1_3gpuE0ELNS1_3repE0EEENS1_47radix_sort_onesweep_sort_config_static_selectorELNS0_4arch9wavefront6targetE0EEEvSN_.kd
    .uniform_work_group_size: 1
    .uses_dynamic_stack: false
    .vgpr_count:     0
    .vgpr_spill_count: 0
    .wavefront_size: 32
    .workgroup_processor_mode: 1
  - .args:
      - .offset:         0
        .size:           88
        .value_kind:     by_value
    .group_segment_fixed_size: 0
    .kernarg_segment_align: 8
    .kernarg_segment_size: 88
    .language:       OpenCL C
    .language_version:
      - 2
      - 0
    .max_flat_workgroup_size: 1024
    .name:           _ZN7rocprim17ROCPRIM_400000_NS6detail17trampoline_kernelINS0_14default_configENS1_35radix_sort_onesweep_config_selectorIjN6thrust23THRUST_200600_302600_NS5tupleIffNS6_9null_typeES8_S8_S8_S8_S8_S8_S8_EEEEZZNS1_29radix_sort_onesweep_iterationIS3_Lb0ENS6_6detail15normal_iteratorINS6_10device_ptrIjEEEESG_NSD_INSE_IS9_EEEESI_jNS0_19identity_decomposerENS1_16block_id_wrapperIjLb1EEEEE10hipError_tT1_PNSt15iterator_traitsISN_E10value_typeET2_T3_PNSO_IST_E10value_typeET4_T5_PSY_SZ_PNS1_23onesweep_lookback_stateEbbT6_jjT7_P12ihipStream_tbENKUlT_T0_SN_SS_E_clIPjSG_PS9_SI_EEDaS16_S17_SN_SS_EUlS16_E_NS1_11comp_targetILNS1_3genE6ELNS1_11target_archE950ELNS1_3gpuE13ELNS1_3repE0EEENS1_47radix_sort_onesweep_sort_config_static_selectorELNS0_4arch9wavefront6targetE0EEEvSN_
    .private_segment_fixed_size: 0
    .sgpr_count:     0
    .sgpr_spill_count: 0
    .symbol:         _ZN7rocprim17ROCPRIM_400000_NS6detail17trampoline_kernelINS0_14default_configENS1_35radix_sort_onesweep_config_selectorIjN6thrust23THRUST_200600_302600_NS5tupleIffNS6_9null_typeES8_S8_S8_S8_S8_S8_S8_EEEEZZNS1_29radix_sort_onesweep_iterationIS3_Lb0ENS6_6detail15normal_iteratorINS6_10device_ptrIjEEEESG_NSD_INSE_IS9_EEEESI_jNS0_19identity_decomposerENS1_16block_id_wrapperIjLb1EEEEE10hipError_tT1_PNSt15iterator_traitsISN_E10value_typeET2_T3_PNSO_IST_E10value_typeET4_T5_PSY_SZ_PNS1_23onesweep_lookback_stateEbbT6_jjT7_P12ihipStream_tbENKUlT_T0_SN_SS_E_clIPjSG_PS9_SI_EEDaS16_S17_SN_SS_EUlS16_E_NS1_11comp_targetILNS1_3genE6ELNS1_11target_archE950ELNS1_3gpuE13ELNS1_3repE0EEENS1_47radix_sort_onesweep_sort_config_static_selectorELNS0_4arch9wavefront6targetE0EEEvSN_.kd
    .uniform_work_group_size: 1
    .uses_dynamic_stack: false
    .vgpr_count:     0
    .vgpr_spill_count: 0
    .wavefront_size: 32
    .workgroup_processor_mode: 1
  - .args:
      - .offset:         0
        .size:           88
        .value_kind:     by_value
    .group_segment_fixed_size: 0
    .kernarg_segment_align: 8
    .kernarg_segment_size: 88
    .language:       OpenCL C
    .language_version:
      - 2
      - 0
    .max_flat_workgroup_size: 1024
    .name:           _ZN7rocprim17ROCPRIM_400000_NS6detail17trampoline_kernelINS0_14default_configENS1_35radix_sort_onesweep_config_selectorIjN6thrust23THRUST_200600_302600_NS5tupleIffNS6_9null_typeES8_S8_S8_S8_S8_S8_S8_EEEEZZNS1_29radix_sort_onesweep_iterationIS3_Lb0ENS6_6detail15normal_iteratorINS6_10device_ptrIjEEEESG_NSD_INSE_IS9_EEEESI_jNS0_19identity_decomposerENS1_16block_id_wrapperIjLb1EEEEE10hipError_tT1_PNSt15iterator_traitsISN_E10value_typeET2_T3_PNSO_IST_E10value_typeET4_T5_PSY_SZ_PNS1_23onesweep_lookback_stateEbbT6_jjT7_P12ihipStream_tbENKUlT_T0_SN_SS_E_clIPjSG_PS9_SI_EEDaS16_S17_SN_SS_EUlS16_E_NS1_11comp_targetILNS1_3genE5ELNS1_11target_archE942ELNS1_3gpuE9ELNS1_3repE0EEENS1_47radix_sort_onesweep_sort_config_static_selectorELNS0_4arch9wavefront6targetE0EEEvSN_
    .private_segment_fixed_size: 0
    .sgpr_count:     0
    .sgpr_spill_count: 0
    .symbol:         _ZN7rocprim17ROCPRIM_400000_NS6detail17trampoline_kernelINS0_14default_configENS1_35radix_sort_onesweep_config_selectorIjN6thrust23THRUST_200600_302600_NS5tupleIffNS6_9null_typeES8_S8_S8_S8_S8_S8_S8_EEEEZZNS1_29radix_sort_onesweep_iterationIS3_Lb0ENS6_6detail15normal_iteratorINS6_10device_ptrIjEEEESG_NSD_INSE_IS9_EEEESI_jNS0_19identity_decomposerENS1_16block_id_wrapperIjLb1EEEEE10hipError_tT1_PNSt15iterator_traitsISN_E10value_typeET2_T3_PNSO_IST_E10value_typeET4_T5_PSY_SZ_PNS1_23onesweep_lookback_stateEbbT6_jjT7_P12ihipStream_tbENKUlT_T0_SN_SS_E_clIPjSG_PS9_SI_EEDaS16_S17_SN_SS_EUlS16_E_NS1_11comp_targetILNS1_3genE5ELNS1_11target_archE942ELNS1_3gpuE9ELNS1_3repE0EEENS1_47radix_sort_onesweep_sort_config_static_selectorELNS0_4arch9wavefront6targetE0EEEvSN_.kd
    .uniform_work_group_size: 1
    .uses_dynamic_stack: false
    .vgpr_count:     0
    .vgpr_spill_count: 0
    .wavefront_size: 32
    .workgroup_processor_mode: 1
  - .args:
      - .offset:         0
        .size:           88
        .value_kind:     by_value
    .group_segment_fixed_size: 0
    .kernarg_segment_align: 8
    .kernarg_segment_size: 88
    .language:       OpenCL C
    .language_version:
      - 2
      - 0
    .max_flat_workgroup_size: 512
    .name:           _ZN7rocprim17ROCPRIM_400000_NS6detail17trampoline_kernelINS0_14default_configENS1_35radix_sort_onesweep_config_selectorIjN6thrust23THRUST_200600_302600_NS5tupleIffNS6_9null_typeES8_S8_S8_S8_S8_S8_S8_EEEEZZNS1_29radix_sort_onesweep_iterationIS3_Lb0ENS6_6detail15normal_iteratorINS6_10device_ptrIjEEEESG_NSD_INSE_IS9_EEEESI_jNS0_19identity_decomposerENS1_16block_id_wrapperIjLb1EEEEE10hipError_tT1_PNSt15iterator_traitsISN_E10value_typeET2_T3_PNSO_IST_E10value_typeET4_T5_PSY_SZ_PNS1_23onesweep_lookback_stateEbbT6_jjT7_P12ihipStream_tbENKUlT_T0_SN_SS_E_clIPjSG_PS9_SI_EEDaS16_S17_SN_SS_EUlS16_E_NS1_11comp_targetILNS1_3genE2ELNS1_11target_archE906ELNS1_3gpuE6ELNS1_3repE0EEENS1_47radix_sort_onesweep_sort_config_static_selectorELNS0_4arch9wavefront6targetE0EEEvSN_
    .private_segment_fixed_size: 0
    .sgpr_count:     0
    .sgpr_spill_count: 0
    .symbol:         _ZN7rocprim17ROCPRIM_400000_NS6detail17trampoline_kernelINS0_14default_configENS1_35radix_sort_onesweep_config_selectorIjN6thrust23THRUST_200600_302600_NS5tupleIffNS6_9null_typeES8_S8_S8_S8_S8_S8_S8_EEEEZZNS1_29radix_sort_onesweep_iterationIS3_Lb0ENS6_6detail15normal_iteratorINS6_10device_ptrIjEEEESG_NSD_INSE_IS9_EEEESI_jNS0_19identity_decomposerENS1_16block_id_wrapperIjLb1EEEEE10hipError_tT1_PNSt15iterator_traitsISN_E10value_typeET2_T3_PNSO_IST_E10value_typeET4_T5_PSY_SZ_PNS1_23onesweep_lookback_stateEbbT6_jjT7_P12ihipStream_tbENKUlT_T0_SN_SS_E_clIPjSG_PS9_SI_EEDaS16_S17_SN_SS_EUlS16_E_NS1_11comp_targetILNS1_3genE2ELNS1_11target_archE906ELNS1_3gpuE6ELNS1_3repE0EEENS1_47radix_sort_onesweep_sort_config_static_selectorELNS0_4arch9wavefront6targetE0EEEvSN_.kd
    .uniform_work_group_size: 1
    .uses_dynamic_stack: false
    .vgpr_count:     0
    .vgpr_spill_count: 0
    .wavefront_size: 32
    .workgroup_processor_mode: 1
  - .args:
      - .offset:         0
        .size:           88
        .value_kind:     by_value
    .group_segment_fixed_size: 0
    .kernarg_segment_align: 8
    .kernarg_segment_size: 88
    .language:       OpenCL C
    .language_version:
      - 2
      - 0
    .max_flat_workgroup_size: 512
    .name:           _ZN7rocprim17ROCPRIM_400000_NS6detail17trampoline_kernelINS0_14default_configENS1_35radix_sort_onesweep_config_selectorIjN6thrust23THRUST_200600_302600_NS5tupleIffNS6_9null_typeES8_S8_S8_S8_S8_S8_S8_EEEEZZNS1_29radix_sort_onesweep_iterationIS3_Lb0ENS6_6detail15normal_iteratorINS6_10device_ptrIjEEEESG_NSD_INSE_IS9_EEEESI_jNS0_19identity_decomposerENS1_16block_id_wrapperIjLb1EEEEE10hipError_tT1_PNSt15iterator_traitsISN_E10value_typeET2_T3_PNSO_IST_E10value_typeET4_T5_PSY_SZ_PNS1_23onesweep_lookback_stateEbbT6_jjT7_P12ihipStream_tbENKUlT_T0_SN_SS_E_clIPjSG_PS9_SI_EEDaS16_S17_SN_SS_EUlS16_E_NS1_11comp_targetILNS1_3genE4ELNS1_11target_archE910ELNS1_3gpuE8ELNS1_3repE0EEENS1_47radix_sort_onesweep_sort_config_static_selectorELNS0_4arch9wavefront6targetE0EEEvSN_
    .private_segment_fixed_size: 0
    .sgpr_count:     0
    .sgpr_spill_count: 0
    .symbol:         _ZN7rocprim17ROCPRIM_400000_NS6detail17trampoline_kernelINS0_14default_configENS1_35radix_sort_onesweep_config_selectorIjN6thrust23THRUST_200600_302600_NS5tupleIffNS6_9null_typeES8_S8_S8_S8_S8_S8_S8_EEEEZZNS1_29radix_sort_onesweep_iterationIS3_Lb0ENS6_6detail15normal_iteratorINS6_10device_ptrIjEEEESG_NSD_INSE_IS9_EEEESI_jNS0_19identity_decomposerENS1_16block_id_wrapperIjLb1EEEEE10hipError_tT1_PNSt15iterator_traitsISN_E10value_typeET2_T3_PNSO_IST_E10value_typeET4_T5_PSY_SZ_PNS1_23onesweep_lookback_stateEbbT6_jjT7_P12ihipStream_tbENKUlT_T0_SN_SS_E_clIPjSG_PS9_SI_EEDaS16_S17_SN_SS_EUlS16_E_NS1_11comp_targetILNS1_3genE4ELNS1_11target_archE910ELNS1_3gpuE8ELNS1_3repE0EEENS1_47radix_sort_onesweep_sort_config_static_selectorELNS0_4arch9wavefront6targetE0EEEvSN_.kd
    .uniform_work_group_size: 1
    .uses_dynamic_stack: false
    .vgpr_count:     0
    .vgpr_spill_count: 0
    .wavefront_size: 32
    .workgroup_processor_mode: 1
  - .args:
      - .offset:         0
        .size:           88
        .value_kind:     by_value
    .group_segment_fixed_size: 0
    .kernarg_segment_align: 8
    .kernarg_segment_size: 88
    .language:       OpenCL C
    .language_version:
      - 2
      - 0
    .max_flat_workgroup_size: 512
    .name:           _ZN7rocprim17ROCPRIM_400000_NS6detail17trampoline_kernelINS0_14default_configENS1_35radix_sort_onesweep_config_selectorIjN6thrust23THRUST_200600_302600_NS5tupleIffNS6_9null_typeES8_S8_S8_S8_S8_S8_S8_EEEEZZNS1_29radix_sort_onesweep_iterationIS3_Lb0ENS6_6detail15normal_iteratorINS6_10device_ptrIjEEEESG_NSD_INSE_IS9_EEEESI_jNS0_19identity_decomposerENS1_16block_id_wrapperIjLb1EEEEE10hipError_tT1_PNSt15iterator_traitsISN_E10value_typeET2_T3_PNSO_IST_E10value_typeET4_T5_PSY_SZ_PNS1_23onesweep_lookback_stateEbbT6_jjT7_P12ihipStream_tbENKUlT_T0_SN_SS_E_clIPjSG_PS9_SI_EEDaS16_S17_SN_SS_EUlS16_E_NS1_11comp_targetILNS1_3genE3ELNS1_11target_archE908ELNS1_3gpuE7ELNS1_3repE0EEENS1_47radix_sort_onesweep_sort_config_static_selectorELNS0_4arch9wavefront6targetE0EEEvSN_
    .private_segment_fixed_size: 0
    .sgpr_count:     0
    .sgpr_spill_count: 0
    .symbol:         _ZN7rocprim17ROCPRIM_400000_NS6detail17trampoline_kernelINS0_14default_configENS1_35radix_sort_onesweep_config_selectorIjN6thrust23THRUST_200600_302600_NS5tupleIffNS6_9null_typeES8_S8_S8_S8_S8_S8_S8_EEEEZZNS1_29radix_sort_onesweep_iterationIS3_Lb0ENS6_6detail15normal_iteratorINS6_10device_ptrIjEEEESG_NSD_INSE_IS9_EEEESI_jNS0_19identity_decomposerENS1_16block_id_wrapperIjLb1EEEEE10hipError_tT1_PNSt15iterator_traitsISN_E10value_typeET2_T3_PNSO_IST_E10value_typeET4_T5_PSY_SZ_PNS1_23onesweep_lookback_stateEbbT6_jjT7_P12ihipStream_tbENKUlT_T0_SN_SS_E_clIPjSG_PS9_SI_EEDaS16_S17_SN_SS_EUlS16_E_NS1_11comp_targetILNS1_3genE3ELNS1_11target_archE908ELNS1_3gpuE7ELNS1_3repE0EEENS1_47radix_sort_onesweep_sort_config_static_selectorELNS0_4arch9wavefront6targetE0EEEvSN_.kd
    .uniform_work_group_size: 1
    .uses_dynamic_stack: false
    .vgpr_count:     0
    .vgpr_spill_count: 0
    .wavefront_size: 32
    .workgroup_processor_mode: 1
  - .args:
      - .offset:         0
        .size:           88
        .value_kind:     by_value
      - .offset:         88
        .size:           4
        .value_kind:     hidden_block_count_x
      - .offset:         92
        .size:           4
        .value_kind:     hidden_block_count_y
      - .offset:         96
        .size:           4
        .value_kind:     hidden_block_count_z
      - .offset:         100
        .size:           2
        .value_kind:     hidden_group_size_x
      - .offset:         102
        .size:           2
        .value_kind:     hidden_group_size_y
      - .offset:         104
        .size:           2
        .value_kind:     hidden_group_size_z
      - .offset:         106
        .size:           2
        .value_kind:     hidden_remainder_x
      - .offset:         108
        .size:           2
        .value_kind:     hidden_remainder_y
      - .offset:         110
        .size:           2
        .value_kind:     hidden_remainder_z
      - .offset:         128
        .size:           8
        .value_kind:     hidden_global_offset_x
      - .offset:         136
        .size:           8
        .value_kind:     hidden_global_offset_y
      - .offset:         144
        .size:           8
        .value_kind:     hidden_global_offset_z
      - .offset:         152
        .size:           2
        .value_kind:     hidden_grid_dims
    .group_segment_fixed_size: 37000
    .kernarg_segment_align: 8
    .kernarg_segment_size: 344
    .language:       OpenCL C
    .language_version:
      - 2
      - 0
    .max_flat_workgroup_size: 1024
    .name:           _ZN7rocprim17ROCPRIM_400000_NS6detail17trampoline_kernelINS0_14default_configENS1_35radix_sort_onesweep_config_selectorIjN6thrust23THRUST_200600_302600_NS5tupleIffNS6_9null_typeES8_S8_S8_S8_S8_S8_S8_EEEEZZNS1_29radix_sort_onesweep_iterationIS3_Lb0ENS6_6detail15normal_iteratorINS6_10device_ptrIjEEEESG_NSD_INSE_IS9_EEEESI_jNS0_19identity_decomposerENS1_16block_id_wrapperIjLb1EEEEE10hipError_tT1_PNSt15iterator_traitsISN_E10value_typeET2_T3_PNSO_IST_E10value_typeET4_T5_PSY_SZ_PNS1_23onesweep_lookback_stateEbbT6_jjT7_P12ihipStream_tbENKUlT_T0_SN_SS_E_clIPjSG_PS9_SI_EEDaS16_S17_SN_SS_EUlS16_E_NS1_11comp_targetILNS1_3genE10ELNS1_11target_archE1201ELNS1_3gpuE5ELNS1_3repE0EEENS1_47radix_sort_onesweep_sort_config_static_selectorELNS0_4arch9wavefront6targetE0EEEvSN_
    .private_segment_fixed_size: 80
    .sgpr_count:     53
    .sgpr_spill_count: 0
    .symbol:         _ZN7rocprim17ROCPRIM_400000_NS6detail17trampoline_kernelINS0_14default_configENS1_35radix_sort_onesweep_config_selectorIjN6thrust23THRUST_200600_302600_NS5tupleIffNS6_9null_typeES8_S8_S8_S8_S8_S8_S8_EEEEZZNS1_29radix_sort_onesweep_iterationIS3_Lb0ENS6_6detail15normal_iteratorINS6_10device_ptrIjEEEESG_NSD_INSE_IS9_EEEESI_jNS0_19identity_decomposerENS1_16block_id_wrapperIjLb1EEEEE10hipError_tT1_PNSt15iterator_traitsISN_E10value_typeET2_T3_PNSO_IST_E10value_typeET4_T5_PSY_SZ_PNS1_23onesweep_lookback_stateEbbT6_jjT7_P12ihipStream_tbENKUlT_T0_SN_SS_E_clIPjSG_PS9_SI_EEDaS16_S17_SN_SS_EUlS16_E_NS1_11comp_targetILNS1_3genE10ELNS1_11target_archE1201ELNS1_3gpuE5ELNS1_3repE0EEENS1_47radix_sort_onesweep_sort_config_static_selectorELNS0_4arch9wavefront6targetE0EEEvSN_.kd
    .uniform_work_group_size: 1
    .uses_dynamic_stack: false
    .vgpr_count:     82
    .vgpr_spill_count: 0
    .wavefront_size: 32
    .workgroup_processor_mode: 1
  - .args:
      - .offset:         0
        .size:           88
        .value_kind:     by_value
    .group_segment_fixed_size: 0
    .kernarg_segment_align: 8
    .kernarg_segment_size: 88
    .language:       OpenCL C
    .language_version:
      - 2
      - 0
    .max_flat_workgroup_size: 1024
    .name:           _ZN7rocprim17ROCPRIM_400000_NS6detail17trampoline_kernelINS0_14default_configENS1_35radix_sort_onesweep_config_selectorIjN6thrust23THRUST_200600_302600_NS5tupleIffNS6_9null_typeES8_S8_S8_S8_S8_S8_S8_EEEEZZNS1_29radix_sort_onesweep_iterationIS3_Lb0ENS6_6detail15normal_iteratorINS6_10device_ptrIjEEEESG_NSD_INSE_IS9_EEEESI_jNS0_19identity_decomposerENS1_16block_id_wrapperIjLb1EEEEE10hipError_tT1_PNSt15iterator_traitsISN_E10value_typeET2_T3_PNSO_IST_E10value_typeET4_T5_PSY_SZ_PNS1_23onesweep_lookback_stateEbbT6_jjT7_P12ihipStream_tbENKUlT_T0_SN_SS_E_clIPjSG_PS9_SI_EEDaS16_S17_SN_SS_EUlS16_E_NS1_11comp_targetILNS1_3genE9ELNS1_11target_archE1100ELNS1_3gpuE3ELNS1_3repE0EEENS1_47radix_sort_onesweep_sort_config_static_selectorELNS0_4arch9wavefront6targetE0EEEvSN_
    .private_segment_fixed_size: 0
    .sgpr_count:     0
    .sgpr_spill_count: 0
    .symbol:         _ZN7rocprim17ROCPRIM_400000_NS6detail17trampoline_kernelINS0_14default_configENS1_35radix_sort_onesweep_config_selectorIjN6thrust23THRUST_200600_302600_NS5tupleIffNS6_9null_typeES8_S8_S8_S8_S8_S8_S8_EEEEZZNS1_29radix_sort_onesweep_iterationIS3_Lb0ENS6_6detail15normal_iteratorINS6_10device_ptrIjEEEESG_NSD_INSE_IS9_EEEESI_jNS0_19identity_decomposerENS1_16block_id_wrapperIjLb1EEEEE10hipError_tT1_PNSt15iterator_traitsISN_E10value_typeET2_T3_PNSO_IST_E10value_typeET4_T5_PSY_SZ_PNS1_23onesweep_lookback_stateEbbT6_jjT7_P12ihipStream_tbENKUlT_T0_SN_SS_E_clIPjSG_PS9_SI_EEDaS16_S17_SN_SS_EUlS16_E_NS1_11comp_targetILNS1_3genE9ELNS1_11target_archE1100ELNS1_3gpuE3ELNS1_3repE0EEENS1_47radix_sort_onesweep_sort_config_static_selectorELNS0_4arch9wavefront6targetE0EEEvSN_.kd
    .uniform_work_group_size: 1
    .uses_dynamic_stack: false
    .vgpr_count:     0
    .vgpr_spill_count: 0
    .wavefront_size: 32
    .workgroup_processor_mode: 1
  - .args:
      - .offset:         0
        .size:           88
        .value_kind:     by_value
    .group_segment_fixed_size: 0
    .kernarg_segment_align: 8
    .kernarg_segment_size: 88
    .language:       OpenCL C
    .language_version:
      - 2
      - 0
    .max_flat_workgroup_size: 1024
    .name:           _ZN7rocprim17ROCPRIM_400000_NS6detail17trampoline_kernelINS0_14default_configENS1_35radix_sort_onesweep_config_selectorIjN6thrust23THRUST_200600_302600_NS5tupleIffNS6_9null_typeES8_S8_S8_S8_S8_S8_S8_EEEEZZNS1_29radix_sort_onesweep_iterationIS3_Lb0ENS6_6detail15normal_iteratorINS6_10device_ptrIjEEEESG_NSD_INSE_IS9_EEEESI_jNS0_19identity_decomposerENS1_16block_id_wrapperIjLb1EEEEE10hipError_tT1_PNSt15iterator_traitsISN_E10value_typeET2_T3_PNSO_IST_E10value_typeET4_T5_PSY_SZ_PNS1_23onesweep_lookback_stateEbbT6_jjT7_P12ihipStream_tbENKUlT_T0_SN_SS_E_clIPjSG_PS9_SI_EEDaS16_S17_SN_SS_EUlS16_E_NS1_11comp_targetILNS1_3genE8ELNS1_11target_archE1030ELNS1_3gpuE2ELNS1_3repE0EEENS1_47radix_sort_onesweep_sort_config_static_selectorELNS0_4arch9wavefront6targetE0EEEvSN_
    .private_segment_fixed_size: 0
    .sgpr_count:     0
    .sgpr_spill_count: 0
    .symbol:         _ZN7rocprim17ROCPRIM_400000_NS6detail17trampoline_kernelINS0_14default_configENS1_35radix_sort_onesweep_config_selectorIjN6thrust23THRUST_200600_302600_NS5tupleIffNS6_9null_typeES8_S8_S8_S8_S8_S8_S8_EEEEZZNS1_29radix_sort_onesweep_iterationIS3_Lb0ENS6_6detail15normal_iteratorINS6_10device_ptrIjEEEESG_NSD_INSE_IS9_EEEESI_jNS0_19identity_decomposerENS1_16block_id_wrapperIjLb1EEEEE10hipError_tT1_PNSt15iterator_traitsISN_E10value_typeET2_T3_PNSO_IST_E10value_typeET4_T5_PSY_SZ_PNS1_23onesweep_lookback_stateEbbT6_jjT7_P12ihipStream_tbENKUlT_T0_SN_SS_E_clIPjSG_PS9_SI_EEDaS16_S17_SN_SS_EUlS16_E_NS1_11comp_targetILNS1_3genE8ELNS1_11target_archE1030ELNS1_3gpuE2ELNS1_3repE0EEENS1_47radix_sort_onesweep_sort_config_static_selectorELNS0_4arch9wavefront6targetE0EEEvSN_.kd
    .uniform_work_group_size: 1
    .uses_dynamic_stack: false
    .vgpr_count:     0
    .vgpr_spill_count: 0
    .wavefront_size: 32
    .workgroup_processor_mode: 1
  - .args:
      - .offset:         0
        .size:           88
        .value_kind:     by_value
    .group_segment_fixed_size: 0
    .kernarg_segment_align: 8
    .kernarg_segment_size: 88
    .language:       OpenCL C
    .language_version:
      - 2
      - 0
    .max_flat_workgroup_size: 512
    .name:           _ZN7rocprim17ROCPRIM_400000_NS6detail17trampoline_kernelINS0_14default_configENS1_35radix_sort_onesweep_config_selectorIjN6thrust23THRUST_200600_302600_NS5tupleIffNS6_9null_typeES8_S8_S8_S8_S8_S8_S8_EEEEZZNS1_29radix_sort_onesweep_iterationIS3_Lb0ENS6_6detail15normal_iteratorINS6_10device_ptrIjEEEESG_NSD_INSE_IS9_EEEESI_jNS0_19identity_decomposerENS1_16block_id_wrapperIjLb0EEEEE10hipError_tT1_PNSt15iterator_traitsISN_E10value_typeET2_T3_PNSO_IST_E10value_typeET4_T5_PSY_SZ_PNS1_23onesweep_lookback_stateEbbT6_jjT7_P12ihipStream_tbENKUlT_T0_SN_SS_E_clISG_SG_SI_SI_EEDaS16_S17_SN_SS_EUlS16_E_NS1_11comp_targetILNS1_3genE0ELNS1_11target_archE4294967295ELNS1_3gpuE0ELNS1_3repE0EEENS1_47radix_sort_onesweep_sort_config_static_selectorELNS0_4arch9wavefront6targetE0EEEvSN_
    .private_segment_fixed_size: 0
    .sgpr_count:     0
    .sgpr_spill_count: 0
    .symbol:         _ZN7rocprim17ROCPRIM_400000_NS6detail17trampoline_kernelINS0_14default_configENS1_35radix_sort_onesweep_config_selectorIjN6thrust23THRUST_200600_302600_NS5tupleIffNS6_9null_typeES8_S8_S8_S8_S8_S8_S8_EEEEZZNS1_29radix_sort_onesweep_iterationIS3_Lb0ENS6_6detail15normal_iteratorINS6_10device_ptrIjEEEESG_NSD_INSE_IS9_EEEESI_jNS0_19identity_decomposerENS1_16block_id_wrapperIjLb0EEEEE10hipError_tT1_PNSt15iterator_traitsISN_E10value_typeET2_T3_PNSO_IST_E10value_typeET4_T5_PSY_SZ_PNS1_23onesweep_lookback_stateEbbT6_jjT7_P12ihipStream_tbENKUlT_T0_SN_SS_E_clISG_SG_SI_SI_EEDaS16_S17_SN_SS_EUlS16_E_NS1_11comp_targetILNS1_3genE0ELNS1_11target_archE4294967295ELNS1_3gpuE0ELNS1_3repE0EEENS1_47radix_sort_onesweep_sort_config_static_selectorELNS0_4arch9wavefront6targetE0EEEvSN_.kd
    .uniform_work_group_size: 1
    .uses_dynamic_stack: false
    .vgpr_count:     0
    .vgpr_spill_count: 0
    .wavefront_size: 32
    .workgroup_processor_mode: 1
  - .args:
      - .offset:         0
        .size:           88
        .value_kind:     by_value
    .group_segment_fixed_size: 0
    .kernarg_segment_align: 8
    .kernarg_segment_size: 88
    .language:       OpenCL C
    .language_version:
      - 2
      - 0
    .max_flat_workgroup_size: 1024
    .name:           _ZN7rocprim17ROCPRIM_400000_NS6detail17trampoline_kernelINS0_14default_configENS1_35radix_sort_onesweep_config_selectorIjN6thrust23THRUST_200600_302600_NS5tupleIffNS6_9null_typeES8_S8_S8_S8_S8_S8_S8_EEEEZZNS1_29radix_sort_onesweep_iterationIS3_Lb0ENS6_6detail15normal_iteratorINS6_10device_ptrIjEEEESG_NSD_INSE_IS9_EEEESI_jNS0_19identity_decomposerENS1_16block_id_wrapperIjLb0EEEEE10hipError_tT1_PNSt15iterator_traitsISN_E10value_typeET2_T3_PNSO_IST_E10value_typeET4_T5_PSY_SZ_PNS1_23onesweep_lookback_stateEbbT6_jjT7_P12ihipStream_tbENKUlT_T0_SN_SS_E_clISG_SG_SI_SI_EEDaS16_S17_SN_SS_EUlS16_E_NS1_11comp_targetILNS1_3genE6ELNS1_11target_archE950ELNS1_3gpuE13ELNS1_3repE0EEENS1_47radix_sort_onesweep_sort_config_static_selectorELNS0_4arch9wavefront6targetE0EEEvSN_
    .private_segment_fixed_size: 0
    .sgpr_count:     0
    .sgpr_spill_count: 0
    .symbol:         _ZN7rocprim17ROCPRIM_400000_NS6detail17trampoline_kernelINS0_14default_configENS1_35radix_sort_onesweep_config_selectorIjN6thrust23THRUST_200600_302600_NS5tupleIffNS6_9null_typeES8_S8_S8_S8_S8_S8_S8_EEEEZZNS1_29radix_sort_onesweep_iterationIS3_Lb0ENS6_6detail15normal_iteratorINS6_10device_ptrIjEEEESG_NSD_INSE_IS9_EEEESI_jNS0_19identity_decomposerENS1_16block_id_wrapperIjLb0EEEEE10hipError_tT1_PNSt15iterator_traitsISN_E10value_typeET2_T3_PNSO_IST_E10value_typeET4_T5_PSY_SZ_PNS1_23onesweep_lookback_stateEbbT6_jjT7_P12ihipStream_tbENKUlT_T0_SN_SS_E_clISG_SG_SI_SI_EEDaS16_S17_SN_SS_EUlS16_E_NS1_11comp_targetILNS1_3genE6ELNS1_11target_archE950ELNS1_3gpuE13ELNS1_3repE0EEENS1_47radix_sort_onesweep_sort_config_static_selectorELNS0_4arch9wavefront6targetE0EEEvSN_.kd
    .uniform_work_group_size: 1
    .uses_dynamic_stack: false
    .vgpr_count:     0
    .vgpr_spill_count: 0
    .wavefront_size: 32
    .workgroup_processor_mode: 1
  - .args:
      - .offset:         0
        .size:           88
        .value_kind:     by_value
    .group_segment_fixed_size: 0
    .kernarg_segment_align: 8
    .kernarg_segment_size: 88
    .language:       OpenCL C
    .language_version:
      - 2
      - 0
    .max_flat_workgroup_size: 1024
    .name:           _ZN7rocprim17ROCPRIM_400000_NS6detail17trampoline_kernelINS0_14default_configENS1_35radix_sort_onesweep_config_selectorIjN6thrust23THRUST_200600_302600_NS5tupleIffNS6_9null_typeES8_S8_S8_S8_S8_S8_S8_EEEEZZNS1_29radix_sort_onesweep_iterationIS3_Lb0ENS6_6detail15normal_iteratorINS6_10device_ptrIjEEEESG_NSD_INSE_IS9_EEEESI_jNS0_19identity_decomposerENS1_16block_id_wrapperIjLb0EEEEE10hipError_tT1_PNSt15iterator_traitsISN_E10value_typeET2_T3_PNSO_IST_E10value_typeET4_T5_PSY_SZ_PNS1_23onesweep_lookback_stateEbbT6_jjT7_P12ihipStream_tbENKUlT_T0_SN_SS_E_clISG_SG_SI_SI_EEDaS16_S17_SN_SS_EUlS16_E_NS1_11comp_targetILNS1_3genE5ELNS1_11target_archE942ELNS1_3gpuE9ELNS1_3repE0EEENS1_47radix_sort_onesweep_sort_config_static_selectorELNS0_4arch9wavefront6targetE0EEEvSN_
    .private_segment_fixed_size: 0
    .sgpr_count:     0
    .sgpr_spill_count: 0
    .symbol:         _ZN7rocprim17ROCPRIM_400000_NS6detail17trampoline_kernelINS0_14default_configENS1_35radix_sort_onesweep_config_selectorIjN6thrust23THRUST_200600_302600_NS5tupleIffNS6_9null_typeES8_S8_S8_S8_S8_S8_S8_EEEEZZNS1_29radix_sort_onesweep_iterationIS3_Lb0ENS6_6detail15normal_iteratorINS6_10device_ptrIjEEEESG_NSD_INSE_IS9_EEEESI_jNS0_19identity_decomposerENS1_16block_id_wrapperIjLb0EEEEE10hipError_tT1_PNSt15iterator_traitsISN_E10value_typeET2_T3_PNSO_IST_E10value_typeET4_T5_PSY_SZ_PNS1_23onesweep_lookback_stateEbbT6_jjT7_P12ihipStream_tbENKUlT_T0_SN_SS_E_clISG_SG_SI_SI_EEDaS16_S17_SN_SS_EUlS16_E_NS1_11comp_targetILNS1_3genE5ELNS1_11target_archE942ELNS1_3gpuE9ELNS1_3repE0EEENS1_47radix_sort_onesweep_sort_config_static_selectorELNS0_4arch9wavefront6targetE0EEEvSN_.kd
    .uniform_work_group_size: 1
    .uses_dynamic_stack: false
    .vgpr_count:     0
    .vgpr_spill_count: 0
    .wavefront_size: 32
    .workgroup_processor_mode: 1
  - .args:
      - .offset:         0
        .size:           88
        .value_kind:     by_value
    .group_segment_fixed_size: 0
    .kernarg_segment_align: 8
    .kernarg_segment_size: 88
    .language:       OpenCL C
    .language_version:
      - 2
      - 0
    .max_flat_workgroup_size: 512
    .name:           _ZN7rocprim17ROCPRIM_400000_NS6detail17trampoline_kernelINS0_14default_configENS1_35radix_sort_onesweep_config_selectorIjN6thrust23THRUST_200600_302600_NS5tupleIffNS6_9null_typeES8_S8_S8_S8_S8_S8_S8_EEEEZZNS1_29radix_sort_onesweep_iterationIS3_Lb0ENS6_6detail15normal_iteratorINS6_10device_ptrIjEEEESG_NSD_INSE_IS9_EEEESI_jNS0_19identity_decomposerENS1_16block_id_wrapperIjLb0EEEEE10hipError_tT1_PNSt15iterator_traitsISN_E10value_typeET2_T3_PNSO_IST_E10value_typeET4_T5_PSY_SZ_PNS1_23onesweep_lookback_stateEbbT6_jjT7_P12ihipStream_tbENKUlT_T0_SN_SS_E_clISG_SG_SI_SI_EEDaS16_S17_SN_SS_EUlS16_E_NS1_11comp_targetILNS1_3genE2ELNS1_11target_archE906ELNS1_3gpuE6ELNS1_3repE0EEENS1_47radix_sort_onesweep_sort_config_static_selectorELNS0_4arch9wavefront6targetE0EEEvSN_
    .private_segment_fixed_size: 0
    .sgpr_count:     0
    .sgpr_spill_count: 0
    .symbol:         _ZN7rocprim17ROCPRIM_400000_NS6detail17trampoline_kernelINS0_14default_configENS1_35radix_sort_onesweep_config_selectorIjN6thrust23THRUST_200600_302600_NS5tupleIffNS6_9null_typeES8_S8_S8_S8_S8_S8_S8_EEEEZZNS1_29radix_sort_onesweep_iterationIS3_Lb0ENS6_6detail15normal_iteratorINS6_10device_ptrIjEEEESG_NSD_INSE_IS9_EEEESI_jNS0_19identity_decomposerENS1_16block_id_wrapperIjLb0EEEEE10hipError_tT1_PNSt15iterator_traitsISN_E10value_typeET2_T3_PNSO_IST_E10value_typeET4_T5_PSY_SZ_PNS1_23onesweep_lookback_stateEbbT6_jjT7_P12ihipStream_tbENKUlT_T0_SN_SS_E_clISG_SG_SI_SI_EEDaS16_S17_SN_SS_EUlS16_E_NS1_11comp_targetILNS1_3genE2ELNS1_11target_archE906ELNS1_3gpuE6ELNS1_3repE0EEENS1_47radix_sort_onesweep_sort_config_static_selectorELNS0_4arch9wavefront6targetE0EEEvSN_.kd
    .uniform_work_group_size: 1
    .uses_dynamic_stack: false
    .vgpr_count:     0
    .vgpr_spill_count: 0
    .wavefront_size: 32
    .workgroup_processor_mode: 1
  - .args:
      - .offset:         0
        .size:           88
        .value_kind:     by_value
    .group_segment_fixed_size: 0
    .kernarg_segment_align: 8
    .kernarg_segment_size: 88
    .language:       OpenCL C
    .language_version:
      - 2
      - 0
    .max_flat_workgroup_size: 512
    .name:           _ZN7rocprim17ROCPRIM_400000_NS6detail17trampoline_kernelINS0_14default_configENS1_35radix_sort_onesweep_config_selectorIjN6thrust23THRUST_200600_302600_NS5tupleIffNS6_9null_typeES8_S8_S8_S8_S8_S8_S8_EEEEZZNS1_29radix_sort_onesweep_iterationIS3_Lb0ENS6_6detail15normal_iteratorINS6_10device_ptrIjEEEESG_NSD_INSE_IS9_EEEESI_jNS0_19identity_decomposerENS1_16block_id_wrapperIjLb0EEEEE10hipError_tT1_PNSt15iterator_traitsISN_E10value_typeET2_T3_PNSO_IST_E10value_typeET4_T5_PSY_SZ_PNS1_23onesweep_lookback_stateEbbT6_jjT7_P12ihipStream_tbENKUlT_T0_SN_SS_E_clISG_SG_SI_SI_EEDaS16_S17_SN_SS_EUlS16_E_NS1_11comp_targetILNS1_3genE4ELNS1_11target_archE910ELNS1_3gpuE8ELNS1_3repE0EEENS1_47radix_sort_onesweep_sort_config_static_selectorELNS0_4arch9wavefront6targetE0EEEvSN_
    .private_segment_fixed_size: 0
    .sgpr_count:     0
    .sgpr_spill_count: 0
    .symbol:         _ZN7rocprim17ROCPRIM_400000_NS6detail17trampoline_kernelINS0_14default_configENS1_35radix_sort_onesweep_config_selectorIjN6thrust23THRUST_200600_302600_NS5tupleIffNS6_9null_typeES8_S8_S8_S8_S8_S8_S8_EEEEZZNS1_29radix_sort_onesweep_iterationIS3_Lb0ENS6_6detail15normal_iteratorINS6_10device_ptrIjEEEESG_NSD_INSE_IS9_EEEESI_jNS0_19identity_decomposerENS1_16block_id_wrapperIjLb0EEEEE10hipError_tT1_PNSt15iterator_traitsISN_E10value_typeET2_T3_PNSO_IST_E10value_typeET4_T5_PSY_SZ_PNS1_23onesweep_lookback_stateEbbT6_jjT7_P12ihipStream_tbENKUlT_T0_SN_SS_E_clISG_SG_SI_SI_EEDaS16_S17_SN_SS_EUlS16_E_NS1_11comp_targetILNS1_3genE4ELNS1_11target_archE910ELNS1_3gpuE8ELNS1_3repE0EEENS1_47radix_sort_onesweep_sort_config_static_selectorELNS0_4arch9wavefront6targetE0EEEvSN_.kd
    .uniform_work_group_size: 1
    .uses_dynamic_stack: false
    .vgpr_count:     0
    .vgpr_spill_count: 0
    .wavefront_size: 32
    .workgroup_processor_mode: 1
  - .args:
      - .offset:         0
        .size:           88
        .value_kind:     by_value
    .group_segment_fixed_size: 0
    .kernarg_segment_align: 8
    .kernarg_segment_size: 88
    .language:       OpenCL C
    .language_version:
      - 2
      - 0
    .max_flat_workgroup_size: 512
    .name:           _ZN7rocprim17ROCPRIM_400000_NS6detail17trampoline_kernelINS0_14default_configENS1_35radix_sort_onesweep_config_selectorIjN6thrust23THRUST_200600_302600_NS5tupleIffNS6_9null_typeES8_S8_S8_S8_S8_S8_S8_EEEEZZNS1_29radix_sort_onesweep_iterationIS3_Lb0ENS6_6detail15normal_iteratorINS6_10device_ptrIjEEEESG_NSD_INSE_IS9_EEEESI_jNS0_19identity_decomposerENS1_16block_id_wrapperIjLb0EEEEE10hipError_tT1_PNSt15iterator_traitsISN_E10value_typeET2_T3_PNSO_IST_E10value_typeET4_T5_PSY_SZ_PNS1_23onesweep_lookback_stateEbbT6_jjT7_P12ihipStream_tbENKUlT_T0_SN_SS_E_clISG_SG_SI_SI_EEDaS16_S17_SN_SS_EUlS16_E_NS1_11comp_targetILNS1_3genE3ELNS1_11target_archE908ELNS1_3gpuE7ELNS1_3repE0EEENS1_47radix_sort_onesweep_sort_config_static_selectorELNS0_4arch9wavefront6targetE0EEEvSN_
    .private_segment_fixed_size: 0
    .sgpr_count:     0
    .sgpr_spill_count: 0
    .symbol:         _ZN7rocprim17ROCPRIM_400000_NS6detail17trampoline_kernelINS0_14default_configENS1_35radix_sort_onesweep_config_selectorIjN6thrust23THRUST_200600_302600_NS5tupleIffNS6_9null_typeES8_S8_S8_S8_S8_S8_S8_EEEEZZNS1_29radix_sort_onesweep_iterationIS3_Lb0ENS6_6detail15normal_iteratorINS6_10device_ptrIjEEEESG_NSD_INSE_IS9_EEEESI_jNS0_19identity_decomposerENS1_16block_id_wrapperIjLb0EEEEE10hipError_tT1_PNSt15iterator_traitsISN_E10value_typeET2_T3_PNSO_IST_E10value_typeET4_T5_PSY_SZ_PNS1_23onesweep_lookback_stateEbbT6_jjT7_P12ihipStream_tbENKUlT_T0_SN_SS_E_clISG_SG_SI_SI_EEDaS16_S17_SN_SS_EUlS16_E_NS1_11comp_targetILNS1_3genE3ELNS1_11target_archE908ELNS1_3gpuE7ELNS1_3repE0EEENS1_47radix_sort_onesweep_sort_config_static_selectorELNS0_4arch9wavefront6targetE0EEEvSN_.kd
    .uniform_work_group_size: 1
    .uses_dynamic_stack: false
    .vgpr_count:     0
    .vgpr_spill_count: 0
    .wavefront_size: 32
    .workgroup_processor_mode: 1
  - .args:
      - .offset:         0
        .size:           88
        .value_kind:     by_value
      - .offset:         88
        .size:           4
        .value_kind:     hidden_block_count_x
      - .offset:         92
        .size:           4
        .value_kind:     hidden_block_count_y
      - .offset:         96
        .size:           4
        .value_kind:     hidden_block_count_z
      - .offset:         100
        .size:           2
        .value_kind:     hidden_group_size_x
      - .offset:         102
        .size:           2
        .value_kind:     hidden_group_size_y
      - .offset:         104
        .size:           2
        .value_kind:     hidden_group_size_z
      - .offset:         106
        .size:           2
        .value_kind:     hidden_remainder_x
      - .offset:         108
        .size:           2
        .value_kind:     hidden_remainder_y
      - .offset:         110
        .size:           2
        .value_kind:     hidden_remainder_z
      - .offset:         128
        .size:           8
        .value_kind:     hidden_global_offset_x
      - .offset:         136
        .size:           8
        .value_kind:     hidden_global_offset_y
      - .offset:         144
        .size:           8
        .value_kind:     hidden_global_offset_z
      - .offset:         152
        .size:           2
        .value_kind:     hidden_grid_dims
    .group_segment_fixed_size: 37000
    .kernarg_segment_align: 8
    .kernarg_segment_size: 344
    .language:       OpenCL C
    .language_version:
      - 2
      - 0
    .max_flat_workgroup_size: 1024
    .name:           _ZN7rocprim17ROCPRIM_400000_NS6detail17trampoline_kernelINS0_14default_configENS1_35radix_sort_onesweep_config_selectorIjN6thrust23THRUST_200600_302600_NS5tupleIffNS6_9null_typeES8_S8_S8_S8_S8_S8_S8_EEEEZZNS1_29radix_sort_onesweep_iterationIS3_Lb0ENS6_6detail15normal_iteratorINS6_10device_ptrIjEEEESG_NSD_INSE_IS9_EEEESI_jNS0_19identity_decomposerENS1_16block_id_wrapperIjLb0EEEEE10hipError_tT1_PNSt15iterator_traitsISN_E10value_typeET2_T3_PNSO_IST_E10value_typeET4_T5_PSY_SZ_PNS1_23onesweep_lookback_stateEbbT6_jjT7_P12ihipStream_tbENKUlT_T0_SN_SS_E_clISG_SG_SI_SI_EEDaS16_S17_SN_SS_EUlS16_E_NS1_11comp_targetILNS1_3genE10ELNS1_11target_archE1201ELNS1_3gpuE5ELNS1_3repE0EEENS1_47radix_sort_onesweep_sort_config_static_selectorELNS0_4arch9wavefront6targetE0EEEvSN_
    .private_segment_fixed_size: 80
    .sgpr_count:     51
    .sgpr_spill_count: 0
    .symbol:         _ZN7rocprim17ROCPRIM_400000_NS6detail17trampoline_kernelINS0_14default_configENS1_35radix_sort_onesweep_config_selectorIjN6thrust23THRUST_200600_302600_NS5tupleIffNS6_9null_typeES8_S8_S8_S8_S8_S8_S8_EEEEZZNS1_29radix_sort_onesweep_iterationIS3_Lb0ENS6_6detail15normal_iteratorINS6_10device_ptrIjEEEESG_NSD_INSE_IS9_EEEESI_jNS0_19identity_decomposerENS1_16block_id_wrapperIjLb0EEEEE10hipError_tT1_PNSt15iterator_traitsISN_E10value_typeET2_T3_PNSO_IST_E10value_typeET4_T5_PSY_SZ_PNS1_23onesweep_lookback_stateEbbT6_jjT7_P12ihipStream_tbENKUlT_T0_SN_SS_E_clISG_SG_SI_SI_EEDaS16_S17_SN_SS_EUlS16_E_NS1_11comp_targetILNS1_3genE10ELNS1_11target_archE1201ELNS1_3gpuE5ELNS1_3repE0EEENS1_47radix_sort_onesweep_sort_config_static_selectorELNS0_4arch9wavefront6targetE0EEEvSN_.kd
    .uniform_work_group_size: 1
    .uses_dynamic_stack: false
    .vgpr_count:     81
    .vgpr_spill_count: 0
    .wavefront_size: 32
    .workgroup_processor_mode: 1
  - .args:
      - .offset:         0
        .size:           88
        .value_kind:     by_value
    .group_segment_fixed_size: 0
    .kernarg_segment_align: 8
    .kernarg_segment_size: 88
    .language:       OpenCL C
    .language_version:
      - 2
      - 0
    .max_flat_workgroup_size: 1024
    .name:           _ZN7rocprim17ROCPRIM_400000_NS6detail17trampoline_kernelINS0_14default_configENS1_35radix_sort_onesweep_config_selectorIjN6thrust23THRUST_200600_302600_NS5tupleIffNS6_9null_typeES8_S8_S8_S8_S8_S8_S8_EEEEZZNS1_29radix_sort_onesweep_iterationIS3_Lb0ENS6_6detail15normal_iteratorINS6_10device_ptrIjEEEESG_NSD_INSE_IS9_EEEESI_jNS0_19identity_decomposerENS1_16block_id_wrapperIjLb0EEEEE10hipError_tT1_PNSt15iterator_traitsISN_E10value_typeET2_T3_PNSO_IST_E10value_typeET4_T5_PSY_SZ_PNS1_23onesweep_lookback_stateEbbT6_jjT7_P12ihipStream_tbENKUlT_T0_SN_SS_E_clISG_SG_SI_SI_EEDaS16_S17_SN_SS_EUlS16_E_NS1_11comp_targetILNS1_3genE9ELNS1_11target_archE1100ELNS1_3gpuE3ELNS1_3repE0EEENS1_47radix_sort_onesweep_sort_config_static_selectorELNS0_4arch9wavefront6targetE0EEEvSN_
    .private_segment_fixed_size: 0
    .sgpr_count:     0
    .sgpr_spill_count: 0
    .symbol:         _ZN7rocprim17ROCPRIM_400000_NS6detail17trampoline_kernelINS0_14default_configENS1_35radix_sort_onesweep_config_selectorIjN6thrust23THRUST_200600_302600_NS5tupleIffNS6_9null_typeES8_S8_S8_S8_S8_S8_S8_EEEEZZNS1_29radix_sort_onesweep_iterationIS3_Lb0ENS6_6detail15normal_iteratorINS6_10device_ptrIjEEEESG_NSD_INSE_IS9_EEEESI_jNS0_19identity_decomposerENS1_16block_id_wrapperIjLb0EEEEE10hipError_tT1_PNSt15iterator_traitsISN_E10value_typeET2_T3_PNSO_IST_E10value_typeET4_T5_PSY_SZ_PNS1_23onesweep_lookback_stateEbbT6_jjT7_P12ihipStream_tbENKUlT_T0_SN_SS_E_clISG_SG_SI_SI_EEDaS16_S17_SN_SS_EUlS16_E_NS1_11comp_targetILNS1_3genE9ELNS1_11target_archE1100ELNS1_3gpuE3ELNS1_3repE0EEENS1_47radix_sort_onesweep_sort_config_static_selectorELNS0_4arch9wavefront6targetE0EEEvSN_.kd
    .uniform_work_group_size: 1
    .uses_dynamic_stack: false
    .vgpr_count:     0
    .vgpr_spill_count: 0
    .wavefront_size: 32
    .workgroup_processor_mode: 1
  - .args:
      - .offset:         0
        .size:           88
        .value_kind:     by_value
    .group_segment_fixed_size: 0
    .kernarg_segment_align: 8
    .kernarg_segment_size: 88
    .language:       OpenCL C
    .language_version:
      - 2
      - 0
    .max_flat_workgroup_size: 1024
    .name:           _ZN7rocprim17ROCPRIM_400000_NS6detail17trampoline_kernelINS0_14default_configENS1_35radix_sort_onesweep_config_selectorIjN6thrust23THRUST_200600_302600_NS5tupleIffNS6_9null_typeES8_S8_S8_S8_S8_S8_S8_EEEEZZNS1_29radix_sort_onesweep_iterationIS3_Lb0ENS6_6detail15normal_iteratorINS6_10device_ptrIjEEEESG_NSD_INSE_IS9_EEEESI_jNS0_19identity_decomposerENS1_16block_id_wrapperIjLb0EEEEE10hipError_tT1_PNSt15iterator_traitsISN_E10value_typeET2_T3_PNSO_IST_E10value_typeET4_T5_PSY_SZ_PNS1_23onesweep_lookback_stateEbbT6_jjT7_P12ihipStream_tbENKUlT_T0_SN_SS_E_clISG_SG_SI_SI_EEDaS16_S17_SN_SS_EUlS16_E_NS1_11comp_targetILNS1_3genE8ELNS1_11target_archE1030ELNS1_3gpuE2ELNS1_3repE0EEENS1_47radix_sort_onesweep_sort_config_static_selectorELNS0_4arch9wavefront6targetE0EEEvSN_
    .private_segment_fixed_size: 0
    .sgpr_count:     0
    .sgpr_spill_count: 0
    .symbol:         _ZN7rocprim17ROCPRIM_400000_NS6detail17trampoline_kernelINS0_14default_configENS1_35radix_sort_onesweep_config_selectorIjN6thrust23THRUST_200600_302600_NS5tupleIffNS6_9null_typeES8_S8_S8_S8_S8_S8_S8_EEEEZZNS1_29radix_sort_onesweep_iterationIS3_Lb0ENS6_6detail15normal_iteratorINS6_10device_ptrIjEEEESG_NSD_INSE_IS9_EEEESI_jNS0_19identity_decomposerENS1_16block_id_wrapperIjLb0EEEEE10hipError_tT1_PNSt15iterator_traitsISN_E10value_typeET2_T3_PNSO_IST_E10value_typeET4_T5_PSY_SZ_PNS1_23onesweep_lookback_stateEbbT6_jjT7_P12ihipStream_tbENKUlT_T0_SN_SS_E_clISG_SG_SI_SI_EEDaS16_S17_SN_SS_EUlS16_E_NS1_11comp_targetILNS1_3genE8ELNS1_11target_archE1030ELNS1_3gpuE2ELNS1_3repE0EEENS1_47radix_sort_onesweep_sort_config_static_selectorELNS0_4arch9wavefront6targetE0EEEvSN_.kd
    .uniform_work_group_size: 1
    .uses_dynamic_stack: false
    .vgpr_count:     0
    .vgpr_spill_count: 0
    .wavefront_size: 32
    .workgroup_processor_mode: 1
  - .args:
      - .offset:         0
        .size:           88
        .value_kind:     by_value
    .group_segment_fixed_size: 0
    .kernarg_segment_align: 8
    .kernarg_segment_size: 88
    .language:       OpenCL C
    .language_version:
      - 2
      - 0
    .max_flat_workgroup_size: 512
    .name:           _ZN7rocprim17ROCPRIM_400000_NS6detail17trampoline_kernelINS0_14default_configENS1_35radix_sort_onesweep_config_selectorIjN6thrust23THRUST_200600_302600_NS5tupleIffNS6_9null_typeES8_S8_S8_S8_S8_S8_S8_EEEEZZNS1_29radix_sort_onesweep_iterationIS3_Lb0ENS6_6detail15normal_iteratorINS6_10device_ptrIjEEEESG_NSD_INSE_IS9_EEEESI_jNS0_19identity_decomposerENS1_16block_id_wrapperIjLb0EEEEE10hipError_tT1_PNSt15iterator_traitsISN_E10value_typeET2_T3_PNSO_IST_E10value_typeET4_T5_PSY_SZ_PNS1_23onesweep_lookback_stateEbbT6_jjT7_P12ihipStream_tbENKUlT_T0_SN_SS_E_clISG_PjSI_PS9_EEDaS16_S17_SN_SS_EUlS16_E_NS1_11comp_targetILNS1_3genE0ELNS1_11target_archE4294967295ELNS1_3gpuE0ELNS1_3repE0EEENS1_47radix_sort_onesweep_sort_config_static_selectorELNS0_4arch9wavefront6targetE0EEEvSN_
    .private_segment_fixed_size: 0
    .sgpr_count:     0
    .sgpr_spill_count: 0
    .symbol:         _ZN7rocprim17ROCPRIM_400000_NS6detail17trampoline_kernelINS0_14default_configENS1_35radix_sort_onesweep_config_selectorIjN6thrust23THRUST_200600_302600_NS5tupleIffNS6_9null_typeES8_S8_S8_S8_S8_S8_S8_EEEEZZNS1_29radix_sort_onesweep_iterationIS3_Lb0ENS6_6detail15normal_iteratorINS6_10device_ptrIjEEEESG_NSD_INSE_IS9_EEEESI_jNS0_19identity_decomposerENS1_16block_id_wrapperIjLb0EEEEE10hipError_tT1_PNSt15iterator_traitsISN_E10value_typeET2_T3_PNSO_IST_E10value_typeET4_T5_PSY_SZ_PNS1_23onesweep_lookback_stateEbbT6_jjT7_P12ihipStream_tbENKUlT_T0_SN_SS_E_clISG_PjSI_PS9_EEDaS16_S17_SN_SS_EUlS16_E_NS1_11comp_targetILNS1_3genE0ELNS1_11target_archE4294967295ELNS1_3gpuE0ELNS1_3repE0EEENS1_47radix_sort_onesweep_sort_config_static_selectorELNS0_4arch9wavefront6targetE0EEEvSN_.kd
    .uniform_work_group_size: 1
    .uses_dynamic_stack: false
    .vgpr_count:     0
    .vgpr_spill_count: 0
    .wavefront_size: 32
    .workgroup_processor_mode: 1
  - .args:
      - .offset:         0
        .size:           88
        .value_kind:     by_value
    .group_segment_fixed_size: 0
    .kernarg_segment_align: 8
    .kernarg_segment_size: 88
    .language:       OpenCL C
    .language_version:
      - 2
      - 0
    .max_flat_workgroup_size: 1024
    .name:           _ZN7rocprim17ROCPRIM_400000_NS6detail17trampoline_kernelINS0_14default_configENS1_35radix_sort_onesweep_config_selectorIjN6thrust23THRUST_200600_302600_NS5tupleIffNS6_9null_typeES8_S8_S8_S8_S8_S8_S8_EEEEZZNS1_29radix_sort_onesweep_iterationIS3_Lb0ENS6_6detail15normal_iteratorINS6_10device_ptrIjEEEESG_NSD_INSE_IS9_EEEESI_jNS0_19identity_decomposerENS1_16block_id_wrapperIjLb0EEEEE10hipError_tT1_PNSt15iterator_traitsISN_E10value_typeET2_T3_PNSO_IST_E10value_typeET4_T5_PSY_SZ_PNS1_23onesweep_lookback_stateEbbT6_jjT7_P12ihipStream_tbENKUlT_T0_SN_SS_E_clISG_PjSI_PS9_EEDaS16_S17_SN_SS_EUlS16_E_NS1_11comp_targetILNS1_3genE6ELNS1_11target_archE950ELNS1_3gpuE13ELNS1_3repE0EEENS1_47radix_sort_onesweep_sort_config_static_selectorELNS0_4arch9wavefront6targetE0EEEvSN_
    .private_segment_fixed_size: 0
    .sgpr_count:     0
    .sgpr_spill_count: 0
    .symbol:         _ZN7rocprim17ROCPRIM_400000_NS6detail17trampoline_kernelINS0_14default_configENS1_35radix_sort_onesweep_config_selectorIjN6thrust23THRUST_200600_302600_NS5tupleIffNS6_9null_typeES8_S8_S8_S8_S8_S8_S8_EEEEZZNS1_29radix_sort_onesweep_iterationIS3_Lb0ENS6_6detail15normal_iteratorINS6_10device_ptrIjEEEESG_NSD_INSE_IS9_EEEESI_jNS0_19identity_decomposerENS1_16block_id_wrapperIjLb0EEEEE10hipError_tT1_PNSt15iterator_traitsISN_E10value_typeET2_T3_PNSO_IST_E10value_typeET4_T5_PSY_SZ_PNS1_23onesweep_lookback_stateEbbT6_jjT7_P12ihipStream_tbENKUlT_T0_SN_SS_E_clISG_PjSI_PS9_EEDaS16_S17_SN_SS_EUlS16_E_NS1_11comp_targetILNS1_3genE6ELNS1_11target_archE950ELNS1_3gpuE13ELNS1_3repE0EEENS1_47radix_sort_onesweep_sort_config_static_selectorELNS0_4arch9wavefront6targetE0EEEvSN_.kd
    .uniform_work_group_size: 1
    .uses_dynamic_stack: false
    .vgpr_count:     0
    .vgpr_spill_count: 0
    .wavefront_size: 32
    .workgroup_processor_mode: 1
  - .args:
      - .offset:         0
        .size:           88
        .value_kind:     by_value
    .group_segment_fixed_size: 0
    .kernarg_segment_align: 8
    .kernarg_segment_size: 88
    .language:       OpenCL C
    .language_version:
      - 2
      - 0
    .max_flat_workgroup_size: 1024
    .name:           _ZN7rocprim17ROCPRIM_400000_NS6detail17trampoline_kernelINS0_14default_configENS1_35radix_sort_onesweep_config_selectorIjN6thrust23THRUST_200600_302600_NS5tupleIffNS6_9null_typeES8_S8_S8_S8_S8_S8_S8_EEEEZZNS1_29radix_sort_onesweep_iterationIS3_Lb0ENS6_6detail15normal_iteratorINS6_10device_ptrIjEEEESG_NSD_INSE_IS9_EEEESI_jNS0_19identity_decomposerENS1_16block_id_wrapperIjLb0EEEEE10hipError_tT1_PNSt15iterator_traitsISN_E10value_typeET2_T3_PNSO_IST_E10value_typeET4_T5_PSY_SZ_PNS1_23onesweep_lookback_stateEbbT6_jjT7_P12ihipStream_tbENKUlT_T0_SN_SS_E_clISG_PjSI_PS9_EEDaS16_S17_SN_SS_EUlS16_E_NS1_11comp_targetILNS1_3genE5ELNS1_11target_archE942ELNS1_3gpuE9ELNS1_3repE0EEENS1_47radix_sort_onesweep_sort_config_static_selectorELNS0_4arch9wavefront6targetE0EEEvSN_
    .private_segment_fixed_size: 0
    .sgpr_count:     0
    .sgpr_spill_count: 0
    .symbol:         _ZN7rocprim17ROCPRIM_400000_NS6detail17trampoline_kernelINS0_14default_configENS1_35radix_sort_onesweep_config_selectorIjN6thrust23THRUST_200600_302600_NS5tupleIffNS6_9null_typeES8_S8_S8_S8_S8_S8_S8_EEEEZZNS1_29radix_sort_onesweep_iterationIS3_Lb0ENS6_6detail15normal_iteratorINS6_10device_ptrIjEEEESG_NSD_INSE_IS9_EEEESI_jNS0_19identity_decomposerENS1_16block_id_wrapperIjLb0EEEEE10hipError_tT1_PNSt15iterator_traitsISN_E10value_typeET2_T3_PNSO_IST_E10value_typeET4_T5_PSY_SZ_PNS1_23onesweep_lookback_stateEbbT6_jjT7_P12ihipStream_tbENKUlT_T0_SN_SS_E_clISG_PjSI_PS9_EEDaS16_S17_SN_SS_EUlS16_E_NS1_11comp_targetILNS1_3genE5ELNS1_11target_archE942ELNS1_3gpuE9ELNS1_3repE0EEENS1_47radix_sort_onesweep_sort_config_static_selectorELNS0_4arch9wavefront6targetE0EEEvSN_.kd
    .uniform_work_group_size: 1
    .uses_dynamic_stack: false
    .vgpr_count:     0
    .vgpr_spill_count: 0
    .wavefront_size: 32
    .workgroup_processor_mode: 1
  - .args:
      - .offset:         0
        .size:           88
        .value_kind:     by_value
    .group_segment_fixed_size: 0
    .kernarg_segment_align: 8
    .kernarg_segment_size: 88
    .language:       OpenCL C
    .language_version:
      - 2
      - 0
    .max_flat_workgroup_size: 512
    .name:           _ZN7rocprim17ROCPRIM_400000_NS6detail17trampoline_kernelINS0_14default_configENS1_35radix_sort_onesweep_config_selectorIjN6thrust23THRUST_200600_302600_NS5tupleIffNS6_9null_typeES8_S8_S8_S8_S8_S8_S8_EEEEZZNS1_29radix_sort_onesweep_iterationIS3_Lb0ENS6_6detail15normal_iteratorINS6_10device_ptrIjEEEESG_NSD_INSE_IS9_EEEESI_jNS0_19identity_decomposerENS1_16block_id_wrapperIjLb0EEEEE10hipError_tT1_PNSt15iterator_traitsISN_E10value_typeET2_T3_PNSO_IST_E10value_typeET4_T5_PSY_SZ_PNS1_23onesweep_lookback_stateEbbT6_jjT7_P12ihipStream_tbENKUlT_T0_SN_SS_E_clISG_PjSI_PS9_EEDaS16_S17_SN_SS_EUlS16_E_NS1_11comp_targetILNS1_3genE2ELNS1_11target_archE906ELNS1_3gpuE6ELNS1_3repE0EEENS1_47radix_sort_onesweep_sort_config_static_selectorELNS0_4arch9wavefront6targetE0EEEvSN_
    .private_segment_fixed_size: 0
    .sgpr_count:     0
    .sgpr_spill_count: 0
    .symbol:         _ZN7rocprim17ROCPRIM_400000_NS6detail17trampoline_kernelINS0_14default_configENS1_35radix_sort_onesweep_config_selectorIjN6thrust23THRUST_200600_302600_NS5tupleIffNS6_9null_typeES8_S8_S8_S8_S8_S8_S8_EEEEZZNS1_29radix_sort_onesweep_iterationIS3_Lb0ENS6_6detail15normal_iteratorINS6_10device_ptrIjEEEESG_NSD_INSE_IS9_EEEESI_jNS0_19identity_decomposerENS1_16block_id_wrapperIjLb0EEEEE10hipError_tT1_PNSt15iterator_traitsISN_E10value_typeET2_T3_PNSO_IST_E10value_typeET4_T5_PSY_SZ_PNS1_23onesweep_lookback_stateEbbT6_jjT7_P12ihipStream_tbENKUlT_T0_SN_SS_E_clISG_PjSI_PS9_EEDaS16_S17_SN_SS_EUlS16_E_NS1_11comp_targetILNS1_3genE2ELNS1_11target_archE906ELNS1_3gpuE6ELNS1_3repE0EEENS1_47radix_sort_onesweep_sort_config_static_selectorELNS0_4arch9wavefront6targetE0EEEvSN_.kd
    .uniform_work_group_size: 1
    .uses_dynamic_stack: false
    .vgpr_count:     0
    .vgpr_spill_count: 0
    .wavefront_size: 32
    .workgroup_processor_mode: 1
  - .args:
      - .offset:         0
        .size:           88
        .value_kind:     by_value
    .group_segment_fixed_size: 0
    .kernarg_segment_align: 8
    .kernarg_segment_size: 88
    .language:       OpenCL C
    .language_version:
      - 2
      - 0
    .max_flat_workgroup_size: 512
    .name:           _ZN7rocprim17ROCPRIM_400000_NS6detail17trampoline_kernelINS0_14default_configENS1_35radix_sort_onesweep_config_selectorIjN6thrust23THRUST_200600_302600_NS5tupleIffNS6_9null_typeES8_S8_S8_S8_S8_S8_S8_EEEEZZNS1_29radix_sort_onesweep_iterationIS3_Lb0ENS6_6detail15normal_iteratorINS6_10device_ptrIjEEEESG_NSD_INSE_IS9_EEEESI_jNS0_19identity_decomposerENS1_16block_id_wrapperIjLb0EEEEE10hipError_tT1_PNSt15iterator_traitsISN_E10value_typeET2_T3_PNSO_IST_E10value_typeET4_T5_PSY_SZ_PNS1_23onesweep_lookback_stateEbbT6_jjT7_P12ihipStream_tbENKUlT_T0_SN_SS_E_clISG_PjSI_PS9_EEDaS16_S17_SN_SS_EUlS16_E_NS1_11comp_targetILNS1_3genE4ELNS1_11target_archE910ELNS1_3gpuE8ELNS1_3repE0EEENS1_47radix_sort_onesweep_sort_config_static_selectorELNS0_4arch9wavefront6targetE0EEEvSN_
    .private_segment_fixed_size: 0
    .sgpr_count:     0
    .sgpr_spill_count: 0
    .symbol:         _ZN7rocprim17ROCPRIM_400000_NS6detail17trampoline_kernelINS0_14default_configENS1_35radix_sort_onesweep_config_selectorIjN6thrust23THRUST_200600_302600_NS5tupleIffNS6_9null_typeES8_S8_S8_S8_S8_S8_S8_EEEEZZNS1_29radix_sort_onesweep_iterationIS3_Lb0ENS6_6detail15normal_iteratorINS6_10device_ptrIjEEEESG_NSD_INSE_IS9_EEEESI_jNS0_19identity_decomposerENS1_16block_id_wrapperIjLb0EEEEE10hipError_tT1_PNSt15iterator_traitsISN_E10value_typeET2_T3_PNSO_IST_E10value_typeET4_T5_PSY_SZ_PNS1_23onesweep_lookback_stateEbbT6_jjT7_P12ihipStream_tbENKUlT_T0_SN_SS_E_clISG_PjSI_PS9_EEDaS16_S17_SN_SS_EUlS16_E_NS1_11comp_targetILNS1_3genE4ELNS1_11target_archE910ELNS1_3gpuE8ELNS1_3repE0EEENS1_47radix_sort_onesweep_sort_config_static_selectorELNS0_4arch9wavefront6targetE0EEEvSN_.kd
    .uniform_work_group_size: 1
    .uses_dynamic_stack: false
    .vgpr_count:     0
    .vgpr_spill_count: 0
    .wavefront_size: 32
    .workgroup_processor_mode: 1
  - .args:
      - .offset:         0
        .size:           88
        .value_kind:     by_value
    .group_segment_fixed_size: 0
    .kernarg_segment_align: 8
    .kernarg_segment_size: 88
    .language:       OpenCL C
    .language_version:
      - 2
      - 0
    .max_flat_workgroup_size: 512
    .name:           _ZN7rocprim17ROCPRIM_400000_NS6detail17trampoline_kernelINS0_14default_configENS1_35radix_sort_onesweep_config_selectorIjN6thrust23THRUST_200600_302600_NS5tupleIffNS6_9null_typeES8_S8_S8_S8_S8_S8_S8_EEEEZZNS1_29radix_sort_onesweep_iterationIS3_Lb0ENS6_6detail15normal_iteratorINS6_10device_ptrIjEEEESG_NSD_INSE_IS9_EEEESI_jNS0_19identity_decomposerENS1_16block_id_wrapperIjLb0EEEEE10hipError_tT1_PNSt15iterator_traitsISN_E10value_typeET2_T3_PNSO_IST_E10value_typeET4_T5_PSY_SZ_PNS1_23onesweep_lookback_stateEbbT6_jjT7_P12ihipStream_tbENKUlT_T0_SN_SS_E_clISG_PjSI_PS9_EEDaS16_S17_SN_SS_EUlS16_E_NS1_11comp_targetILNS1_3genE3ELNS1_11target_archE908ELNS1_3gpuE7ELNS1_3repE0EEENS1_47radix_sort_onesweep_sort_config_static_selectorELNS0_4arch9wavefront6targetE0EEEvSN_
    .private_segment_fixed_size: 0
    .sgpr_count:     0
    .sgpr_spill_count: 0
    .symbol:         _ZN7rocprim17ROCPRIM_400000_NS6detail17trampoline_kernelINS0_14default_configENS1_35radix_sort_onesweep_config_selectorIjN6thrust23THRUST_200600_302600_NS5tupleIffNS6_9null_typeES8_S8_S8_S8_S8_S8_S8_EEEEZZNS1_29radix_sort_onesweep_iterationIS3_Lb0ENS6_6detail15normal_iteratorINS6_10device_ptrIjEEEESG_NSD_INSE_IS9_EEEESI_jNS0_19identity_decomposerENS1_16block_id_wrapperIjLb0EEEEE10hipError_tT1_PNSt15iterator_traitsISN_E10value_typeET2_T3_PNSO_IST_E10value_typeET4_T5_PSY_SZ_PNS1_23onesweep_lookback_stateEbbT6_jjT7_P12ihipStream_tbENKUlT_T0_SN_SS_E_clISG_PjSI_PS9_EEDaS16_S17_SN_SS_EUlS16_E_NS1_11comp_targetILNS1_3genE3ELNS1_11target_archE908ELNS1_3gpuE7ELNS1_3repE0EEENS1_47radix_sort_onesweep_sort_config_static_selectorELNS0_4arch9wavefront6targetE0EEEvSN_.kd
    .uniform_work_group_size: 1
    .uses_dynamic_stack: false
    .vgpr_count:     0
    .vgpr_spill_count: 0
    .wavefront_size: 32
    .workgroup_processor_mode: 1
  - .args:
      - .offset:         0
        .size:           88
        .value_kind:     by_value
      - .offset:         88
        .size:           4
        .value_kind:     hidden_block_count_x
      - .offset:         92
        .size:           4
        .value_kind:     hidden_block_count_y
      - .offset:         96
        .size:           4
        .value_kind:     hidden_block_count_z
      - .offset:         100
        .size:           2
        .value_kind:     hidden_group_size_x
      - .offset:         102
        .size:           2
        .value_kind:     hidden_group_size_y
      - .offset:         104
        .size:           2
        .value_kind:     hidden_group_size_z
      - .offset:         106
        .size:           2
        .value_kind:     hidden_remainder_x
      - .offset:         108
        .size:           2
        .value_kind:     hidden_remainder_y
      - .offset:         110
        .size:           2
        .value_kind:     hidden_remainder_z
      - .offset:         128
        .size:           8
        .value_kind:     hidden_global_offset_x
      - .offset:         136
        .size:           8
        .value_kind:     hidden_global_offset_y
      - .offset:         144
        .size:           8
        .value_kind:     hidden_global_offset_z
      - .offset:         152
        .size:           2
        .value_kind:     hidden_grid_dims
    .group_segment_fixed_size: 37000
    .kernarg_segment_align: 8
    .kernarg_segment_size: 344
    .language:       OpenCL C
    .language_version:
      - 2
      - 0
    .max_flat_workgroup_size: 1024
    .name:           _ZN7rocprim17ROCPRIM_400000_NS6detail17trampoline_kernelINS0_14default_configENS1_35radix_sort_onesweep_config_selectorIjN6thrust23THRUST_200600_302600_NS5tupleIffNS6_9null_typeES8_S8_S8_S8_S8_S8_S8_EEEEZZNS1_29radix_sort_onesweep_iterationIS3_Lb0ENS6_6detail15normal_iteratorINS6_10device_ptrIjEEEESG_NSD_INSE_IS9_EEEESI_jNS0_19identity_decomposerENS1_16block_id_wrapperIjLb0EEEEE10hipError_tT1_PNSt15iterator_traitsISN_E10value_typeET2_T3_PNSO_IST_E10value_typeET4_T5_PSY_SZ_PNS1_23onesweep_lookback_stateEbbT6_jjT7_P12ihipStream_tbENKUlT_T0_SN_SS_E_clISG_PjSI_PS9_EEDaS16_S17_SN_SS_EUlS16_E_NS1_11comp_targetILNS1_3genE10ELNS1_11target_archE1201ELNS1_3gpuE5ELNS1_3repE0EEENS1_47radix_sort_onesweep_sort_config_static_selectorELNS0_4arch9wavefront6targetE0EEEvSN_
    .private_segment_fixed_size: 80
    .sgpr_count:     51
    .sgpr_spill_count: 0
    .symbol:         _ZN7rocprim17ROCPRIM_400000_NS6detail17trampoline_kernelINS0_14default_configENS1_35radix_sort_onesweep_config_selectorIjN6thrust23THRUST_200600_302600_NS5tupleIffNS6_9null_typeES8_S8_S8_S8_S8_S8_S8_EEEEZZNS1_29radix_sort_onesweep_iterationIS3_Lb0ENS6_6detail15normal_iteratorINS6_10device_ptrIjEEEESG_NSD_INSE_IS9_EEEESI_jNS0_19identity_decomposerENS1_16block_id_wrapperIjLb0EEEEE10hipError_tT1_PNSt15iterator_traitsISN_E10value_typeET2_T3_PNSO_IST_E10value_typeET4_T5_PSY_SZ_PNS1_23onesweep_lookback_stateEbbT6_jjT7_P12ihipStream_tbENKUlT_T0_SN_SS_E_clISG_PjSI_PS9_EEDaS16_S17_SN_SS_EUlS16_E_NS1_11comp_targetILNS1_3genE10ELNS1_11target_archE1201ELNS1_3gpuE5ELNS1_3repE0EEENS1_47radix_sort_onesweep_sort_config_static_selectorELNS0_4arch9wavefront6targetE0EEEvSN_.kd
    .uniform_work_group_size: 1
    .uses_dynamic_stack: false
    .vgpr_count:     81
    .vgpr_spill_count: 0
    .wavefront_size: 32
    .workgroup_processor_mode: 1
  - .args:
      - .offset:         0
        .size:           88
        .value_kind:     by_value
    .group_segment_fixed_size: 0
    .kernarg_segment_align: 8
    .kernarg_segment_size: 88
    .language:       OpenCL C
    .language_version:
      - 2
      - 0
    .max_flat_workgroup_size: 1024
    .name:           _ZN7rocprim17ROCPRIM_400000_NS6detail17trampoline_kernelINS0_14default_configENS1_35radix_sort_onesweep_config_selectorIjN6thrust23THRUST_200600_302600_NS5tupleIffNS6_9null_typeES8_S8_S8_S8_S8_S8_S8_EEEEZZNS1_29radix_sort_onesweep_iterationIS3_Lb0ENS6_6detail15normal_iteratorINS6_10device_ptrIjEEEESG_NSD_INSE_IS9_EEEESI_jNS0_19identity_decomposerENS1_16block_id_wrapperIjLb0EEEEE10hipError_tT1_PNSt15iterator_traitsISN_E10value_typeET2_T3_PNSO_IST_E10value_typeET4_T5_PSY_SZ_PNS1_23onesweep_lookback_stateEbbT6_jjT7_P12ihipStream_tbENKUlT_T0_SN_SS_E_clISG_PjSI_PS9_EEDaS16_S17_SN_SS_EUlS16_E_NS1_11comp_targetILNS1_3genE9ELNS1_11target_archE1100ELNS1_3gpuE3ELNS1_3repE0EEENS1_47radix_sort_onesweep_sort_config_static_selectorELNS0_4arch9wavefront6targetE0EEEvSN_
    .private_segment_fixed_size: 0
    .sgpr_count:     0
    .sgpr_spill_count: 0
    .symbol:         _ZN7rocprim17ROCPRIM_400000_NS6detail17trampoline_kernelINS0_14default_configENS1_35radix_sort_onesweep_config_selectorIjN6thrust23THRUST_200600_302600_NS5tupleIffNS6_9null_typeES8_S8_S8_S8_S8_S8_S8_EEEEZZNS1_29radix_sort_onesweep_iterationIS3_Lb0ENS6_6detail15normal_iteratorINS6_10device_ptrIjEEEESG_NSD_INSE_IS9_EEEESI_jNS0_19identity_decomposerENS1_16block_id_wrapperIjLb0EEEEE10hipError_tT1_PNSt15iterator_traitsISN_E10value_typeET2_T3_PNSO_IST_E10value_typeET4_T5_PSY_SZ_PNS1_23onesweep_lookback_stateEbbT6_jjT7_P12ihipStream_tbENKUlT_T0_SN_SS_E_clISG_PjSI_PS9_EEDaS16_S17_SN_SS_EUlS16_E_NS1_11comp_targetILNS1_3genE9ELNS1_11target_archE1100ELNS1_3gpuE3ELNS1_3repE0EEENS1_47radix_sort_onesweep_sort_config_static_selectorELNS0_4arch9wavefront6targetE0EEEvSN_.kd
    .uniform_work_group_size: 1
    .uses_dynamic_stack: false
    .vgpr_count:     0
    .vgpr_spill_count: 0
    .wavefront_size: 32
    .workgroup_processor_mode: 1
  - .args:
      - .offset:         0
        .size:           88
        .value_kind:     by_value
    .group_segment_fixed_size: 0
    .kernarg_segment_align: 8
    .kernarg_segment_size: 88
    .language:       OpenCL C
    .language_version:
      - 2
      - 0
    .max_flat_workgroup_size: 1024
    .name:           _ZN7rocprim17ROCPRIM_400000_NS6detail17trampoline_kernelINS0_14default_configENS1_35radix_sort_onesweep_config_selectorIjN6thrust23THRUST_200600_302600_NS5tupleIffNS6_9null_typeES8_S8_S8_S8_S8_S8_S8_EEEEZZNS1_29radix_sort_onesweep_iterationIS3_Lb0ENS6_6detail15normal_iteratorINS6_10device_ptrIjEEEESG_NSD_INSE_IS9_EEEESI_jNS0_19identity_decomposerENS1_16block_id_wrapperIjLb0EEEEE10hipError_tT1_PNSt15iterator_traitsISN_E10value_typeET2_T3_PNSO_IST_E10value_typeET4_T5_PSY_SZ_PNS1_23onesweep_lookback_stateEbbT6_jjT7_P12ihipStream_tbENKUlT_T0_SN_SS_E_clISG_PjSI_PS9_EEDaS16_S17_SN_SS_EUlS16_E_NS1_11comp_targetILNS1_3genE8ELNS1_11target_archE1030ELNS1_3gpuE2ELNS1_3repE0EEENS1_47radix_sort_onesweep_sort_config_static_selectorELNS0_4arch9wavefront6targetE0EEEvSN_
    .private_segment_fixed_size: 0
    .sgpr_count:     0
    .sgpr_spill_count: 0
    .symbol:         _ZN7rocprim17ROCPRIM_400000_NS6detail17trampoline_kernelINS0_14default_configENS1_35radix_sort_onesweep_config_selectorIjN6thrust23THRUST_200600_302600_NS5tupleIffNS6_9null_typeES8_S8_S8_S8_S8_S8_S8_EEEEZZNS1_29radix_sort_onesweep_iterationIS3_Lb0ENS6_6detail15normal_iteratorINS6_10device_ptrIjEEEESG_NSD_INSE_IS9_EEEESI_jNS0_19identity_decomposerENS1_16block_id_wrapperIjLb0EEEEE10hipError_tT1_PNSt15iterator_traitsISN_E10value_typeET2_T3_PNSO_IST_E10value_typeET4_T5_PSY_SZ_PNS1_23onesweep_lookback_stateEbbT6_jjT7_P12ihipStream_tbENKUlT_T0_SN_SS_E_clISG_PjSI_PS9_EEDaS16_S17_SN_SS_EUlS16_E_NS1_11comp_targetILNS1_3genE8ELNS1_11target_archE1030ELNS1_3gpuE2ELNS1_3repE0EEENS1_47radix_sort_onesweep_sort_config_static_selectorELNS0_4arch9wavefront6targetE0EEEvSN_.kd
    .uniform_work_group_size: 1
    .uses_dynamic_stack: false
    .vgpr_count:     0
    .vgpr_spill_count: 0
    .wavefront_size: 32
    .workgroup_processor_mode: 1
  - .args:
      - .offset:         0
        .size:           88
        .value_kind:     by_value
    .group_segment_fixed_size: 0
    .kernarg_segment_align: 8
    .kernarg_segment_size: 88
    .language:       OpenCL C
    .language_version:
      - 2
      - 0
    .max_flat_workgroup_size: 512
    .name:           _ZN7rocprim17ROCPRIM_400000_NS6detail17trampoline_kernelINS0_14default_configENS1_35radix_sort_onesweep_config_selectorIjN6thrust23THRUST_200600_302600_NS5tupleIffNS6_9null_typeES8_S8_S8_S8_S8_S8_S8_EEEEZZNS1_29radix_sort_onesweep_iterationIS3_Lb0ENS6_6detail15normal_iteratorINS6_10device_ptrIjEEEESG_NSD_INSE_IS9_EEEESI_jNS0_19identity_decomposerENS1_16block_id_wrapperIjLb0EEEEE10hipError_tT1_PNSt15iterator_traitsISN_E10value_typeET2_T3_PNSO_IST_E10value_typeET4_T5_PSY_SZ_PNS1_23onesweep_lookback_stateEbbT6_jjT7_P12ihipStream_tbENKUlT_T0_SN_SS_E_clIPjSG_PS9_SI_EEDaS16_S17_SN_SS_EUlS16_E_NS1_11comp_targetILNS1_3genE0ELNS1_11target_archE4294967295ELNS1_3gpuE0ELNS1_3repE0EEENS1_47radix_sort_onesweep_sort_config_static_selectorELNS0_4arch9wavefront6targetE0EEEvSN_
    .private_segment_fixed_size: 0
    .sgpr_count:     0
    .sgpr_spill_count: 0
    .symbol:         _ZN7rocprim17ROCPRIM_400000_NS6detail17trampoline_kernelINS0_14default_configENS1_35radix_sort_onesweep_config_selectorIjN6thrust23THRUST_200600_302600_NS5tupleIffNS6_9null_typeES8_S8_S8_S8_S8_S8_S8_EEEEZZNS1_29radix_sort_onesweep_iterationIS3_Lb0ENS6_6detail15normal_iteratorINS6_10device_ptrIjEEEESG_NSD_INSE_IS9_EEEESI_jNS0_19identity_decomposerENS1_16block_id_wrapperIjLb0EEEEE10hipError_tT1_PNSt15iterator_traitsISN_E10value_typeET2_T3_PNSO_IST_E10value_typeET4_T5_PSY_SZ_PNS1_23onesweep_lookback_stateEbbT6_jjT7_P12ihipStream_tbENKUlT_T0_SN_SS_E_clIPjSG_PS9_SI_EEDaS16_S17_SN_SS_EUlS16_E_NS1_11comp_targetILNS1_3genE0ELNS1_11target_archE4294967295ELNS1_3gpuE0ELNS1_3repE0EEENS1_47radix_sort_onesweep_sort_config_static_selectorELNS0_4arch9wavefront6targetE0EEEvSN_.kd
    .uniform_work_group_size: 1
    .uses_dynamic_stack: false
    .vgpr_count:     0
    .vgpr_spill_count: 0
    .wavefront_size: 32
    .workgroup_processor_mode: 1
  - .args:
      - .offset:         0
        .size:           88
        .value_kind:     by_value
    .group_segment_fixed_size: 0
    .kernarg_segment_align: 8
    .kernarg_segment_size: 88
    .language:       OpenCL C
    .language_version:
      - 2
      - 0
    .max_flat_workgroup_size: 1024
    .name:           _ZN7rocprim17ROCPRIM_400000_NS6detail17trampoline_kernelINS0_14default_configENS1_35radix_sort_onesweep_config_selectorIjN6thrust23THRUST_200600_302600_NS5tupleIffNS6_9null_typeES8_S8_S8_S8_S8_S8_S8_EEEEZZNS1_29radix_sort_onesweep_iterationIS3_Lb0ENS6_6detail15normal_iteratorINS6_10device_ptrIjEEEESG_NSD_INSE_IS9_EEEESI_jNS0_19identity_decomposerENS1_16block_id_wrapperIjLb0EEEEE10hipError_tT1_PNSt15iterator_traitsISN_E10value_typeET2_T3_PNSO_IST_E10value_typeET4_T5_PSY_SZ_PNS1_23onesweep_lookback_stateEbbT6_jjT7_P12ihipStream_tbENKUlT_T0_SN_SS_E_clIPjSG_PS9_SI_EEDaS16_S17_SN_SS_EUlS16_E_NS1_11comp_targetILNS1_3genE6ELNS1_11target_archE950ELNS1_3gpuE13ELNS1_3repE0EEENS1_47radix_sort_onesweep_sort_config_static_selectorELNS0_4arch9wavefront6targetE0EEEvSN_
    .private_segment_fixed_size: 0
    .sgpr_count:     0
    .sgpr_spill_count: 0
    .symbol:         _ZN7rocprim17ROCPRIM_400000_NS6detail17trampoline_kernelINS0_14default_configENS1_35radix_sort_onesweep_config_selectorIjN6thrust23THRUST_200600_302600_NS5tupleIffNS6_9null_typeES8_S8_S8_S8_S8_S8_S8_EEEEZZNS1_29radix_sort_onesweep_iterationIS3_Lb0ENS6_6detail15normal_iteratorINS6_10device_ptrIjEEEESG_NSD_INSE_IS9_EEEESI_jNS0_19identity_decomposerENS1_16block_id_wrapperIjLb0EEEEE10hipError_tT1_PNSt15iterator_traitsISN_E10value_typeET2_T3_PNSO_IST_E10value_typeET4_T5_PSY_SZ_PNS1_23onesweep_lookback_stateEbbT6_jjT7_P12ihipStream_tbENKUlT_T0_SN_SS_E_clIPjSG_PS9_SI_EEDaS16_S17_SN_SS_EUlS16_E_NS1_11comp_targetILNS1_3genE6ELNS1_11target_archE950ELNS1_3gpuE13ELNS1_3repE0EEENS1_47radix_sort_onesweep_sort_config_static_selectorELNS0_4arch9wavefront6targetE0EEEvSN_.kd
    .uniform_work_group_size: 1
    .uses_dynamic_stack: false
    .vgpr_count:     0
    .vgpr_spill_count: 0
    .wavefront_size: 32
    .workgroup_processor_mode: 1
  - .args:
      - .offset:         0
        .size:           88
        .value_kind:     by_value
    .group_segment_fixed_size: 0
    .kernarg_segment_align: 8
    .kernarg_segment_size: 88
    .language:       OpenCL C
    .language_version:
      - 2
      - 0
    .max_flat_workgroup_size: 1024
    .name:           _ZN7rocprim17ROCPRIM_400000_NS6detail17trampoline_kernelINS0_14default_configENS1_35radix_sort_onesweep_config_selectorIjN6thrust23THRUST_200600_302600_NS5tupleIffNS6_9null_typeES8_S8_S8_S8_S8_S8_S8_EEEEZZNS1_29radix_sort_onesweep_iterationIS3_Lb0ENS6_6detail15normal_iteratorINS6_10device_ptrIjEEEESG_NSD_INSE_IS9_EEEESI_jNS0_19identity_decomposerENS1_16block_id_wrapperIjLb0EEEEE10hipError_tT1_PNSt15iterator_traitsISN_E10value_typeET2_T3_PNSO_IST_E10value_typeET4_T5_PSY_SZ_PNS1_23onesweep_lookback_stateEbbT6_jjT7_P12ihipStream_tbENKUlT_T0_SN_SS_E_clIPjSG_PS9_SI_EEDaS16_S17_SN_SS_EUlS16_E_NS1_11comp_targetILNS1_3genE5ELNS1_11target_archE942ELNS1_3gpuE9ELNS1_3repE0EEENS1_47radix_sort_onesweep_sort_config_static_selectorELNS0_4arch9wavefront6targetE0EEEvSN_
    .private_segment_fixed_size: 0
    .sgpr_count:     0
    .sgpr_spill_count: 0
    .symbol:         _ZN7rocprim17ROCPRIM_400000_NS6detail17trampoline_kernelINS0_14default_configENS1_35radix_sort_onesweep_config_selectorIjN6thrust23THRUST_200600_302600_NS5tupleIffNS6_9null_typeES8_S8_S8_S8_S8_S8_S8_EEEEZZNS1_29radix_sort_onesweep_iterationIS3_Lb0ENS6_6detail15normal_iteratorINS6_10device_ptrIjEEEESG_NSD_INSE_IS9_EEEESI_jNS0_19identity_decomposerENS1_16block_id_wrapperIjLb0EEEEE10hipError_tT1_PNSt15iterator_traitsISN_E10value_typeET2_T3_PNSO_IST_E10value_typeET4_T5_PSY_SZ_PNS1_23onesweep_lookback_stateEbbT6_jjT7_P12ihipStream_tbENKUlT_T0_SN_SS_E_clIPjSG_PS9_SI_EEDaS16_S17_SN_SS_EUlS16_E_NS1_11comp_targetILNS1_3genE5ELNS1_11target_archE942ELNS1_3gpuE9ELNS1_3repE0EEENS1_47radix_sort_onesweep_sort_config_static_selectorELNS0_4arch9wavefront6targetE0EEEvSN_.kd
    .uniform_work_group_size: 1
    .uses_dynamic_stack: false
    .vgpr_count:     0
    .vgpr_spill_count: 0
    .wavefront_size: 32
    .workgroup_processor_mode: 1
  - .args:
      - .offset:         0
        .size:           88
        .value_kind:     by_value
    .group_segment_fixed_size: 0
    .kernarg_segment_align: 8
    .kernarg_segment_size: 88
    .language:       OpenCL C
    .language_version:
      - 2
      - 0
    .max_flat_workgroup_size: 512
    .name:           _ZN7rocprim17ROCPRIM_400000_NS6detail17trampoline_kernelINS0_14default_configENS1_35radix_sort_onesweep_config_selectorIjN6thrust23THRUST_200600_302600_NS5tupleIffNS6_9null_typeES8_S8_S8_S8_S8_S8_S8_EEEEZZNS1_29radix_sort_onesweep_iterationIS3_Lb0ENS6_6detail15normal_iteratorINS6_10device_ptrIjEEEESG_NSD_INSE_IS9_EEEESI_jNS0_19identity_decomposerENS1_16block_id_wrapperIjLb0EEEEE10hipError_tT1_PNSt15iterator_traitsISN_E10value_typeET2_T3_PNSO_IST_E10value_typeET4_T5_PSY_SZ_PNS1_23onesweep_lookback_stateEbbT6_jjT7_P12ihipStream_tbENKUlT_T0_SN_SS_E_clIPjSG_PS9_SI_EEDaS16_S17_SN_SS_EUlS16_E_NS1_11comp_targetILNS1_3genE2ELNS1_11target_archE906ELNS1_3gpuE6ELNS1_3repE0EEENS1_47radix_sort_onesweep_sort_config_static_selectorELNS0_4arch9wavefront6targetE0EEEvSN_
    .private_segment_fixed_size: 0
    .sgpr_count:     0
    .sgpr_spill_count: 0
    .symbol:         _ZN7rocprim17ROCPRIM_400000_NS6detail17trampoline_kernelINS0_14default_configENS1_35radix_sort_onesweep_config_selectorIjN6thrust23THRUST_200600_302600_NS5tupleIffNS6_9null_typeES8_S8_S8_S8_S8_S8_S8_EEEEZZNS1_29radix_sort_onesweep_iterationIS3_Lb0ENS6_6detail15normal_iteratorINS6_10device_ptrIjEEEESG_NSD_INSE_IS9_EEEESI_jNS0_19identity_decomposerENS1_16block_id_wrapperIjLb0EEEEE10hipError_tT1_PNSt15iterator_traitsISN_E10value_typeET2_T3_PNSO_IST_E10value_typeET4_T5_PSY_SZ_PNS1_23onesweep_lookback_stateEbbT6_jjT7_P12ihipStream_tbENKUlT_T0_SN_SS_E_clIPjSG_PS9_SI_EEDaS16_S17_SN_SS_EUlS16_E_NS1_11comp_targetILNS1_3genE2ELNS1_11target_archE906ELNS1_3gpuE6ELNS1_3repE0EEENS1_47radix_sort_onesweep_sort_config_static_selectorELNS0_4arch9wavefront6targetE0EEEvSN_.kd
    .uniform_work_group_size: 1
    .uses_dynamic_stack: false
    .vgpr_count:     0
    .vgpr_spill_count: 0
    .wavefront_size: 32
    .workgroup_processor_mode: 1
  - .args:
      - .offset:         0
        .size:           88
        .value_kind:     by_value
    .group_segment_fixed_size: 0
    .kernarg_segment_align: 8
    .kernarg_segment_size: 88
    .language:       OpenCL C
    .language_version:
      - 2
      - 0
    .max_flat_workgroup_size: 512
    .name:           _ZN7rocprim17ROCPRIM_400000_NS6detail17trampoline_kernelINS0_14default_configENS1_35radix_sort_onesweep_config_selectorIjN6thrust23THRUST_200600_302600_NS5tupleIffNS6_9null_typeES8_S8_S8_S8_S8_S8_S8_EEEEZZNS1_29radix_sort_onesweep_iterationIS3_Lb0ENS6_6detail15normal_iteratorINS6_10device_ptrIjEEEESG_NSD_INSE_IS9_EEEESI_jNS0_19identity_decomposerENS1_16block_id_wrapperIjLb0EEEEE10hipError_tT1_PNSt15iterator_traitsISN_E10value_typeET2_T3_PNSO_IST_E10value_typeET4_T5_PSY_SZ_PNS1_23onesweep_lookback_stateEbbT6_jjT7_P12ihipStream_tbENKUlT_T0_SN_SS_E_clIPjSG_PS9_SI_EEDaS16_S17_SN_SS_EUlS16_E_NS1_11comp_targetILNS1_3genE4ELNS1_11target_archE910ELNS1_3gpuE8ELNS1_3repE0EEENS1_47radix_sort_onesweep_sort_config_static_selectorELNS0_4arch9wavefront6targetE0EEEvSN_
    .private_segment_fixed_size: 0
    .sgpr_count:     0
    .sgpr_spill_count: 0
    .symbol:         _ZN7rocprim17ROCPRIM_400000_NS6detail17trampoline_kernelINS0_14default_configENS1_35radix_sort_onesweep_config_selectorIjN6thrust23THRUST_200600_302600_NS5tupleIffNS6_9null_typeES8_S8_S8_S8_S8_S8_S8_EEEEZZNS1_29radix_sort_onesweep_iterationIS3_Lb0ENS6_6detail15normal_iteratorINS6_10device_ptrIjEEEESG_NSD_INSE_IS9_EEEESI_jNS0_19identity_decomposerENS1_16block_id_wrapperIjLb0EEEEE10hipError_tT1_PNSt15iterator_traitsISN_E10value_typeET2_T3_PNSO_IST_E10value_typeET4_T5_PSY_SZ_PNS1_23onesweep_lookback_stateEbbT6_jjT7_P12ihipStream_tbENKUlT_T0_SN_SS_E_clIPjSG_PS9_SI_EEDaS16_S17_SN_SS_EUlS16_E_NS1_11comp_targetILNS1_3genE4ELNS1_11target_archE910ELNS1_3gpuE8ELNS1_3repE0EEENS1_47radix_sort_onesweep_sort_config_static_selectorELNS0_4arch9wavefront6targetE0EEEvSN_.kd
    .uniform_work_group_size: 1
    .uses_dynamic_stack: false
    .vgpr_count:     0
    .vgpr_spill_count: 0
    .wavefront_size: 32
    .workgroup_processor_mode: 1
  - .args:
      - .offset:         0
        .size:           88
        .value_kind:     by_value
    .group_segment_fixed_size: 0
    .kernarg_segment_align: 8
    .kernarg_segment_size: 88
    .language:       OpenCL C
    .language_version:
      - 2
      - 0
    .max_flat_workgroup_size: 512
    .name:           _ZN7rocprim17ROCPRIM_400000_NS6detail17trampoline_kernelINS0_14default_configENS1_35radix_sort_onesweep_config_selectorIjN6thrust23THRUST_200600_302600_NS5tupleIffNS6_9null_typeES8_S8_S8_S8_S8_S8_S8_EEEEZZNS1_29radix_sort_onesweep_iterationIS3_Lb0ENS6_6detail15normal_iteratorINS6_10device_ptrIjEEEESG_NSD_INSE_IS9_EEEESI_jNS0_19identity_decomposerENS1_16block_id_wrapperIjLb0EEEEE10hipError_tT1_PNSt15iterator_traitsISN_E10value_typeET2_T3_PNSO_IST_E10value_typeET4_T5_PSY_SZ_PNS1_23onesweep_lookback_stateEbbT6_jjT7_P12ihipStream_tbENKUlT_T0_SN_SS_E_clIPjSG_PS9_SI_EEDaS16_S17_SN_SS_EUlS16_E_NS1_11comp_targetILNS1_3genE3ELNS1_11target_archE908ELNS1_3gpuE7ELNS1_3repE0EEENS1_47radix_sort_onesweep_sort_config_static_selectorELNS0_4arch9wavefront6targetE0EEEvSN_
    .private_segment_fixed_size: 0
    .sgpr_count:     0
    .sgpr_spill_count: 0
    .symbol:         _ZN7rocprim17ROCPRIM_400000_NS6detail17trampoline_kernelINS0_14default_configENS1_35radix_sort_onesweep_config_selectorIjN6thrust23THRUST_200600_302600_NS5tupleIffNS6_9null_typeES8_S8_S8_S8_S8_S8_S8_EEEEZZNS1_29radix_sort_onesweep_iterationIS3_Lb0ENS6_6detail15normal_iteratorINS6_10device_ptrIjEEEESG_NSD_INSE_IS9_EEEESI_jNS0_19identity_decomposerENS1_16block_id_wrapperIjLb0EEEEE10hipError_tT1_PNSt15iterator_traitsISN_E10value_typeET2_T3_PNSO_IST_E10value_typeET4_T5_PSY_SZ_PNS1_23onesweep_lookback_stateEbbT6_jjT7_P12ihipStream_tbENKUlT_T0_SN_SS_E_clIPjSG_PS9_SI_EEDaS16_S17_SN_SS_EUlS16_E_NS1_11comp_targetILNS1_3genE3ELNS1_11target_archE908ELNS1_3gpuE7ELNS1_3repE0EEENS1_47radix_sort_onesweep_sort_config_static_selectorELNS0_4arch9wavefront6targetE0EEEvSN_.kd
    .uniform_work_group_size: 1
    .uses_dynamic_stack: false
    .vgpr_count:     0
    .vgpr_spill_count: 0
    .wavefront_size: 32
    .workgroup_processor_mode: 1
  - .args:
      - .offset:         0
        .size:           88
        .value_kind:     by_value
      - .offset:         88
        .size:           4
        .value_kind:     hidden_block_count_x
      - .offset:         92
        .size:           4
        .value_kind:     hidden_block_count_y
      - .offset:         96
        .size:           4
        .value_kind:     hidden_block_count_z
      - .offset:         100
        .size:           2
        .value_kind:     hidden_group_size_x
      - .offset:         102
        .size:           2
        .value_kind:     hidden_group_size_y
      - .offset:         104
        .size:           2
        .value_kind:     hidden_group_size_z
      - .offset:         106
        .size:           2
        .value_kind:     hidden_remainder_x
      - .offset:         108
        .size:           2
        .value_kind:     hidden_remainder_y
      - .offset:         110
        .size:           2
        .value_kind:     hidden_remainder_z
      - .offset:         128
        .size:           8
        .value_kind:     hidden_global_offset_x
      - .offset:         136
        .size:           8
        .value_kind:     hidden_global_offset_y
      - .offset:         144
        .size:           8
        .value_kind:     hidden_global_offset_z
      - .offset:         152
        .size:           2
        .value_kind:     hidden_grid_dims
    .group_segment_fixed_size: 37000
    .kernarg_segment_align: 8
    .kernarg_segment_size: 344
    .language:       OpenCL C
    .language_version:
      - 2
      - 0
    .max_flat_workgroup_size: 1024
    .name:           _ZN7rocprim17ROCPRIM_400000_NS6detail17trampoline_kernelINS0_14default_configENS1_35radix_sort_onesweep_config_selectorIjN6thrust23THRUST_200600_302600_NS5tupleIffNS6_9null_typeES8_S8_S8_S8_S8_S8_S8_EEEEZZNS1_29radix_sort_onesweep_iterationIS3_Lb0ENS6_6detail15normal_iteratorINS6_10device_ptrIjEEEESG_NSD_INSE_IS9_EEEESI_jNS0_19identity_decomposerENS1_16block_id_wrapperIjLb0EEEEE10hipError_tT1_PNSt15iterator_traitsISN_E10value_typeET2_T3_PNSO_IST_E10value_typeET4_T5_PSY_SZ_PNS1_23onesweep_lookback_stateEbbT6_jjT7_P12ihipStream_tbENKUlT_T0_SN_SS_E_clIPjSG_PS9_SI_EEDaS16_S17_SN_SS_EUlS16_E_NS1_11comp_targetILNS1_3genE10ELNS1_11target_archE1201ELNS1_3gpuE5ELNS1_3repE0EEENS1_47radix_sort_onesweep_sort_config_static_selectorELNS0_4arch9wavefront6targetE0EEEvSN_
    .private_segment_fixed_size: 80
    .sgpr_count:     51
    .sgpr_spill_count: 0
    .symbol:         _ZN7rocprim17ROCPRIM_400000_NS6detail17trampoline_kernelINS0_14default_configENS1_35radix_sort_onesweep_config_selectorIjN6thrust23THRUST_200600_302600_NS5tupleIffNS6_9null_typeES8_S8_S8_S8_S8_S8_S8_EEEEZZNS1_29radix_sort_onesweep_iterationIS3_Lb0ENS6_6detail15normal_iteratorINS6_10device_ptrIjEEEESG_NSD_INSE_IS9_EEEESI_jNS0_19identity_decomposerENS1_16block_id_wrapperIjLb0EEEEE10hipError_tT1_PNSt15iterator_traitsISN_E10value_typeET2_T3_PNSO_IST_E10value_typeET4_T5_PSY_SZ_PNS1_23onesweep_lookback_stateEbbT6_jjT7_P12ihipStream_tbENKUlT_T0_SN_SS_E_clIPjSG_PS9_SI_EEDaS16_S17_SN_SS_EUlS16_E_NS1_11comp_targetILNS1_3genE10ELNS1_11target_archE1201ELNS1_3gpuE5ELNS1_3repE0EEENS1_47radix_sort_onesweep_sort_config_static_selectorELNS0_4arch9wavefront6targetE0EEEvSN_.kd
    .uniform_work_group_size: 1
    .uses_dynamic_stack: false
    .vgpr_count:     81
    .vgpr_spill_count: 0
    .wavefront_size: 32
    .workgroup_processor_mode: 1
  - .args:
      - .offset:         0
        .size:           88
        .value_kind:     by_value
    .group_segment_fixed_size: 0
    .kernarg_segment_align: 8
    .kernarg_segment_size: 88
    .language:       OpenCL C
    .language_version:
      - 2
      - 0
    .max_flat_workgroup_size: 1024
    .name:           _ZN7rocprim17ROCPRIM_400000_NS6detail17trampoline_kernelINS0_14default_configENS1_35radix_sort_onesweep_config_selectorIjN6thrust23THRUST_200600_302600_NS5tupleIffNS6_9null_typeES8_S8_S8_S8_S8_S8_S8_EEEEZZNS1_29radix_sort_onesweep_iterationIS3_Lb0ENS6_6detail15normal_iteratorINS6_10device_ptrIjEEEESG_NSD_INSE_IS9_EEEESI_jNS0_19identity_decomposerENS1_16block_id_wrapperIjLb0EEEEE10hipError_tT1_PNSt15iterator_traitsISN_E10value_typeET2_T3_PNSO_IST_E10value_typeET4_T5_PSY_SZ_PNS1_23onesweep_lookback_stateEbbT6_jjT7_P12ihipStream_tbENKUlT_T0_SN_SS_E_clIPjSG_PS9_SI_EEDaS16_S17_SN_SS_EUlS16_E_NS1_11comp_targetILNS1_3genE9ELNS1_11target_archE1100ELNS1_3gpuE3ELNS1_3repE0EEENS1_47radix_sort_onesweep_sort_config_static_selectorELNS0_4arch9wavefront6targetE0EEEvSN_
    .private_segment_fixed_size: 0
    .sgpr_count:     0
    .sgpr_spill_count: 0
    .symbol:         _ZN7rocprim17ROCPRIM_400000_NS6detail17trampoline_kernelINS0_14default_configENS1_35radix_sort_onesweep_config_selectorIjN6thrust23THRUST_200600_302600_NS5tupleIffNS6_9null_typeES8_S8_S8_S8_S8_S8_S8_EEEEZZNS1_29radix_sort_onesweep_iterationIS3_Lb0ENS6_6detail15normal_iteratorINS6_10device_ptrIjEEEESG_NSD_INSE_IS9_EEEESI_jNS0_19identity_decomposerENS1_16block_id_wrapperIjLb0EEEEE10hipError_tT1_PNSt15iterator_traitsISN_E10value_typeET2_T3_PNSO_IST_E10value_typeET4_T5_PSY_SZ_PNS1_23onesweep_lookback_stateEbbT6_jjT7_P12ihipStream_tbENKUlT_T0_SN_SS_E_clIPjSG_PS9_SI_EEDaS16_S17_SN_SS_EUlS16_E_NS1_11comp_targetILNS1_3genE9ELNS1_11target_archE1100ELNS1_3gpuE3ELNS1_3repE0EEENS1_47radix_sort_onesweep_sort_config_static_selectorELNS0_4arch9wavefront6targetE0EEEvSN_.kd
    .uniform_work_group_size: 1
    .uses_dynamic_stack: false
    .vgpr_count:     0
    .vgpr_spill_count: 0
    .wavefront_size: 32
    .workgroup_processor_mode: 1
  - .args:
      - .offset:         0
        .size:           88
        .value_kind:     by_value
    .group_segment_fixed_size: 0
    .kernarg_segment_align: 8
    .kernarg_segment_size: 88
    .language:       OpenCL C
    .language_version:
      - 2
      - 0
    .max_flat_workgroup_size: 1024
    .name:           _ZN7rocprim17ROCPRIM_400000_NS6detail17trampoline_kernelINS0_14default_configENS1_35radix_sort_onesweep_config_selectorIjN6thrust23THRUST_200600_302600_NS5tupleIffNS6_9null_typeES8_S8_S8_S8_S8_S8_S8_EEEEZZNS1_29radix_sort_onesweep_iterationIS3_Lb0ENS6_6detail15normal_iteratorINS6_10device_ptrIjEEEESG_NSD_INSE_IS9_EEEESI_jNS0_19identity_decomposerENS1_16block_id_wrapperIjLb0EEEEE10hipError_tT1_PNSt15iterator_traitsISN_E10value_typeET2_T3_PNSO_IST_E10value_typeET4_T5_PSY_SZ_PNS1_23onesweep_lookback_stateEbbT6_jjT7_P12ihipStream_tbENKUlT_T0_SN_SS_E_clIPjSG_PS9_SI_EEDaS16_S17_SN_SS_EUlS16_E_NS1_11comp_targetILNS1_3genE8ELNS1_11target_archE1030ELNS1_3gpuE2ELNS1_3repE0EEENS1_47radix_sort_onesweep_sort_config_static_selectorELNS0_4arch9wavefront6targetE0EEEvSN_
    .private_segment_fixed_size: 0
    .sgpr_count:     0
    .sgpr_spill_count: 0
    .symbol:         _ZN7rocprim17ROCPRIM_400000_NS6detail17trampoline_kernelINS0_14default_configENS1_35radix_sort_onesweep_config_selectorIjN6thrust23THRUST_200600_302600_NS5tupleIffNS6_9null_typeES8_S8_S8_S8_S8_S8_S8_EEEEZZNS1_29radix_sort_onesweep_iterationIS3_Lb0ENS6_6detail15normal_iteratorINS6_10device_ptrIjEEEESG_NSD_INSE_IS9_EEEESI_jNS0_19identity_decomposerENS1_16block_id_wrapperIjLb0EEEEE10hipError_tT1_PNSt15iterator_traitsISN_E10value_typeET2_T3_PNSO_IST_E10value_typeET4_T5_PSY_SZ_PNS1_23onesweep_lookback_stateEbbT6_jjT7_P12ihipStream_tbENKUlT_T0_SN_SS_E_clIPjSG_PS9_SI_EEDaS16_S17_SN_SS_EUlS16_E_NS1_11comp_targetILNS1_3genE8ELNS1_11target_archE1030ELNS1_3gpuE2ELNS1_3repE0EEENS1_47radix_sort_onesweep_sort_config_static_selectorELNS0_4arch9wavefront6targetE0EEEvSN_.kd
    .uniform_work_group_size: 1
    .uses_dynamic_stack: false
    .vgpr_count:     0
    .vgpr_spill_count: 0
    .wavefront_size: 32
    .workgroup_processor_mode: 1
  - .args:
      - .offset:         0
        .size:           24
        .value_kind:     by_value
      - .offset:         24
        .size:           8
        .value_kind:     by_value
      - .offset:         32
        .size:           8
        .value_kind:     by_value
    .group_segment_fixed_size: 0
    .kernarg_segment_align: 8
    .kernarg_segment_size: 40
    .language:       OpenCL C
    .language_version:
      - 2
      - 0
    .max_flat_workgroup_size: 256
    .name:           _ZN6thrust23THRUST_200600_302600_NS11hip_rocprim14__parallel_for6kernelILj256ENS1_11__transform17unary_transform_fINS0_10device_ptrINS0_5tupleIffNS0_9null_typeES8_S8_S8_S8_S8_S8_S8_EEEESA_NS4_14no_stencil_tagENS0_8identityIS9_EENS4_21always_true_predicateEEElLj1EEEvT0_T1_SH_
    .private_segment_fixed_size: 0
    .sgpr_count:     14
    .sgpr_spill_count: 0
    .symbol:         _ZN6thrust23THRUST_200600_302600_NS11hip_rocprim14__parallel_for6kernelILj256ENS1_11__transform17unary_transform_fINS0_10device_ptrINS0_5tupleIffNS0_9null_typeES8_S8_S8_S8_S8_S8_S8_EEEESA_NS4_14no_stencil_tagENS0_8identityIS9_EENS4_21always_true_predicateEEElLj1EEEvT0_T1_SH_.kd
    .uniform_work_group_size: 1
    .uses_dynamic_stack: false
    .vgpr_count:     5
    .vgpr_spill_count: 0
    .wavefront_size: 32
    .workgroup_processor_mode: 1
  - .args:
      - .offset:         0
        .size:           56
        .value_kind:     by_value
    .group_segment_fixed_size: 0
    .kernarg_segment_align: 8
    .kernarg_segment_size: 56
    .language:       OpenCL C
    .language_version:
      - 2
      - 0
    .max_flat_workgroup_size: 64
    .name:           _ZN7rocprim17ROCPRIM_400000_NS6detail17trampoline_kernelINS0_14default_configENS1_27lower_bound_config_selectorIjjEEZNS1_14transform_implILb0ES3_S5_N6thrust23THRUST_200600_302600_NS17counting_iteratorIjNS8_11use_defaultESA_SA_EENS8_6detail15normal_iteratorINS8_10device_ptrIjEEEEZNS1_13binary_searchIS3_S5_SG_SB_SG_NS1_21lower_bound_search_opENSC_16wrapped_functionINS0_4lessIvEEbEEEE10hipError_tPvRmT1_T2_T3_mmT4_T5_P12ihipStream_tbEUlRKjE_EESN_SR_SS_mST_SW_bEUlT_E_NS1_11comp_targetILNS1_3genE0ELNS1_11target_archE4294967295ELNS1_3gpuE0ELNS1_3repE0EEENS1_30default_config_static_selectorELNS0_4arch9wavefront6targetE0EEEvSQ_
    .private_segment_fixed_size: 0
    .sgpr_count:     0
    .sgpr_spill_count: 0
    .symbol:         _ZN7rocprim17ROCPRIM_400000_NS6detail17trampoline_kernelINS0_14default_configENS1_27lower_bound_config_selectorIjjEEZNS1_14transform_implILb0ES3_S5_N6thrust23THRUST_200600_302600_NS17counting_iteratorIjNS8_11use_defaultESA_SA_EENS8_6detail15normal_iteratorINS8_10device_ptrIjEEEEZNS1_13binary_searchIS3_S5_SG_SB_SG_NS1_21lower_bound_search_opENSC_16wrapped_functionINS0_4lessIvEEbEEEE10hipError_tPvRmT1_T2_T3_mmT4_T5_P12ihipStream_tbEUlRKjE_EESN_SR_SS_mST_SW_bEUlT_E_NS1_11comp_targetILNS1_3genE0ELNS1_11target_archE4294967295ELNS1_3gpuE0ELNS1_3repE0EEENS1_30default_config_static_selectorELNS0_4arch9wavefront6targetE0EEEvSQ_.kd
    .uniform_work_group_size: 1
    .uses_dynamic_stack: false
    .vgpr_count:     0
    .vgpr_spill_count: 0
    .wavefront_size: 32
    .workgroup_processor_mode: 1
  - .args:
      - .offset:         0
        .size:           56
        .value_kind:     by_value
    .group_segment_fixed_size: 0
    .kernarg_segment_align: 8
    .kernarg_segment_size: 56
    .language:       OpenCL C
    .language_version:
      - 2
      - 0
    .max_flat_workgroup_size: 256
    .name:           _ZN7rocprim17ROCPRIM_400000_NS6detail17trampoline_kernelINS0_14default_configENS1_27lower_bound_config_selectorIjjEEZNS1_14transform_implILb0ES3_S5_N6thrust23THRUST_200600_302600_NS17counting_iteratorIjNS8_11use_defaultESA_SA_EENS8_6detail15normal_iteratorINS8_10device_ptrIjEEEEZNS1_13binary_searchIS3_S5_SG_SB_SG_NS1_21lower_bound_search_opENSC_16wrapped_functionINS0_4lessIvEEbEEEE10hipError_tPvRmT1_T2_T3_mmT4_T5_P12ihipStream_tbEUlRKjE_EESN_SR_SS_mST_SW_bEUlT_E_NS1_11comp_targetILNS1_3genE5ELNS1_11target_archE942ELNS1_3gpuE9ELNS1_3repE0EEENS1_30default_config_static_selectorELNS0_4arch9wavefront6targetE0EEEvSQ_
    .private_segment_fixed_size: 0
    .sgpr_count:     0
    .sgpr_spill_count: 0
    .symbol:         _ZN7rocprim17ROCPRIM_400000_NS6detail17trampoline_kernelINS0_14default_configENS1_27lower_bound_config_selectorIjjEEZNS1_14transform_implILb0ES3_S5_N6thrust23THRUST_200600_302600_NS17counting_iteratorIjNS8_11use_defaultESA_SA_EENS8_6detail15normal_iteratorINS8_10device_ptrIjEEEEZNS1_13binary_searchIS3_S5_SG_SB_SG_NS1_21lower_bound_search_opENSC_16wrapped_functionINS0_4lessIvEEbEEEE10hipError_tPvRmT1_T2_T3_mmT4_T5_P12ihipStream_tbEUlRKjE_EESN_SR_SS_mST_SW_bEUlT_E_NS1_11comp_targetILNS1_3genE5ELNS1_11target_archE942ELNS1_3gpuE9ELNS1_3repE0EEENS1_30default_config_static_selectorELNS0_4arch9wavefront6targetE0EEEvSQ_.kd
    .uniform_work_group_size: 1
    .uses_dynamic_stack: false
    .vgpr_count:     0
    .vgpr_spill_count: 0
    .wavefront_size: 32
    .workgroup_processor_mode: 1
  - .args:
      - .offset:         0
        .size:           56
        .value_kind:     by_value
    .group_segment_fixed_size: 0
    .kernarg_segment_align: 8
    .kernarg_segment_size: 56
    .language:       OpenCL C
    .language_version:
      - 2
      - 0
    .max_flat_workgroup_size: 256
    .name:           _ZN7rocprim17ROCPRIM_400000_NS6detail17trampoline_kernelINS0_14default_configENS1_27lower_bound_config_selectorIjjEEZNS1_14transform_implILb0ES3_S5_N6thrust23THRUST_200600_302600_NS17counting_iteratorIjNS8_11use_defaultESA_SA_EENS8_6detail15normal_iteratorINS8_10device_ptrIjEEEEZNS1_13binary_searchIS3_S5_SG_SB_SG_NS1_21lower_bound_search_opENSC_16wrapped_functionINS0_4lessIvEEbEEEE10hipError_tPvRmT1_T2_T3_mmT4_T5_P12ihipStream_tbEUlRKjE_EESN_SR_SS_mST_SW_bEUlT_E_NS1_11comp_targetILNS1_3genE4ELNS1_11target_archE910ELNS1_3gpuE8ELNS1_3repE0EEENS1_30default_config_static_selectorELNS0_4arch9wavefront6targetE0EEEvSQ_
    .private_segment_fixed_size: 0
    .sgpr_count:     0
    .sgpr_spill_count: 0
    .symbol:         _ZN7rocprim17ROCPRIM_400000_NS6detail17trampoline_kernelINS0_14default_configENS1_27lower_bound_config_selectorIjjEEZNS1_14transform_implILb0ES3_S5_N6thrust23THRUST_200600_302600_NS17counting_iteratorIjNS8_11use_defaultESA_SA_EENS8_6detail15normal_iteratorINS8_10device_ptrIjEEEEZNS1_13binary_searchIS3_S5_SG_SB_SG_NS1_21lower_bound_search_opENSC_16wrapped_functionINS0_4lessIvEEbEEEE10hipError_tPvRmT1_T2_T3_mmT4_T5_P12ihipStream_tbEUlRKjE_EESN_SR_SS_mST_SW_bEUlT_E_NS1_11comp_targetILNS1_3genE4ELNS1_11target_archE910ELNS1_3gpuE8ELNS1_3repE0EEENS1_30default_config_static_selectorELNS0_4arch9wavefront6targetE0EEEvSQ_.kd
    .uniform_work_group_size: 1
    .uses_dynamic_stack: false
    .vgpr_count:     0
    .vgpr_spill_count: 0
    .wavefront_size: 32
    .workgroup_processor_mode: 1
  - .args:
      - .offset:         0
        .size:           56
        .value_kind:     by_value
    .group_segment_fixed_size: 0
    .kernarg_segment_align: 8
    .kernarg_segment_size: 56
    .language:       OpenCL C
    .language_version:
      - 2
      - 0
    .max_flat_workgroup_size: 64
    .name:           _ZN7rocprim17ROCPRIM_400000_NS6detail17trampoline_kernelINS0_14default_configENS1_27lower_bound_config_selectorIjjEEZNS1_14transform_implILb0ES3_S5_N6thrust23THRUST_200600_302600_NS17counting_iteratorIjNS8_11use_defaultESA_SA_EENS8_6detail15normal_iteratorINS8_10device_ptrIjEEEEZNS1_13binary_searchIS3_S5_SG_SB_SG_NS1_21lower_bound_search_opENSC_16wrapped_functionINS0_4lessIvEEbEEEE10hipError_tPvRmT1_T2_T3_mmT4_T5_P12ihipStream_tbEUlRKjE_EESN_SR_SS_mST_SW_bEUlT_E_NS1_11comp_targetILNS1_3genE3ELNS1_11target_archE908ELNS1_3gpuE7ELNS1_3repE0EEENS1_30default_config_static_selectorELNS0_4arch9wavefront6targetE0EEEvSQ_
    .private_segment_fixed_size: 0
    .sgpr_count:     0
    .sgpr_spill_count: 0
    .symbol:         _ZN7rocprim17ROCPRIM_400000_NS6detail17trampoline_kernelINS0_14default_configENS1_27lower_bound_config_selectorIjjEEZNS1_14transform_implILb0ES3_S5_N6thrust23THRUST_200600_302600_NS17counting_iteratorIjNS8_11use_defaultESA_SA_EENS8_6detail15normal_iteratorINS8_10device_ptrIjEEEEZNS1_13binary_searchIS3_S5_SG_SB_SG_NS1_21lower_bound_search_opENSC_16wrapped_functionINS0_4lessIvEEbEEEE10hipError_tPvRmT1_T2_T3_mmT4_T5_P12ihipStream_tbEUlRKjE_EESN_SR_SS_mST_SW_bEUlT_E_NS1_11comp_targetILNS1_3genE3ELNS1_11target_archE908ELNS1_3gpuE7ELNS1_3repE0EEENS1_30default_config_static_selectorELNS0_4arch9wavefront6targetE0EEEvSQ_.kd
    .uniform_work_group_size: 1
    .uses_dynamic_stack: false
    .vgpr_count:     0
    .vgpr_spill_count: 0
    .wavefront_size: 32
    .workgroup_processor_mode: 1
  - .args:
      - .offset:         0
        .size:           56
        .value_kind:     by_value
    .group_segment_fixed_size: 0
    .kernarg_segment_align: 8
    .kernarg_segment_size: 56
    .language:       OpenCL C
    .language_version:
      - 2
      - 0
    .max_flat_workgroup_size: 256
    .name:           _ZN7rocprim17ROCPRIM_400000_NS6detail17trampoline_kernelINS0_14default_configENS1_27lower_bound_config_selectorIjjEEZNS1_14transform_implILb0ES3_S5_N6thrust23THRUST_200600_302600_NS17counting_iteratorIjNS8_11use_defaultESA_SA_EENS8_6detail15normal_iteratorINS8_10device_ptrIjEEEEZNS1_13binary_searchIS3_S5_SG_SB_SG_NS1_21lower_bound_search_opENSC_16wrapped_functionINS0_4lessIvEEbEEEE10hipError_tPvRmT1_T2_T3_mmT4_T5_P12ihipStream_tbEUlRKjE_EESN_SR_SS_mST_SW_bEUlT_E_NS1_11comp_targetILNS1_3genE2ELNS1_11target_archE906ELNS1_3gpuE6ELNS1_3repE0EEENS1_30default_config_static_selectorELNS0_4arch9wavefront6targetE0EEEvSQ_
    .private_segment_fixed_size: 0
    .sgpr_count:     0
    .sgpr_spill_count: 0
    .symbol:         _ZN7rocprim17ROCPRIM_400000_NS6detail17trampoline_kernelINS0_14default_configENS1_27lower_bound_config_selectorIjjEEZNS1_14transform_implILb0ES3_S5_N6thrust23THRUST_200600_302600_NS17counting_iteratorIjNS8_11use_defaultESA_SA_EENS8_6detail15normal_iteratorINS8_10device_ptrIjEEEEZNS1_13binary_searchIS3_S5_SG_SB_SG_NS1_21lower_bound_search_opENSC_16wrapped_functionINS0_4lessIvEEbEEEE10hipError_tPvRmT1_T2_T3_mmT4_T5_P12ihipStream_tbEUlRKjE_EESN_SR_SS_mST_SW_bEUlT_E_NS1_11comp_targetILNS1_3genE2ELNS1_11target_archE906ELNS1_3gpuE6ELNS1_3repE0EEENS1_30default_config_static_selectorELNS0_4arch9wavefront6targetE0EEEvSQ_.kd
    .uniform_work_group_size: 1
    .uses_dynamic_stack: false
    .vgpr_count:     0
    .vgpr_spill_count: 0
    .wavefront_size: 32
    .workgroup_processor_mode: 1
  - .args:
      - .offset:         0
        .size:           56
        .value_kind:     by_value
      - .offset:         56
        .size:           4
        .value_kind:     hidden_block_count_x
      - .offset:         60
        .size:           4
        .value_kind:     hidden_block_count_y
      - .offset:         64
        .size:           4
        .value_kind:     hidden_block_count_z
      - .offset:         68
        .size:           2
        .value_kind:     hidden_group_size_x
      - .offset:         70
        .size:           2
        .value_kind:     hidden_group_size_y
      - .offset:         72
        .size:           2
        .value_kind:     hidden_group_size_z
      - .offset:         74
        .size:           2
        .value_kind:     hidden_remainder_x
      - .offset:         76
        .size:           2
        .value_kind:     hidden_remainder_y
      - .offset:         78
        .size:           2
        .value_kind:     hidden_remainder_z
      - .offset:         96
        .size:           8
        .value_kind:     hidden_global_offset_x
      - .offset:         104
        .size:           8
        .value_kind:     hidden_global_offset_y
      - .offset:         112
        .size:           8
        .value_kind:     hidden_global_offset_z
      - .offset:         120
        .size:           2
        .value_kind:     hidden_grid_dims
    .group_segment_fixed_size: 0
    .kernarg_segment_align: 8
    .kernarg_segment_size: 312
    .language:       OpenCL C
    .language_version:
      - 2
      - 0
    .max_flat_workgroup_size: 128
    .name:           _ZN7rocprim17ROCPRIM_400000_NS6detail17trampoline_kernelINS0_14default_configENS1_27lower_bound_config_selectorIjjEEZNS1_14transform_implILb0ES3_S5_N6thrust23THRUST_200600_302600_NS17counting_iteratorIjNS8_11use_defaultESA_SA_EENS8_6detail15normal_iteratorINS8_10device_ptrIjEEEEZNS1_13binary_searchIS3_S5_SG_SB_SG_NS1_21lower_bound_search_opENSC_16wrapped_functionINS0_4lessIvEEbEEEE10hipError_tPvRmT1_T2_T3_mmT4_T5_P12ihipStream_tbEUlRKjE_EESN_SR_SS_mST_SW_bEUlT_E_NS1_11comp_targetILNS1_3genE10ELNS1_11target_archE1201ELNS1_3gpuE5ELNS1_3repE0EEENS1_30default_config_static_selectorELNS0_4arch9wavefront6targetE0EEEvSQ_
    .private_segment_fixed_size: 0
    .sgpr_count:     17
    .sgpr_spill_count: 0
    .symbol:         _ZN7rocprim17ROCPRIM_400000_NS6detail17trampoline_kernelINS0_14default_configENS1_27lower_bound_config_selectorIjjEEZNS1_14transform_implILb0ES3_S5_N6thrust23THRUST_200600_302600_NS17counting_iteratorIjNS8_11use_defaultESA_SA_EENS8_6detail15normal_iteratorINS8_10device_ptrIjEEEEZNS1_13binary_searchIS3_S5_SG_SB_SG_NS1_21lower_bound_search_opENSC_16wrapped_functionINS0_4lessIvEEbEEEE10hipError_tPvRmT1_T2_T3_mmT4_T5_P12ihipStream_tbEUlRKjE_EESN_SR_SS_mST_SW_bEUlT_E_NS1_11comp_targetILNS1_3genE10ELNS1_11target_archE1201ELNS1_3gpuE5ELNS1_3repE0EEENS1_30default_config_static_selectorELNS0_4arch9wavefront6targetE0EEEvSQ_.kd
    .uniform_work_group_size: 1
    .uses_dynamic_stack: false
    .vgpr_count:     11
    .vgpr_spill_count: 0
    .wavefront_size: 32
    .workgroup_processor_mode: 1
  - .args:
      - .offset:         0
        .size:           56
        .value_kind:     by_value
    .group_segment_fixed_size: 0
    .kernarg_segment_align: 8
    .kernarg_segment_size: 56
    .language:       OpenCL C
    .language_version:
      - 2
      - 0
    .max_flat_workgroup_size: 128
    .name:           _ZN7rocprim17ROCPRIM_400000_NS6detail17trampoline_kernelINS0_14default_configENS1_27lower_bound_config_selectorIjjEEZNS1_14transform_implILb0ES3_S5_N6thrust23THRUST_200600_302600_NS17counting_iteratorIjNS8_11use_defaultESA_SA_EENS8_6detail15normal_iteratorINS8_10device_ptrIjEEEEZNS1_13binary_searchIS3_S5_SG_SB_SG_NS1_21lower_bound_search_opENSC_16wrapped_functionINS0_4lessIvEEbEEEE10hipError_tPvRmT1_T2_T3_mmT4_T5_P12ihipStream_tbEUlRKjE_EESN_SR_SS_mST_SW_bEUlT_E_NS1_11comp_targetILNS1_3genE10ELNS1_11target_archE1200ELNS1_3gpuE4ELNS1_3repE0EEENS1_30default_config_static_selectorELNS0_4arch9wavefront6targetE0EEEvSQ_
    .private_segment_fixed_size: 0
    .sgpr_count:     0
    .sgpr_spill_count: 0
    .symbol:         _ZN7rocprim17ROCPRIM_400000_NS6detail17trampoline_kernelINS0_14default_configENS1_27lower_bound_config_selectorIjjEEZNS1_14transform_implILb0ES3_S5_N6thrust23THRUST_200600_302600_NS17counting_iteratorIjNS8_11use_defaultESA_SA_EENS8_6detail15normal_iteratorINS8_10device_ptrIjEEEEZNS1_13binary_searchIS3_S5_SG_SB_SG_NS1_21lower_bound_search_opENSC_16wrapped_functionINS0_4lessIvEEbEEEE10hipError_tPvRmT1_T2_T3_mmT4_T5_P12ihipStream_tbEUlRKjE_EESN_SR_SS_mST_SW_bEUlT_E_NS1_11comp_targetILNS1_3genE10ELNS1_11target_archE1200ELNS1_3gpuE4ELNS1_3repE0EEENS1_30default_config_static_selectorELNS0_4arch9wavefront6targetE0EEEvSQ_.kd
    .uniform_work_group_size: 1
    .uses_dynamic_stack: false
    .vgpr_count:     0
    .vgpr_spill_count: 0
    .wavefront_size: 32
    .workgroup_processor_mode: 1
  - .args:
      - .offset:         0
        .size:           56
        .value_kind:     by_value
    .group_segment_fixed_size: 0
    .kernarg_segment_align: 8
    .kernarg_segment_size: 56
    .language:       OpenCL C
    .language_version:
      - 2
      - 0
    .max_flat_workgroup_size: 128
    .name:           _ZN7rocprim17ROCPRIM_400000_NS6detail17trampoline_kernelINS0_14default_configENS1_27lower_bound_config_selectorIjjEEZNS1_14transform_implILb0ES3_S5_N6thrust23THRUST_200600_302600_NS17counting_iteratorIjNS8_11use_defaultESA_SA_EENS8_6detail15normal_iteratorINS8_10device_ptrIjEEEEZNS1_13binary_searchIS3_S5_SG_SB_SG_NS1_21lower_bound_search_opENSC_16wrapped_functionINS0_4lessIvEEbEEEE10hipError_tPvRmT1_T2_T3_mmT4_T5_P12ihipStream_tbEUlRKjE_EESN_SR_SS_mST_SW_bEUlT_E_NS1_11comp_targetILNS1_3genE9ELNS1_11target_archE1100ELNS1_3gpuE3ELNS1_3repE0EEENS1_30default_config_static_selectorELNS0_4arch9wavefront6targetE0EEEvSQ_
    .private_segment_fixed_size: 0
    .sgpr_count:     0
    .sgpr_spill_count: 0
    .symbol:         _ZN7rocprim17ROCPRIM_400000_NS6detail17trampoline_kernelINS0_14default_configENS1_27lower_bound_config_selectorIjjEEZNS1_14transform_implILb0ES3_S5_N6thrust23THRUST_200600_302600_NS17counting_iteratorIjNS8_11use_defaultESA_SA_EENS8_6detail15normal_iteratorINS8_10device_ptrIjEEEEZNS1_13binary_searchIS3_S5_SG_SB_SG_NS1_21lower_bound_search_opENSC_16wrapped_functionINS0_4lessIvEEbEEEE10hipError_tPvRmT1_T2_T3_mmT4_T5_P12ihipStream_tbEUlRKjE_EESN_SR_SS_mST_SW_bEUlT_E_NS1_11comp_targetILNS1_3genE9ELNS1_11target_archE1100ELNS1_3gpuE3ELNS1_3repE0EEENS1_30default_config_static_selectorELNS0_4arch9wavefront6targetE0EEEvSQ_.kd
    .uniform_work_group_size: 1
    .uses_dynamic_stack: false
    .vgpr_count:     0
    .vgpr_spill_count: 0
    .wavefront_size: 32
    .workgroup_processor_mode: 1
  - .args:
      - .offset:         0
        .size:           56
        .value_kind:     by_value
    .group_segment_fixed_size: 0
    .kernarg_segment_align: 8
    .kernarg_segment_size: 56
    .language:       OpenCL C
    .language_version:
      - 2
      - 0
    .max_flat_workgroup_size: 256
    .name:           _ZN7rocprim17ROCPRIM_400000_NS6detail17trampoline_kernelINS0_14default_configENS1_27lower_bound_config_selectorIjjEEZNS1_14transform_implILb0ES3_S5_N6thrust23THRUST_200600_302600_NS17counting_iteratorIjNS8_11use_defaultESA_SA_EENS8_6detail15normal_iteratorINS8_10device_ptrIjEEEEZNS1_13binary_searchIS3_S5_SG_SB_SG_NS1_21lower_bound_search_opENSC_16wrapped_functionINS0_4lessIvEEbEEEE10hipError_tPvRmT1_T2_T3_mmT4_T5_P12ihipStream_tbEUlRKjE_EESN_SR_SS_mST_SW_bEUlT_E_NS1_11comp_targetILNS1_3genE8ELNS1_11target_archE1030ELNS1_3gpuE2ELNS1_3repE0EEENS1_30default_config_static_selectorELNS0_4arch9wavefront6targetE0EEEvSQ_
    .private_segment_fixed_size: 0
    .sgpr_count:     0
    .sgpr_spill_count: 0
    .symbol:         _ZN7rocprim17ROCPRIM_400000_NS6detail17trampoline_kernelINS0_14default_configENS1_27lower_bound_config_selectorIjjEEZNS1_14transform_implILb0ES3_S5_N6thrust23THRUST_200600_302600_NS17counting_iteratorIjNS8_11use_defaultESA_SA_EENS8_6detail15normal_iteratorINS8_10device_ptrIjEEEEZNS1_13binary_searchIS3_S5_SG_SB_SG_NS1_21lower_bound_search_opENSC_16wrapped_functionINS0_4lessIvEEbEEEE10hipError_tPvRmT1_T2_T3_mmT4_T5_P12ihipStream_tbEUlRKjE_EESN_SR_SS_mST_SW_bEUlT_E_NS1_11comp_targetILNS1_3genE8ELNS1_11target_archE1030ELNS1_3gpuE2ELNS1_3repE0EEENS1_30default_config_static_selectorELNS0_4arch9wavefront6targetE0EEEvSQ_.kd
    .uniform_work_group_size: 1
    .uses_dynamic_stack: false
    .vgpr_count:     0
    .vgpr_spill_count: 0
    .wavefront_size: 32
    .workgroup_processor_mode: 1
  - .args:
      - .offset:         0
        .size:           56
        .value_kind:     by_value
    .group_segment_fixed_size: 0
    .kernarg_segment_align: 8
    .kernarg_segment_size: 56
    .language:       OpenCL C
    .language_version:
      - 2
      - 0
    .max_flat_workgroup_size: 256
    .name:           _ZN7rocprim17ROCPRIM_400000_NS6detail17trampoline_kernelINS0_14default_configENS1_27upper_bound_config_selectorIjjEEZNS1_14transform_implILb0ES3_S5_N6thrust23THRUST_200600_302600_NS17counting_iteratorIjNS8_11use_defaultESA_SA_EENS8_6detail15normal_iteratorINS8_10device_ptrIjEEEEZNS1_13binary_searchIS3_S5_SG_SB_SG_NS1_21upper_bound_search_opENSC_16wrapped_functionINS0_4lessIvEEbEEEE10hipError_tPvRmT1_T2_T3_mmT4_T5_P12ihipStream_tbEUlRKjE_EESN_SR_SS_mST_SW_bEUlT_E_NS1_11comp_targetILNS1_3genE0ELNS1_11target_archE4294967295ELNS1_3gpuE0ELNS1_3repE0EEENS1_30default_config_static_selectorELNS0_4arch9wavefront6targetE0EEEvSQ_
    .private_segment_fixed_size: 0
    .sgpr_count:     0
    .sgpr_spill_count: 0
    .symbol:         _ZN7rocprim17ROCPRIM_400000_NS6detail17trampoline_kernelINS0_14default_configENS1_27upper_bound_config_selectorIjjEEZNS1_14transform_implILb0ES3_S5_N6thrust23THRUST_200600_302600_NS17counting_iteratorIjNS8_11use_defaultESA_SA_EENS8_6detail15normal_iteratorINS8_10device_ptrIjEEEEZNS1_13binary_searchIS3_S5_SG_SB_SG_NS1_21upper_bound_search_opENSC_16wrapped_functionINS0_4lessIvEEbEEEE10hipError_tPvRmT1_T2_T3_mmT4_T5_P12ihipStream_tbEUlRKjE_EESN_SR_SS_mST_SW_bEUlT_E_NS1_11comp_targetILNS1_3genE0ELNS1_11target_archE4294967295ELNS1_3gpuE0ELNS1_3repE0EEENS1_30default_config_static_selectorELNS0_4arch9wavefront6targetE0EEEvSQ_.kd
    .uniform_work_group_size: 1
    .uses_dynamic_stack: false
    .vgpr_count:     0
    .vgpr_spill_count: 0
    .wavefront_size: 32
    .workgroup_processor_mode: 1
  - .args:
      - .offset:         0
        .size:           56
        .value_kind:     by_value
    .group_segment_fixed_size: 0
    .kernarg_segment_align: 8
    .kernarg_segment_size: 56
    .language:       OpenCL C
    .language_version:
      - 2
      - 0
    .max_flat_workgroup_size: 256
    .name:           _ZN7rocprim17ROCPRIM_400000_NS6detail17trampoline_kernelINS0_14default_configENS1_27upper_bound_config_selectorIjjEEZNS1_14transform_implILb0ES3_S5_N6thrust23THRUST_200600_302600_NS17counting_iteratorIjNS8_11use_defaultESA_SA_EENS8_6detail15normal_iteratorINS8_10device_ptrIjEEEEZNS1_13binary_searchIS3_S5_SG_SB_SG_NS1_21upper_bound_search_opENSC_16wrapped_functionINS0_4lessIvEEbEEEE10hipError_tPvRmT1_T2_T3_mmT4_T5_P12ihipStream_tbEUlRKjE_EESN_SR_SS_mST_SW_bEUlT_E_NS1_11comp_targetILNS1_3genE5ELNS1_11target_archE942ELNS1_3gpuE9ELNS1_3repE0EEENS1_30default_config_static_selectorELNS0_4arch9wavefront6targetE0EEEvSQ_
    .private_segment_fixed_size: 0
    .sgpr_count:     0
    .sgpr_spill_count: 0
    .symbol:         _ZN7rocprim17ROCPRIM_400000_NS6detail17trampoline_kernelINS0_14default_configENS1_27upper_bound_config_selectorIjjEEZNS1_14transform_implILb0ES3_S5_N6thrust23THRUST_200600_302600_NS17counting_iteratorIjNS8_11use_defaultESA_SA_EENS8_6detail15normal_iteratorINS8_10device_ptrIjEEEEZNS1_13binary_searchIS3_S5_SG_SB_SG_NS1_21upper_bound_search_opENSC_16wrapped_functionINS0_4lessIvEEbEEEE10hipError_tPvRmT1_T2_T3_mmT4_T5_P12ihipStream_tbEUlRKjE_EESN_SR_SS_mST_SW_bEUlT_E_NS1_11comp_targetILNS1_3genE5ELNS1_11target_archE942ELNS1_3gpuE9ELNS1_3repE0EEENS1_30default_config_static_selectorELNS0_4arch9wavefront6targetE0EEEvSQ_.kd
    .uniform_work_group_size: 1
    .uses_dynamic_stack: false
    .vgpr_count:     0
    .vgpr_spill_count: 0
    .wavefront_size: 32
    .workgroup_processor_mode: 1
  - .args:
      - .offset:         0
        .size:           56
        .value_kind:     by_value
    .group_segment_fixed_size: 0
    .kernarg_segment_align: 8
    .kernarg_segment_size: 56
    .language:       OpenCL C
    .language_version:
      - 2
      - 0
    .max_flat_workgroup_size: 256
    .name:           _ZN7rocprim17ROCPRIM_400000_NS6detail17trampoline_kernelINS0_14default_configENS1_27upper_bound_config_selectorIjjEEZNS1_14transform_implILb0ES3_S5_N6thrust23THRUST_200600_302600_NS17counting_iteratorIjNS8_11use_defaultESA_SA_EENS8_6detail15normal_iteratorINS8_10device_ptrIjEEEEZNS1_13binary_searchIS3_S5_SG_SB_SG_NS1_21upper_bound_search_opENSC_16wrapped_functionINS0_4lessIvEEbEEEE10hipError_tPvRmT1_T2_T3_mmT4_T5_P12ihipStream_tbEUlRKjE_EESN_SR_SS_mST_SW_bEUlT_E_NS1_11comp_targetILNS1_3genE4ELNS1_11target_archE910ELNS1_3gpuE8ELNS1_3repE0EEENS1_30default_config_static_selectorELNS0_4arch9wavefront6targetE0EEEvSQ_
    .private_segment_fixed_size: 0
    .sgpr_count:     0
    .sgpr_spill_count: 0
    .symbol:         _ZN7rocprim17ROCPRIM_400000_NS6detail17trampoline_kernelINS0_14default_configENS1_27upper_bound_config_selectorIjjEEZNS1_14transform_implILb0ES3_S5_N6thrust23THRUST_200600_302600_NS17counting_iteratorIjNS8_11use_defaultESA_SA_EENS8_6detail15normal_iteratorINS8_10device_ptrIjEEEEZNS1_13binary_searchIS3_S5_SG_SB_SG_NS1_21upper_bound_search_opENSC_16wrapped_functionINS0_4lessIvEEbEEEE10hipError_tPvRmT1_T2_T3_mmT4_T5_P12ihipStream_tbEUlRKjE_EESN_SR_SS_mST_SW_bEUlT_E_NS1_11comp_targetILNS1_3genE4ELNS1_11target_archE910ELNS1_3gpuE8ELNS1_3repE0EEENS1_30default_config_static_selectorELNS0_4arch9wavefront6targetE0EEEvSQ_.kd
    .uniform_work_group_size: 1
    .uses_dynamic_stack: false
    .vgpr_count:     0
    .vgpr_spill_count: 0
    .wavefront_size: 32
    .workgroup_processor_mode: 1
  - .args:
      - .offset:         0
        .size:           56
        .value_kind:     by_value
    .group_segment_fixed_size: 0
    .kernarg_segment_align: 8
    .kernarg_segment_size: 56
    .language:       OpenCL C
    .language_version:
      - 2
      - 0
    .max_flat_workgroup_size: 256
    .name:           _ZN7rocprim17ROCPRIM_400000_NS6detail17trampoline_kernelINS0_14default_configENS1_27upper_bound_config_selectorIjjEEZNS1_14transform_implILb0ES3_S5_N6thrust23THRUST_200600_302600_NS17counting_iteratorIjNS8_11use_defaultESA_SA_EENS8_6detail15normal_iteratorINS8_10device_ptrIjEEEEZNS1_13binary_searchIS3_S5_SG_SB_SG_NS1_21upper_bound_search_opENSC_16wrapped_functionINS0_4lessIvEEbEEEE10hipError_tPvRmT1_T2_T3_mmT4_T5_P12ihipStream_tbEUlRKjE_EESN_SR_SS_mST_SW_bEUlT_E_NS1_11comp_targetILNS1_3genE3ELNS1_11target_archE908ELNS1_3gpuE7ELNS1_3repE0EEENS1_30default_config_static_selectorELNS0_4arch9wavefront6targetE0EEEvSQ_
    .private_segment_fixed_size: 0
    .sgpr_count:     0
    .sgpr_spill_count: 0
    .symbol:         _ZN7rocprim17ROCPRIM_400000_NS6detail17trampoline_kernelINS0_14default_configENS1_27upper_bound_config_selectorIjjEEZNS1_14transform_implILb0ES3_S5_N6thrust23THRUST_200600_302600_NS17counting_iteratorIjNS8_11use_defaultESA_SA_EENS8_6detail15normal_iteratorINS8_10device_ptrIjEEEEZNS1_13binary_searchIS3_S5_SG_SB_SG_NS1_21upper_bound_search_opENSC_16wrapped_functionINS0_4lessIvEEbEEEE10hipError_tPvRmT1_T2_T3_mmT4_T5_P12ihipStream_tbEUlRKjE_EESN_SR_SS_mST_SW_bEUlT_E_NS1_11comp_targetILNS1_3genE3ELNS1_11target_archE908ELNS1_3gpuE7ELNS1_3repE0EEENS1_30default_config_static_selectorELNS0_4arch9wavefront6targetE0EEEvSQ_.kd
    .uniform_work_group_size: 1
    .uses_dynamic_stack: false
    .vgpr_count:     0
    .vgpr_spill_count: 0
    .wavefront_size: 32
    .workgroup_processor_mode: 1
  - .args:
      - .offset:         0
        .size:           56
        .value_kind:     by_value
    .group_segment_fixed_size: 0
    .kernarg_segment_align: 8
    .kernarg_segment_size: 56
    .language:       OpenCL C
    .language_version:
      - 2
      - 0
    .max_flat_workgroup_size: 256
    .name:           _ZN7rocprim17ROCPRIM_400000_NS6detail17trampoline_kernelINS0_14default_configENS1_27upper_bound_config_selectorIjjEEZNS1_14transform_implILb0ES3_S5_N6thrust23THRUST_200600_302600_NS17counting_iteratorIjNS8_11use_defaultESA_SA_EENS8_6detail15normal_iteratorINS8_10device_ptrIjEEEEZNS1_13binary_searchIS3_S5_SG_SB_SG_NS1_21upper_bound_search_opENSC_16wrapped_functionINS0_4lessIvEEbEEEE10hipError_tPvRmT1_T2_T3_mmT4_T5_P12ihipStream_tbEUlRKjE_EESN_SR_SS_mST_SW_bEUlT_E_NS1_11comp_targetILNS1_3genE2ELNS1_11target_archE906ELNS1_3gpuE6ELNS1_3repE0EEENS1_30default_config_static_selectorELNS0_4arch9wavefront6targetE0EEEvSQ_
    .private_segment_fixed_size: 0
    .sgpr_count:     0
    .sgpr_spill_count: 0
    .symbol:         _ZN7rocprim17ROCPRIM_400000_NS6detail17trampoline_kernelINS0_14default_configENS1_27upper_bound_config_selectorIjjEEZNS1_14transform_implILb0ES3_S5_N6thrust23THRUST_200600_302600_NS17counting_iteratorIjNS8_11use_defaultESA_SA_EENS8_6detail15normal_iteratorINS8_10device_ptrIjEEEEZNS1_13binary_searchIS3_S5_SG_SB_SG_NS1_21upper_bound_search_opENSC_16wrapped_functionINS0_4lessIvEEbEEEE10hipError_tPvRmT1_T2_T3_mmT4_T5_P12ihipStream_tbEUlRKjE_EESN_SR_SS_mST_SW_bEUlT_E_NS1_11comp_targetILNS1_3genE2ELNS1_11target_archE906ELNS1_3gpuE6ELNS1_3repE0EEENS1_30default_config_static_selectorELNS0_4arch9wavefront6targetE0EEEvSQ_.kd
    .uniform_work_group_size: 1
    .uses_dynamic_stack: false
    .vgpr_count:     0
    .vgpr_spill_count: 0
    .wavefront_size: 32
    .workgroup_processor_mode: 1
  - .args:
      - .offset:         0
        .size:           56
        .value_kind:     by_value
      - .offset:         56
        .size:           4
        .value_kind:     hidden_block_count_x
      - .offset:         60
        .size:           4
        .value_kind:     hidden_block_count_y
      - .offset:         64
        .size:           4
        .value_kind:     hidden_block_count_z
      - .offset:         68
        .size:           2
        .value_kind:     hidden_group_size_x
      - .offset:         70
        .size:           2
        .value_kind:     hidden_group_size_y
      - .offset:         72
        .size:           2
        .value_kind:     hidden_group_size_z
      - .offset:         74
        .size:           2
        .value_kind:     hidden_remainder_x
      - .offset:         76
        .size:           2
        .value_kind:     hidden_remainder_y
      - .offset:         78
        .size:           2
        .value_kind:     hidden_remainder_z
      - .offset:         96
        .size:           8
        .value_kind:     hidden_global_offset_x
      - .offset:         104
        .size:           8
        .value_kind:     hidden_global_offset_y
      - .offset:         112
        .size:           8
        .value_kind:     hidden_global_offset_z
      - .offset:         120
        .size:           2
        .value_kind:     hidden_grid_dims
    .group_segment_fixed_size: 0
    .kernarg_segment_align: 8
    .kernarg_segment_size: 312
    .language:       OpenCL C
    .language_version:
      - 2
      - 0
    .max_flat_workgroup_size: 128
    .name:           _ZN7rocprim17ROCPRIM_400000_NS6detail17trampoline_kernelINS0_14default_configENS1_27upper_bound_config_selectorIjjEEZNS1_14transform_implILb0ES3_S5_N6thrust23THRUST_200600_302600_NS17counting_iteratorIjNS8_11use_defaultESA_SA_EENS8_6detail15normal_iteratorINS8_10device_ptrIjEEEEZNS1_13binary_searchIS3_S5_SG_SB_SG_NS1_21upper_bound_search_opENSC_16wrapped_functionINS0_4lessIvEEbEEEE10hipError_tPvRmT1_T2_T3_mmT4_T5_P12ihipStream_tbEUlRKjE_EESN_SR_SS_mST_SW_bEUlT_E_NS1_11comp_targetILNS1_3genE10ELNS1_11target_archE1201ELNS1_3gpuE5ELNS1_3repE0EEENS1_30default_config_static_selectorELNS0_4arch9wavefront6targetE0EEEvSQ_
    .private_segment_fixed_size: 0
    .sgpr_count:     17
    .sgpr_spill_count: 0
    .symbol:         _ZN7rocprim17ROCPRIM_400000_NS6detail17trampoline_kernelINS0_14default_configENS1_27upper_bound_config_selectorIjjEEZNS1_14transform_implILb0ES3_S5_N6thrust23THRUST_200600_302600_NS17counting_iteratorIjNS8_11use_defaultESA_SA_EENS8_6detail15normal_iteratorINS8_10device_ptrIjEEEEZNS1_13binary_searchIS3_S5_SG_SB_SG_NS1_21upper_bound_search_opENSC_16wrapped_functionINS0_4lessIvEEbEEEE10hipError_tPvRmT1_T2_T3_mmT4_T5_P12ihipStream_tbEUlRKjE_EESN_SR_SS_mST_SW_bEUlT_E_NS1_11comp_targetILNS1_3genE10ELNS1_11target_archE1201ELNS1_3gpuE5ELNS1_3repE0EEENS1_30default_config_static_selectorELNS0_4arch9wavefront6targetE0EEEvSQ_.kd
    .uniform_work_group_size: 1
    .uses_dynamic_stack: false
    .vgpr_count:     11
    .vgpr_spill_count: 0
    .wavefront_size: 32
    .workgroup_processor_mode: 1
  - .args:
      - .offset:         0
        .size:           56
        .value_kind:     by_value
    .group_segment_fixed_size: 0
    .kernarg_segment_align: 8
    .kernarg_segment_size: 56
    .language:       OpenCL C
    .language_version:
      - 2
      - 0
    .max_flat_workgroup_size: 128
    .name:           _ZN7rocprim17ROCPRIM_400000_NS6detail17trampoline_kernelINS0_14default_configENS1_27upper_bound_config_selectorIjjEEZNS1_14transform_implILb0ES3_S5_N6thrust23THRUST_200600_302600_NS17counting_iteratorIjNS8_11use_defaultESA_SA_EENS8_6detail15normal_iteratorINS8_10device_ptrIjEEEEZNS1_13binary_searchIS3_S5_SG_SB_SG_NS1_21upper_bound_search_opENSC_16wrapped_functionINS0_4lessIvEEbEEEE10hipError_tPvRmT1_T2_T3_mmT4_T5_P12ihipStream_tbEUlRKjE_EESN_SR_SS_mST_SW_bEUlT_E_NS1_11comp_targetILNS1_3genE10ELNS1_11target_archE1200ELNS1_3gpuE4ELNS1_3repE0EEENS1_30default_config_static_selectorELNS0_4arch9wavefront6targetE0EEEvSQ_
    .private_segment_fixed_size: 0
    .sgpr_count:     0
    .sgpr_spill_count: 0
    .symbol:         _ZN7rocprim17ROCPRIM_400000_NS6detail17trampoline_kernelINS0_14default_configENS1_27upper_bound_config_selectorIjjEEZNS1_14transform_implILb0ES3_S5_N6thrust23THRUST_200600_302600_NS17counting_iteratorIjNS8_11use_defaultESA_SA_EENS8_6detail15normal_iteratorINS8_10device_ptrIjEEEEZNS1_13binary_searchIS3_S5_SG_SB_SG_NS1_21upper_bound_search_opENSC_16wrapped_functionINS0_4lessIvEEbEEEE10hipError_tPvRmT1_T2_T3_mmT4_T5_P12ihipStream_tbEUlRKjE_EESN_SR_SS_mST_SW_bEUlT_E_NS1_11comp_targetILNS1_3genE10ELNS1_11target_archE1200ELNS1_3gpuE4ELNS1_3repE0EEENS1_30default_config_static_selectorELNS0_4arch9wavefront6targetE0EEEvSQ_.kd
    .uniform_work_group_size: 1
    .uses_dynamic_stack: false
    .vgpr_count:     0
    .vgpr_spill_count: 0
    .wavefront_size: 32
    .workgroup_processor_mode: 1
  - .args:
      - .offset:         0
        .size:           56
        .value_kind:     by_value
    .group_segment_fixed_size: 0
    .kernarg_segment_align: 8
    .kernarg_segment_size: 56
    .language:       OpenCL C
    .language_version:
      - 2
      - 0
    .max_flat_workgroup_size: 256
    .name:           _ZN7rocprim17ROCPRIM_400000_NS6detail17trampoline_kernelINS0_14default_configENS1_27upper_bound_config_selectorIjjEEZNS1_14transform_implILb0ES3_S5_N6thrust23THRUST_200600_302600_NS17counting_iteratorIjNS8_11use_defaultESA_SA_EENS8_6detail15normal_iteratorINS8_10device_ptrIjEEEEZNS1_13binary_searchIS3_S5_SG_SB_SG_NS1_21upper_bound_search_opENSC_16wrapped_functionINS0_4lessIvEEbEEEE10hipError_tPvRmT1_T2_T3_mmT4_T5_P12ihipStream_tbEUlRKjE_EESN_SR_SS_mST_SW_bEUlT_E_NS1_11comp_targetILNS1_3genE9ELNS1_11target_archE1100ELNS1_3gpuE3ELNS1_3repE0EEENS1_30default_config_static_selectorELNS0_4arch9wavefront6targetE0EEEvSQ_
    .private_segment_fixed_size: 0
    .sgpr_count:     0
    .sgpr_spill_count: 0
    .symbol:         _ZN7rocprim17ROCPRIM_400000_NS6detail17trampoline_kernelINS0_14default_configENS1_27upper_bound_config_selectorIjjEEZNS1_14transform_implILb0ES3_S5_N6thrust23THRUST_200600_302600_NS17counting_iteratorIjNS8_11use_defaultESA_SA_EENS8_6detail15normal_iteratorINS8_10device_ptrIjEEEEZNS1_13binary_searchIS3_S5_SG_SB_SG_NS1_21upper_bound_search_opENSC_16wrapped_functionINS0_4lessIvEEbEEEE10hipError_tPvRmT1_T2_T3_mmT4_T5_P12ihipStream_tbEUlRKjE_EESN_SR_SS_mST_SW_bEUlT_E_NS1_11comp_targetILNS1_3genE9ELNS1_11target_archE1100ELNS1_3gpuE3ELNS1_3repE0EEENS1_30default_config_static_selectorELNS0_4arch9wavefront6targetE0EEEvSQ_.kd
    .uniform_work_group_size: 1
    .uses_dynamic_stack: false
    .vgpr_count:     0
    .vgpr_spill_count: 0
    .wavefront_size: 32
    .workgroup_processor_mode: 1
  - .args:
      - .offset:         0
        .size:           56
        .value_kind:     by_value
    .group_segment_fixed_size: 0
    .kernarg_segment_align: 8
    .kernarg_segment_size: 56
    .language:       OpenCL C
    .language_version:
      - 2
      - 0
    .max_flat_workgroup_size: 256
    .name:           _ZN7rocprim17ROCPRIM_400000_NS6detail17trampoline_kernelINS0_14default_configENS1_27upper_bound_config_selectorIjjEEZNS1_14transform_implILb0ES3_S5_N6thrust23THRUST_200600_302600_NS17counting_iteratorIjNS8_11use_defaultESA_SA_EENS8_6detail15normal_iteratorINS8_10device_ptrIjEEEEZNS1_13binary_searchIS3_S5_SG_SB_SG_NS1_21upper_bound_search_opENSC_16wrapped_functionINS0_4lessIvEEbEEEE10hipError_tPvRmT1_T2_T3_mmT4_T5_P12ihipStream_tbEUlRKjE_EESN_SR_SS_mST_SW_bEUlT_E_NS1_11comp_targetILNS1_3genE8ELNS1_11target_archE1030ELNS1_3gpuE2ELNS1_3repE0EEENS1_30default_config_static_selectorELNS0_4arch9wavefront6targetE0EEEvSQ_
    .private_segment_fixed_size: 0
    .sgpr_count:     0
    .sgpr_spill_count: 0
    .symbol:         _ZN7rocprim17ROCPRIM_400000_NS6detail17trampoline_kernelINS0_14default_configENS1_27upper_bound_config_selectorIjjEEZNS1_14transform_implILb0ES3_S5_N6thrust23THRUST_200600_302600_NS17counting_iteratorIjNS8_11use_defaultESA_SA_EENS8_6detail15normal_iteratorINS8_10device_ptrIjEEEEZNS1_13binary_searchIS3_S5_SG_SB_SG_NS1_21upper_bound_search_opENSC_16wrapped_functionINS0_4lessIvEEbEEEE10hipError_tPvRmT1_T2_T3_mmT4_T5_P12ihipStream_tbEUlRKjE_EESN_SR_SS_mST_SW_bEUlT_E_NS1_11comp_targetILNS1_3genE8ELNS1_11target_archE1030ELNS1_3gpuE2ELNS1_3repE0EEENS1_30default_config_static_selectorELNS0_4arch9wavefront6targetE0EEEvSQ_.kd
    .uniform_work_group_size: 1
    .uses_dynamic_stack: false
    .vgpr_count:     0
    .vgpr_spill_count: 0
    .wavefront_size: 32
    .workgroup_processor_mode: 1
  - .args:
      - .offset:         0
        .size:           16
        .value_kind:     by_value
      - .offset:         16
        .size:           8
        .value_kind:     by_value
      - .offset:         24
        .size:           8
        .value_kind:     by_value
    .group_segment_fixed_size: 0
    .kernarg_segment_align: 8
    .kernarg_segment_size: 32
    .language:       OpenCL C
    .language_version:
      - 2
      - 0
    .max_flat_workgroup_size: 256
    .name:           _ZN6thrust23THRUST_200600_302600_NS11hip_rocprim14__parallel_for6kernelILj256ENS1_20__uninitialized_copy7functorINS0_10device_ptrINS0_5tupleIffNS0_9null_typeES8_S8_S8_S8_S8_S8_S8_EEEENS0_7pointerIS9_NS1_3tagENS0_11use_defaultESD_EEEEmLj1EEEvT0_T1_SH_
    .private_segment_fixed_size: 0
    .sgpr_count:     12
    .sgpr_spill_count: 0
    .symbol:         _ZN6thrust23THRUST_200600_302600_NS11hip_rocprim14__parallel_for6kernelILj256ENS1_20__uninitialized_copy7functorINS0_10device_ptrINS0_5tupleIffNS0_9null_typeES8_S8_S8_S8_S8_S8_S8_EEEENS0_7pointerIS9_NS1_3tagENS0_11use_defaultESD_EEEEmLj1EEEvT0_T1_SH_.kd
    .uniform_work_group_size: 1
    .uses_dynamic_stack: false
    .vgpr_count:     5
    .vgpr_spill_count: 0
    .wavefront_size: 32
    .workgroup_processor_mode: 1
amdhsa.target:   amdgcn-amd-amdhsa--gfx1201
amdhsa.version:
  - 1
  - 2
...

	.end_amdgpu_metadata
